;; amdgpu-corpus repo=ggml-org/llama.cpp kind=compiled arch=gfx906 opt=O3
	.amdgcn_target "amdgcn-amd-amdhsa--gfx906"
	.amdhsa_code_object_version 6
	.section	.text._ZL15flash_attn_tileILi256ELi256ELi4ELi8ELb0EEvPKcS1_S1_S1_S1_PKiPfP15HIP_vector_typeIfLj2EEffffjfiS5_IjLj3EEiiiiiiiiiiiliiliiiiil,"axG",@progbits,_ZL15flash_attn_tileILi256ELi256ELi4ELi8ELb0EEvPKcS1_S1_S1_S1_PKiPfP15HIP_vector_typeIfLj2EEffffjfiS5_IjLj3EEiiiiiiiiiiiliiliiiiil,comdat
	.globl	_ZL15flash_attn_tileILi256ELi256ELi4ELi8ELb0EEvPKcS1_S1_S1_S1_PKiPfP15HIP_vector_typeIfLj2EEffffjfiS5_IjLj3EEiiiiiiiiiiiliiliiiiil ; -- Begin function _ZL15flash_attn_tileILi256ELi256ELi4ELi8ELb0EEvPKcS1_S1_S1_S1_PKiPfP15HIP_vector_typeIfLj2EEffffjfiS5_IjLj3EEiiiiiiiiiiiliiliiiiil
	.p2align	8
	.type	_ZL15flash_attn_tileILi256ELi256ELi4ELi8ELb0EEvPKcS1_S1_S1_S1_PKiPfP15HIP_vector_typeIfLj2EEffffjfiS5_IjLj3EEiiiiiiiiiiiliiliiiiil,@function
_ZL15flash_attn_tileILi256ELi256ELi4ELi8ELb0EEvPKcS1_S1_S1_S1_PKiPfP15HIP_vector_typeIfLj2EEffffjfiS5_IjLj3EEiiiiiiiiiiiliiliiiiil: ; @_ZL15flash_attn_tileILi256ELi256ELi4ELi8ELb0EEvPKcS1_S1_S1_S1_PKiPfP15HIP_vector_typeIfLj2EEffffjfiS5_IjLj3EEiiiiiiiiiiiliiliiiiil
; %bb.0:
	s_load_dwordx4 s[0:3], s[4:5], 0x5c
	s_load_dwordx2 s[24:25], s[4:5], 0x80
	s_load_dwordx2 s[28:29], s[4:5], 0xb8
	s_mov_b64 s[26:27], 0
	s_waitcnt lgkmcnt(0)
	s_ashr_i32 s9, s3, 31
	s_lshr_b32 s9, s9, 29
	s_add_i32 s9, s3, s9
	s_ashr_i32 s9, s9, 3
	v_cvt_f32_u32_e32 v2, s9
	s_sub_i32 s10, 0, s9
	v_rcp_iflag_f32_e32 v2, v2
	v_mul_f32_e32 v2, 0x4f7ffffe, v2
	v_cvt_u32_f32_e32 v2, v2
	v_readfirstlane_b32 s11, v2
	s_mul_i32 s10, s10, s11
	s_mul_hi_u32 s10, s11, s10
	s_add_i32 s11, s11, s10
	s_mul_hi_u32 s10, s8, s11
	s_mul_i32 s11, s10, s9
	s_sub_i32 s11, s8, s11
	s_add_i32 s12, s10, 1
	s_sub_i32 s13, s11, s9
	s_cmp_ge_u32 s11, s9
	s_cselect_b32 s10, s12, s10
	s_cselect_b32 s11, s13, s11
	s_add_i32 s12, s10, 1
	s_cmp_ge_u32 s11, s9
	s_cselect_b32 s30, s12, s10
	s_abs_i32 s9, s25
	v_cvt_f32_u32_e32 v2, s9
	s_lshl_b32 s8, s8, 3
	s_mul_i32 s12, s30, s3
	s_xor_b32 s10, s3, s25
	v_rcp_iflag_f32_e32 v2, v2
	s_sub_i32 s13, 0, s9
	s_sub_i32 s25, s8, s12
	s_abs_i32 s11, s3
	v_mul_f32_e32 v2, 0x4f7ffffe, v2
	v_cvt_u32_f32_e32 v2, v2
	s_ashr_i32 s10, s10, 31
	v_readfirstlane_b32 s8, v2
	s_mul_i32 s13, s13, s8
	s_mul_hi_u32 s12, s8, s13
	s_add_i32 s8, s8, s12
	s_mul_hi_u32 s8, s11, s8
	s_mul_i32 s12, s8, s9
	s_sub_i32 s11, s11, s12
	s_add_i32 s13, s8, 1
	s_sub_i32 s12, s11, s9
	s_cmp_ge_u32 s11, s9
	s_cselect_b32 s8, s13, s8
	s_cselect_b32 s11, s12, s11
	s_add_i32 s12, s8, 1
	s_cmp_ge_u32 s11, s9
	s_cselect_b32 s8, s12, s8
	s_xor_b32 s8, s8, s10
	s_sub_i32 s33, s8, s10
	s_abs_i32 s31, s33
	v_cvt_f32_u32_e32 v2, s31
	s_load_dwordx16 s[8:23], s[4:5], 0x0
	v_rcp_iflag_f32_e32 v2, v2
	s_waitcnt lgkmcnt(0)
	s_cmp_eq_u64 s[14:15], 0
	v_mul_f32_e32 v2, 0x4f7ffffe, v2
	v_cvt_u32_f32_e32 v2, v2
	v_readfirstlane_b32 s34, v2
	s_cbranch_scc1 .LBB0_2
; %bb.1:
	s_abs_i32 s28, s28
	v_cvt_f32_u32_e32 v2, s28
	s_sub_i32 s37, 0, s28
	s_abs_i32 s36, s30
	s_ashr_i32 s35, s30, 31
	v_rcp_iflag_f32_e32 v2, v2
	s_load_dwordx2 s[26:27], s[4:5], 0xc8
	v_mul_f32_e32 v2, 0x4f7ffffe, v2
	v_cvt_u32_f32_e32 v2, v2
	v_readfirstlane_b32 s38, v2
	s_mul_i32 s37, s37, s38
	s_mul_hi_u32 s37, s38, s37
	s_add_i32 s38, s38, s37
	s_mul_hi_u32 s37, s36, s38
	s_mul_i32 s37, s37, s28
	s_sub_i32 s36, s36, s37
	s_sub_i32 s37, s36, s28
	s_cmp_ge_u32 s36, s28
	s_cselect_b32 s36, s37, s36
	s_sub_i32 s37, s36, s28
	s_cmp_ge_u32 s36, s28
	s_cselect_b32 s28, s37, s36
	s_xor_b32 s28, s28, s35
	s_sub_i32 s28, s28, s35
	s_ashr_i32 s35, s28, 31
	s_waitcnt lgkmcnt(0)
	s_mul_hi_u32 s36, s26, s28
	s_mul_i32 s35, s26, s35
	s_mul_i32 s27, s27, s28
	s_add_i32 s35, s36, s35
	s_add_i32 s35, s35, s27
	s_mul_i32 s26, s26, s28
	s_add_u32 s26, s14, s26
	s_addc_u32 s27, s15, s35
.LBB0_2:
	v_lshrrev_b32_e32 v2, 1, v1
	s_load_dwordx4 s[36:39], s[4:5], 0x70
	v_lshl_add_u32 v22, s6, 2, v2
	v_mul_hi_u32 v2, s0, v22
	v_lshlrev_b32_e32 v23, 2, v1
	v_and_b32_e32 v24, 4, v23
	s_waitcnt lgkmcnt(0)
	s_mul_i32 s0, s30, s38
	v_add_u32_e32 v2, v22, v2
	s_ashr_i32 s15, s0, 31
	v_lshrrev_b32_e32 v2, s1, v2
	s_mul_i32 s14, s25, s37
	s_add_u32 s0, s8, s0
	v_mul_lo_u32 v2, v2, s2
	s_addc_u32 s8, s9, s15
	s_ashr_i32 s9, s14, 31
	s_add_u32 s14, s0, s14
	s_addc_u32 s15, s8, s9
	s_ashr_i32 s9, s37, 31
	s_mov_b32 s8, s37
	s_ashr_i32 s37, s36, 31
	v_sub_u32_e32 v2, v22, v2
	s_lshr_b64 s[0:1], s[36:37], 2
	v_mad_u64_u32 v[3:4], s[0:1], s0, v2, 0
	s_lshr_b32 s0, s37, 2
	v_lshlrev_b32_e32 v7, 4, v0
	v_mad_u64_u32 v[4:5], s[0:1], s0, v2, v[4:5]
	s_lshr_b64 s[0:1], s[8:9], 2
	v_mov_b32_e32 v5, s15
	v_lshlrev_b64 v[3:4], 2, v[3:4]
	v_or_b32_e32 v42, 1, v23
	v_add_co_u32_e32 v6, vcc, s14, v3
	s_lshr_b32 s14, s9, 2
	v_addc_co_u32_e32 v5, vcc, v5, v4, vcc
	v_mul_lo_u32 v8, s14, v24
	v_mad_u64_u32 v[3:4], s[8:9], s0, v24, 0
	v_add_co_u32_e32 v36, vcc, v6, v7
	v_or_b32_e32 v4, v4, v8
	v_lshlrev_b64 v[3:4], 2, v[3:4]
	v_addc_co_u32_e32 v37, vcc, 0, v5, vcc
	v_add_co_u32_e32 v8, vcc, v36, v3
	v_addc_co_u32_e32 v9, vcc, v37, v4, vcc
	global_load_dwordx4 v[4:7], v[8:9], off
	v_and_b32_e32 v14, 5, v42
	v_mad_u64_u32 v[12:13], s[8:9], s0, v14, 0
	v_or_b32_e32 v43, 2, v23
	v_and_b32_e32 v25, 6, v43
	v_mov_b32_e32 v3, v13
	v_mad_u64_u32 v[20:21], s[8:9], s0, v25, 0
	global_load_dwordx4 v[8:11], v[8:9], off offset:512
	v_or_b32_e32 v23, 3, v23
	s_cmp_eq_u64 s[18:19], 0
	s_waitcnt vmcnt(1)
	v_mad_u64_u32 v[13:14], s[8:9], s14, v14, v[3:4]
	v_mov_b32_e32 v3, v21
	v_mad_u64_u32 v[25:26], s[8:9], s14, v25, v[3:4]
	v_lshlrev_b64 v[12:13], 2, v[12:13]
	v_add_co_u32_e32 v16, vcc, v36, v12
	v_addc_co_u32_e32 v17, vcc, v37, v13, vcc
	global_load_dwordx4 v[12:15], v[16:17], off
	v_mov_b32_e32 v21, v25
	v_and_b32_e32 v25, 7, v23
	global_load_dwordx4 v[16:19], v[16:17], off offset:512
	v_mad_u64_u32 v[34:35], s[0:1], s0, v25, 0
	v_lshlrev_b64 v[20:21], 2, v[20:21]
	v_add_co_u32_e32 v20, vcc, v36, v20
	v_addc_co_u32_e32 v21, vcc, v37, v21, vcc
	v_mov_b32_e32 v3, v35
	global_load_dwordx4 v[26:29], v[20:21], off
	global_load_dwordx4 v[30:33], v[20:21], off offset:512
	v_mad_u64_u32 v[20:21], s[0:1], s14, v25, v[3:4]
	s_load_dword s0, s[4:5], 0x40
	v_lshlrev_b32_e32 v3, 3, v0
	v_mov_b32_e32 v35, v20
	v_lshlrev_b64 v[20:21], 2, v[34:35]
	v_lshlrev_b32_e32 v25, 11, v1
	v_add_co_u32_e32 v20, vcc, v36, v20
	v_addc_co_u32_e32 v21, vcc, v37, v21, vcc
	global_load_dwordx4 v[34:37], v[20:21], off
	global_load_dwordx4 v[38:41], v[20:21], off offset:512
	s_waitcnt lgkmcnt(0)
	v_fma_mixlo_f16 v4, s0, v4, 0
	v_fma_mixlo_f16 v5, s0, v5, 0
	;; [unrolled: 1-line block ×4, first 2 shown]
	v_lshlrev_b32_e32 v5, 16, v5
	v_and_b32_e32 v4, 0xffff, v4
	v_lshlrev_b32_e32 v7, 16, v7
	v_and_b32_e32 v6, 0xffff, v6
	v_or_b32_e32 v4, v5, v4
	v_or3_b32 v5, v7, v6, 0
	s_waitcnt vmcnt(6)
	v_fma_mixlo_f16 v6, s0, v8, 0
	v_fma_mixlo_f16 v7, s0, v9, 0
	v_lshlrev_b32_e32 v7, 16, v7
	v_and_b32_e32 v6, 0xffff, v6
	v_or_b32_e32 v6, v7, v6
	v_fma_mixlo_f16 v7, s0, v10, 0
	v_fma_mixlo_f16 v8, s0, v11, 0
	v_lshlrev_b32_e32 v8, 16, v8
	v_and_b32_e32 v7, 0xffff, v7
	v_or_b32_e32 v44, v3, v25
	v_or3_b32 v4, 0, 0, v4
	v_or3_b32 v7, v8, v7, 0
	;; [unrolled: 1-line block ×3, first 2 shown]
	ds_write2_b64 v44, v[4:5], v[6:7] offset1:32
	v_lshl_add_u32 v8, v42, 9, v3
	s_waitcnt vmcnt(5)
	v_fma_mixlo_f16 v4, s0, v12, 0
	v_fma_mixlo_f16 v5, s0, v13, 0
	v_lshlrev_b32_e32 v5, 16, v5
	v_and_b32_e32 v4, 0xffff, v4
	v_or_b32_e32 v4, v5, v4
	v_fma_mixlo_f16 v5, s0, v14, 0
	v_fma_mixlo_f16 v6, s0, v15, 0
	v_lshlrev_b32_e32 v6, 16, v6
	v_and_b32_e32 v5, 0xffff, v5
	v_or3_b32 v5, v6, v5, 0
	s_waitcnt vmcnt(4)
	v_fma_mixlo_f16 v6, s0, v16, 0
	v_fma_mixlo_f16 v7, s0, v17, 0
	v_lshlrev_b32_e32 v7, 16, v7
	v_and_b32_e32 v6, 0xffff, v6
	v_or_b32_e32 v6, v7, v6
	v_fma_mixlo_f16 v7, s0, v18, 0
	v_fma_mixlo_f16 v9, s0, v19, 0
	v_lshlrev_b32_e32 v9, 16, v9
	v_and_b32_e32 v7, 0xffff, v7
	v_or3_b32 v4, 0, 0, v4
	v_or3_b32 v7, v9, v7, 0
	;; [unrolled: 1-line block ×3, first 2 shown]
	ds_write2_b64 v8, v[4:5], v[6:7] offset1:32
	s_waitcnt vmcnt(3)
	v_fma_mixlo_f16 v4, s0, v26, 0
	v_fma_mixlo_f16 v5, s0, v27, 0
	v_lshlrev_b32_e32 v5, 16, v5
	v_and_b32_e32 v4, 0xffff, v4
	v_or_b32_e32 v4, v5, v4
	v_fma_mixlo_f16 v5, s0, v28, 0
	v_fma_mixlo_f16 v6, s0, v29, 0
	v_lshlrev_b32_e32 v6, 16, v6
	v_and_b32_e32 v5, 0xffff, v5
	v_or3_b32 v5, v6, v5, 0
	s_waitcnt vmcnt(2)
	v_fma_mixlo_f16 v6, s0, v30, 0
	v_fma_mixlo_f16 v7, s0, v31, 0
	v_lshlrev_b32_e32 v7, 16, v7
	v_and_b32_e32 v6, 0xffff, v6
	v_or_b32_e32 v6, v7, v6
	v_fma_mixlo_f16 v7, s0, v32, 0
	v_fma_mixlo_f16 v9, s0, v33, 0
	v_lshlrev_b32_e32 v9, 16, v9
	v_and_b32_e32 v7, 0xffff, v7
	v_lshl_add_u32 v8, v43, 9, v3
	v_or3_b32 v4, 0, 0, v4
	v_or3_b32 v7, v9, v7, 0
	;; [unrolled: 1-line block ×3, first 2 shown]
	ds_write2_b64 v8, v[4:5], v[6:7] offset1:32
	s_waitcnt vmcnt(1)
	v_fma_mixlo_f16 v4, s0, v34, 0
	v_fma_mixlo_f16 v5, s0, v35, 0
	v_lshlrev_b32_e32 v5, 16, v5
	v_and_b32_e32 v4, 0xffff, v4
	v_or_b32_e32 v4, v5, v4
	v_fma_mixlo_f16 v5, s0, v36, 0
	v_fma_mixlo_f16 v6, s0, v37, 0
	v_lshlrev_b32_e32 v6, 16, v6
	v_and_b32_e32 v5, 0xffff, v5
	v_or3_b32 v5, v6, v5, 0
	s_waitcnt vmcnt(0)
	v_fma_mixlo_f16 v6, s0, v38, 0
	v_fma_mixlo_f16 v7, s0, v39, 0
	v_lshlrev_b32_e32 v7, 16, v7
	v_and_b32_e32 v6, 0xffff, v6
	v_or_b32_e32 v6, v7, v6
	v_fma_mixlo_f16 v7, s0, v40, 0
	v_fma_mixlo_f16 v9, s0, v41, 0
	v_lshlrev_b32_e32 v9, 16, v9
	v_and_b32_e32 v7, 0xffff, v7
	v_lshl_add_u32 v8, v23, 9, v3
	v_or3_b32 v4, 0, 0, v4
	v_or3_b32 v7, v9, v7, 0
	;; [unrolled: 1-line block ×3, first 2 shown]
	ds_write2_b64 v8, v[4:5], v[6:7] offset1:32
	s_waitcnt lgkmcnt(0)
	s_barrier
	s_cbranch_scc1 .LBB0_4
; %bb.3:
	s_load_dword s0, s[4:5], 0xd0
	s_mov_b32 s1, 0
	s_waitcnt lgkmcnt(0)
	s_mul_i32 s0, s0, s30
	s_add_i32 s0, s0, s6
	s_lshl_b64 s[0:1], s[0:1], 2
	s_add_u32 s0, s18, s0
	s_addc_u32 s1, s19, s1
	s_load_dword s24, s[0:1], 0x0
.LBB0_4:
	s_lshl_b32 s6, s7, 5
	v_lshlrev_b32_e32 v23, 2, v0
	s_waitcnt lgkmcnt(0)
	s_cmp_lt_i32 s6, s24
	v_mbcnt_lo_u32_b32 v4, -1, 0
	s_cbranch_scc1 .LBB0_7
; %bb.5:
	v_mbcnt_hi_u32_b32 v26, -1, v4
	v_and_b32_e32 v5, 0x60, v26
	v_add_u32_e32 v27, 32, v5
	v_xor_b32_e32 v32, 16, v26
	v_xor_b32_e32 v31, 8, v26
	;; [unrolled: 1-line block ×5, first 2 shown]
	s_cbranch_execz .LBB0_8
; %bb.6:
	v_mov_b32_e32 v58, 0
	v_mov_b32_e32 v33, 0
	;; [unrolled: 1-line block ×24, first 2 shown]
	s_branch .LBB0_10
.LBB0_7:
                                        ; implicit-def: $vgpr26
                                        ; implicit-def: $vgpr27
                                        ; implicit-def: $vgpr32
                                        ; implicit-def: $vgpr31
                                        ; implicit-def: $vgpr30
                                        ; implicit-def: $vgpr28
                                        ; implicit-def: $vgpr29
.LBB0_8:
	s_sub_i32 s0, 0, s31
	s_mul_i32 s0, s0, s34
	s_mul_hi_u32 s0, s34, s0
	s_add_i32 s34, s34, s0
	s_load_dwordx2 s[0:1], s[4:5], 0x8c
	s_load_dwordx4 s[36:39], s[4:5], 0x98
	s_abs_i32 s18, s25
	s_mul_hi_u32 s19, s18, s34
	s_ashr_i32 s28, s25, 31
	s_waitcnt lgkmcnt(0)
	s_ashr_i32 s9, s0, 2
	s_ashr_i32 s0, s30, 31
	s_mul_hi_u32 s34, s36, s30
	s_mul_i32 s35, s36, s0
	s_add_i32 s34, s34, s35
	s_mul_i32 s35, s37, s30
	s_ashr_i32 s33, s33, 31
	s_ashr_i32 s8, s38, 2
	;; [unrolled: 1-line block ×3, first 2 shown]
	s_add_i32 s34, s34, s35
	s_mul_i32 s35, s36, s30
	s_add_u32 s10, s10, s35
	s_addc_u32 s11, s11, s34
	s_xor_b32 s28, s28, s33
	s_mul_i32 s33, s19, s31
	s_sub_i32 s18, s18, s33
	s_add_i32 s33, s19, 1
	s_sub_i32 s34, s18, s31
	s_cmp_ge_u32 s18, s31
	s_cselect_b32 s19, s33, s19
	s_cselect_b32 s18, s34, s18
	s_add_i32 s33, s19, 1
	s_cmp_ge_u32 s18, s31
	s_load_dwordx2 s[14:15], s[4:5], 0xa8
	s_cselect_b32 s18, s33, s19
	s_xor_b32 s18, s18, s28
	s_sub_i32 s18, s18, s28
	s_mul_i32 s1, s18, s1
	s_ashr_i32 s19, s1, 31
	s_add_u32 s10, s10, s1
	s_waitcnt lgkmcnt(0)
	s_mul_hi_u32 s1, s14, s30
	s_mul_i32 s0, s14, s0
	s_addc_u32 s11, s11, s19
	s_add_i32 s0, s1, s0
	s_mul_i32 s1, s15, s30
	s_add_i32 s0, s0, s1
	s_mul_i32 s1, s14, s30
	s_add_u32 s1, s12, s1
	s_mul_i32 s18, s18, s39
	s_addc_u32 s0, s13, s0
	s_ashr_i32 s13, s18, 31
	s_add_u32 s12, s1, s18
	v_lshrrev_b32_e32 v5, 4, v0
	s_addc_u32 s13, s0, s13
	v_lshl_add_u32 v6, v1, 1, v5
	s_movk_i32 s0, 0x110
	v_mov_b32_e32 v9, 0x4000
	v_mul_lo_u32 v5, s9, v6
	v_mad_u32_u24 v36, v0, s0, v9
	v_mul_lo_u32 v9, s8, v1
	v_and_b32_e32 v16, 60, v23
	v_lshlrev_b32_e32 v7, 2, v16
	v_mad_u32_u24 v7, v6, s0, v7
	v_add_u32_e32 v34, 0x4000, v7
	v_add_u32_e32 v35, 0x5100, v7
	v_lshl_add_u32 v7, s9, 4, v5
	v_mad_u64_u32 v[13:14], s[0:1], v2, s29, v[0:1]
	v_lshl_add_u32 v11, s8, 3, v9
	v_ashrrev_i32_e32 v6, 31, v5
	v_ashrrev_i32_e32 v8, 31, v7
	v_mov_b32_e32 v2, 0x6200
	v_lshlrev_b32_e32 v38, 2, v23
	v_ashrrev_i32_e32 v10, 31, v9
	v_ashrrev_i32_e32 v12, 31, v11
	v_mbcnt_hi_u32_b32 v26, -1, v4
	v_lshl_add_u32 v37, v1, 8, v2
	v_lshl_add_u32 v1, v1, 9, v38
	s_add_u32 s0, s4, 0xd0
	v_lshlrev_b64 v[14:15], 2, v[5:6]
	v_lshlrev_b32_e32 v41, 2, v16
	v_lshlrev_b64 v[16:17], 2, v[7:8]
	v_and_b32_e32 v2, 0x60, v26
	v_lshlrev_b64 v[18:19], 2, v[9:10]
	v_lshlrev_b64 v[20:21], 2, v[11:12]
	v_mov_b32_e32 v52, 0
	v_add_u32_e32 v39, 0x4000, v1
	v_add_u32_e32 v40, 0x5000, v1
	s_addc_u32 s1, s5, 0
	v_mov_b32_e32 v1, 0xfeffffff
	v_mov_b32_e32 v42, s27
	v_add_u32_e32 v27, 32, v2
	v_xor_b32_e32 v32, 16, v26
	v_xor_b32_e32 v31, 8, v26
	v_xor_b32_e32 v30, 4, v26
	v_xor_b32_e32 v28, 2, v26
	v_xor_b32_e32 v29, 1, v26
	s_mov_b32 s14, 0x3fb8aa3b
	s_mov_b32 s15, 0xc2ce8ed0
	;; [unrolled: 1-line block ×3, first 2 shown]
	v_mov_b32_e32 v43, 0x7f800000
	s_mov_b32 s19, 0x10001
	v_add_u32_e32 v44, v37, v3
	v_add_u32_e32 v45, 0x4000, v3
	;; [unrolled: 1-line block ×5, first 2 shown]
	v_mov_b32_e32 v54, 0
	v_mov_b32_e32 v56, 0
	;; [unrolled: 1-line block ×22, first 2 shown]
.LBB0_9:                                ; =>This Inner Loop Header: Depth=1
	s_mul_hi_i32 s29, s6, s9
	s_mul_i32 s28, s6, s9
	s_lshl_b64 s[28:29], s[28:29], 2
	s_add_u32 s27, s10, s28
	s_addc_u32 s28, s11, s29
	v_mov_b32_e32 v9, v2
	v_mov_b32_e32 v11, v1
	v_add_co_u32_e32 v1, vcc, s27, v14
	v_mov_b32_e32 v2, s28
	v_addc_co_u32_e32 v2, vcc, v2, v15, vcc
	v_add_co_u32_e32 v1, vcc, v1, v41
	v_addc_co_u32_e32 v2, vcc, 0, v2, vcc
	global_load_dwordx4 v[68:71], v[1:2], off
	v_mov_b32_e32 v5, v4
	v_mov_b32_e32 v7, v3
	v_add_co_u32_e32 v3, vcc, s27, v16
	v_mov_b32_e32 v4, s28
	v_addc_co_u32_e32 v4, vcc, v4, v17, vcc
	v_add_co_u32_e32 v3, vcc, v3, v41
	v_addc_co_u32_e32 v4, vcc, 0, v4, vcc
	v_mov_b32_e32 v12, 0
	v_mov_b32_e32 v8, v49
	;; [unrolled: 1-line block ×7, first 2 shown]
	s_mul_hi_i32 s29, s6, s8
	s_mul_i32 s28, s6, s8
	s_lshl_b64 s[28:29], s[28:29], 2
	s_add_u32 s27, s12, s28
	s_addc_u32 s28, s13, s29
	s_waitcnt vmcnt(0)
	ds_write_b128 v34, v[68:71]
	global_load_dwordx4 v[68:71], v[3:4], off
	s_waitcnt vmcnt(0)
	ds_write_b128 v35, v[68:71]
	s_waitcnt lgkmcnt(0)
	s_barrier
	ds_read_b128 v[68:71], v36
	ds_read_b128 v[72:75], v25
	ds_read_b128 v[76:79], v25 offset:512
	ds_read_b128 v[80:83], v25 offset:1024
	ds_read_b128 v[84:87], v25 offset:1536
	s_waitcnt lgkmcnt(3)
	;;#ASMSTART
	v_dot2_f32_f16 v12, v68, v72, v12
	;;#ASMEND
	;;#ASMSTART
	v_dot2_f32_f16 v12, v69, v73, v12
	;;#ASMEND
	;;#ASMSTART
	v_dot2_f32_f16 v12, v70, v74, v12
	;;#ASMEND
	;;#ASMSTART
	v_dot2_f32_f16 v12, v71, v75, v12
	;;#ASMEND
	s_waitcnt lgkmcnt(2)
	;;#ASMSTART
	v_dot2_f32_f16 v49, v68, v76, v49
	;;#ASMEND
	;;#ASMSTART
	v_dot2_f32_f16 v49, v69, v77, v49
	;;#ASMEND
	;;#ASMSTART
	v_dot2_f32_f16 v49, v70, v78, v49
	;;#ASMEND
	;;#ASMSTART
	v_dot2_f32_f16 v49, v71, v79, v49
	;;#ASMEND
	s_waitcnt lgkmcnt(1)
	;;#ASMSTART
	v_dot2_f32_f16 v50, v68, v80, v50
	;;#ASMEND
	;;#ASMSTART
	v_dot2_f32_f16 v50, v69, v81, v50
	;;#ASMEND
	;;#ASMSTART
	v_dot2_f32_f16 v50, v70, v82, v50
	;;#ASMEND
	;;#ASMSTART
	v_dot2_f32_f16 v50, v71, v83, v50
	;;#ASMEND
	s_waitcnt lgkmcnt(0)
	;;#ASMSTART
	v_dot2_f32_f16 v51, v68, v84, v51
	;;#ASMEND
	;;#ASMSTART
	v_dot2_f32_f16 v51, v69, v85, v51
	;;#ASMEND
	;;#ASMSTART
	v_dot2_f32_f16 v51, v70, v86, v51
	;;#ASMEND
	;;#ASMSTART
	v_dot2_f32_f16 v51, v71, v87, v51
	;;#ASMEND
	ds_read_b128 v[68:71], v36 offset:16
	ds_read_b128 v[72:75], v25 offset:16
	ds_read_b128 v[76:79], v25 offset:528
	ds_read_b128 v[80:83], v25 offset:1040
	ds_read_b128 v[84:87], v25 offset:1552
	s_waitcnt lgkmcnt(3)
	;;#ASMSTART
	v_dot2_f32_f16 v12, v68, v72, v12
	;;#ASMEND
	;;#ASMSTART
	v_dot2_f32_f16 v12, v69, v73, v12
	;;#ASMEND
	;;#ASMSTART
	v_dot2_f32_f16 v12, v70, v74, v12
	;;#ASMEND
	;;#ASMSTART
	v_dot2_f32_f16 v12, v71, v75, v12
	;;#ASMEND
	s_waitcnt lgkmcnt(2)
	;;#ASMSTART
	v_dot2_f32_f16 v49, v68, v76, v49
	;;#ASMEND
	;;#ASMSTART
	v_dot2_f32_f16 v49, v69, v77, v49
	;;#ASMEND
	;;#ASMSTART
	v_dot2_f32_f16 v49, v70, v78, v49
	;;#ASMEND
	;;#ASMSTART
	v_dot2_f32_f16 v49, v71, v79, v49
	;;#ASMEND
	s_waitcnt lgkmcnt(1)
	;;#ASMSTART
	v_dot2_f32_f16 v50, v68, v80, v50
	;;#ASMEND
	;;#ASMSTART
	v_dot2_f32_f16 v50, v69, v81, v50
	;;#ASMEND
	;;#ASMSTART
	v_dot2_f32_f16 v50, v70, v82, v50
	;;#ASMEND
	;;#ASMSTART
	v_dot2_f32_f16 v50, v71, v83, v50
	;;#ASMEND
	s_waitcnt lgkmcnt(0)
	;;#ASMSTART
	v_dot2_f32_f16 v51, v68, v84, v51
	;;#ASMEND
	;;#ASMSTART
	v_dot2_f32_f16 v51, v69, v85, v51
	;;#ASMEND
	;;#ASMSTART
	v_dot2_f32_f16 v51, v70, v86, v51
	;;#ASMEND
	;;#ASMSTART
	v_dot2_f32_f16 v51, v71, v87, v51
	;;#ASMEND
	ds_read_b128 v[68:71], v36 offset:32
	ds_read_b128 v[72:75], v25 offset:32
	ds_read_b128 v[76:79], v25 offset:544
	ds_read_b128 v[80:83], v25 offset:1056
	ds_read_b128 v[84:87], v25 offset:1568
	s_waitcnt lgkmcnt(3)
	;;#ASMSTART
	v_dot2_f32_f16 v12, v68, v72, v12
	;;#ASMEND
	;;#ASMSTART
	v_dot2_f32_f16 v12, v69, v73, v12
	;;#ASMEND
	;;#ASMSTART
	v_dot2_f32_f16 v12, v70, v74, v12
	;;#ASMEND
	;;#ASMSTART
	v_dot2_f32_f16 v12, v71, v75, v12
	;;#ASMEND
	s_waitcnt lgkmcnt(2)
	;;#ASMSTART
	v_dot2_f32_f16 v49, v68, v76, v49
	;;#ASMEND
	;;#ASMSTART
	v_dot2_f32_f16 v49, v69, v77, v49
	;;#ASMEND
	;;#ASMSTART
	v_dot2_f32_f16 v49, v70, v78, v49
	;;#ASMEND
	;;#ASMSTART
	v_dot2_f32_f16 v49, v71, v79, v49
	;;#ASMEND
	s_waitcnt lgkmcnt(1)
	;;#ASMSTART
	v_dot2_f32_f16 v50, v68, v80, v50
	;;#ASMEND
	;;#ASMSTART
	v_dot2_f32_f16 v50, v69, v81, v50
	;;#ASMEND
	;;#ASMSTART
	v_dot2_f32_f16 v50, v70, v82, v50
	;;#ASMEND
	;;#ASMSTART
	v_dot2_f32_f16 v50, v71, v83, v50
	;;#ASMEND
	s_waitcnt lgkmcnt(0)
	;;#ASMSTART
	v_dot2_f32_f16 v51, v68, v84, v51
	;;#ASMEND
	;;#ASMSTART
	v_dot2_f32_f16 v51, v69, v85, v51
	;;#ASMEND
	;;#ASMSTART
	v_dot2_f32_f16 v51, v70, v86, v51
	;;#ASMEND
	;;#ASMSTART
	v_dot2_f32_f16 v51, v71, v87, v51
	;;#ASMEND
	ds_read_b128 v[68:71], v36 offset:48
	ds_read_b128 v[72:75], v25 offset:48
	ds_read_b128 v[76:79], v25 offset:560
	ds_read_b128 v[80:83], v25 offset:1072
	ds_read_b128 v[84:87], v25 offset:1584
	s_waitcnt lgkmcnt(3)
	;;#ASMSTART
	v_dot2_f32_f16 v12, v68, v72, v12
	;;#ASMEND
	;;#ASMSTART
	v_dot2_f32_f16 v12, v69, v73, v12
	;;#ASMEND
	;;#ASMSTART
	v_dot2_f32_f16 v12, v70, v74, v12
	;;#ASMEND
	;;#ASMSTART
	v_dot2_f32_f16 v12, v71, v75, v12
	;;#ASMEND
	s_waitcnt lgkmcnt(2)
	;;#ASMSTART
	v_dot2_f32_f16 v49, v68, v76, v49
	;;#ASMEND
	;;#ASMSTART
	v_dot2_f32_f16 v49, v69, v77, v49
	;;#ASMEND
	;;#ASMSTART
	v_dot2_f32_f16 v49, v70, v78, v49
	;;#ASMEND
	;;#ASMSTART
	v_dot2_f32_f16 v49, v71, v79, v49
	;;#ASMEND
	s_waitcnt lgkmcnt(1)
	;;#ASMSTART
	v_dot2_f32_f16 v50, v68, v80, v50
	;;#ASMEND
	;;#ASMSTART
	v_dot2_f32_f16 v50, v69, v81, v50
	;;#ASMEND
	;;#ASMSTART
	v_dot2_f32_f16 v50, v70, v82, v50
	;;#ASMEND
	;;#ASMSTART
	v_dot2_f32_f16 v50, v71, v83, v50
	;;#ASMEND
	s_waitcnt lgkmcnt(0)
	;;#ASMSTART
	v_dot2_f32_f16 v51, v68, v84, v51
	;;#ASMEND
	;;#ASMSTART
	v_dot2_f32_f16 v51, v69, v85, v51
	;;#ASMEND
	;;#ASMSTART
	v_dot2_f32_f16 v51, v70, v86, v51
	;;#ASMEND
	;;#ASMSTART
	v_dot2_f32_f16 v51, v71, v87, v51
	;;#ASMEND
	ds_read_b128 v[68:71], v36 offset:64
	ds_read_b128 v[72:75], v25 offset:64
	ds_read_b128 v[76:79], v25 offset:576
	ds_read_b128 v[80:83], v25 offset:1088
	ds_read_b128 v[84:87], v25 offset:1600
	s_waitcnt lgkmcnt(3)
	;;#ASMSTART
	v_dot2_f32_f16 v12, v68, v72, v12
	;;#ASMEND
	;;#ASMSTART
	v_dot2_f32_f16 v12, v69, v73, v12
	;;#ASMEND
	;;#ASMSTART
	v_dot2_f32_f16 v12, v70, v74, v12
	;;#ASMEND
	;;#ASMSTART
	v_dot2_f32_f16 v12, v71, v75, v12
	;;#ASMEND
	s_waitcnt lgkmcnt(2)
	;;#ASMSTART
	v_dot2_f32_f16 v49, v68, v76, v49
	;;#ASMEND
	;;#ASMSTART
	v_dot2_f32_f16 v49, v69, v77, v49
	;;#ASMEND
	;;#ASMSTART
	v_dot2_f32_f16 v49, v70, v78, v49
	;;#ASMEND
	;;#ASMSTART
	v_dot2_f32_f16 v49, v71, v79, v49
	;;#ASMEND
	s_waitcnt lgkmcnt(1)
	;;#ASMSTART
	v_dot2_f32_f16 v50, v68, v80, v50
	;;#ASMEND
	;;#ASMSTART
	v_dot2_f32_f16 v50, v69, v81, v50
	;;#ASMEND
	;;#ASMSTART
	v_dot2_f32_f16 v50, v70, v82, v50
	;;#ASMEND
	;;#ASMSTART
	v_dot2_f32_f16 v50, v71, v83, v50
	;;#ASMEND
	s_waitcnt lgkmcnt(0)
	;;#ASMSTART
	v_dot2_f32_f16 v51, v68, v84, v51
	;;#ASMEND
	;;#ASMSTART
	v_dot2_f32_f16 v51, v69, v85, v51
	;;#ASMEND
	;;#ASMSTART
	v_dot2_f32_f16 v51, v70, v86, v51
	;;#ASMEND
	;;#ASMSTART
	v_dot2_f32_f16 v51, v71, v87, v51
	;;#ASMEND
	ds_read_b128 v[68:71], v36 offset:80
	ds_read_b128 v[72:75], v25 offset:80
	ds_read_b128 v[76:79], v25 offset:592
	ds_read_b128 v[80:83], v25 offset:1104
	ds_read_b128 v[84:87], v25 offset:1616
	s_waitcnt lgkmcnt(3)
	;;#ASMSTART
	v_dot2_f32_f16 v12, v68, v72, v12
	;;#ASMEND
	;;#ASMSTART
	v_dot2_f32_f16 v12, v69, v73, v12
	;;#ASMEND
	;;#ASMSTART
	v_dot2_f32_f16 v12, v70, v74, v12
	;;#ASMEND
	;;#ASMSTART
	v_dot2_f32_f16 v12, v71, v75, v12
	;;#ASMEND
	s_waitcnt lgkmcnt(2)
	;;#ASMSTART
	v_dot2_f32_f16 v49, v68, v76, v49
	;;#ASMEND
	;;#ASMSTART
	v_dot2_f32_f16 v49, v69, v77, v49
	;;#ASMEND
	;;#ASMSTART
	v_dot2_f32_f16 v49, v70, v78, v49
	;;#ASMEND
	;;#ASMSTART
	v_dot2_f32_f16 v49, v71, v79, v49
	;;#ASMEND
	s_waitcnt lgkmcnt(1)
	;;#ASMSTART
	v_dot2_f32_f16 v50, v68, v80, v50
	;;#ASMEND
	;;#ASMSTART
	v_dot2_f32_f16 v50, v69, v81, v50
	;;#ASMEND
	;;#ASMSTART
	v_dot2_f32_f16 v50, v70, v82, v50
	;;#ASMEND
	;;#ASMSTART
	v_dot2_f32_f16 v50, v71, v83, v50
	;;#ASMEND
	s_waitcnt lgkmcnt(0)
	;;#ASMSTART
	v_dot2_f32_f16 v51, v68, v84, v51
	;;#ASMEND
	;;#ASMSTART
	v_dot2_f32_f16 v51, v69, v85, v51
	;;#ASMEND
	;;#ASMSTART
	v_dot2_f32_f16 v51, v70, v86, v51
	;;#ASMEND
	;;#ASMSTART
	v_dot2_f32_f16 v51, v71, v87, v51
	;;#ASMEND
	ds_read_b128 v[68:71], v36 offset:96
	ds_read_b128 v[72:75], v25 offset:96
	ds_read_b128 v[76:79], v25 offset:608
	ds_read_b128 v[80:83], v25 offset:1120
	ds_read_b128 v[84:87], v25 offset:1632
	s_waitcnt lgkmcnt(3)
	;;#ASMSTART
	v_dot2_f32_f16 v12, v68, v72, v12
	;;#ASMEND
	;;#ASMSTART
	v_dot2_f32_f16 v12, v69, v73, v12
	;;#ASMEND
	;;#ASMSTART
	v_dot2_f32_f16 v12, v70, v74, v12
	;;#ASMEND
	;;#ASMSTART
	v_dot2_f32_f16 v12, v71, v75, v12
	;;#ASMEND
	s_waitcnt lgkmcnt(2)
	;;#ASMSTART
	v_dot2_f32_f16 v49, v68, v76, v49
	;;#ASMEND
	;;#ASMSTART
	v_dot2_f32_f16 v49, v69, v77, v49
	;;#ASMEND
	;;#ASMSTART
	v_dot2_f32_f16 v49, v70, v78, v49
	;;#ASMEND
	;;#ASMSTART
	v_dot2_f32_f16 v49, v71, v79, v49
	;;#ASMEND
	s_waitcnt lgkmcnt(1)
	;;#ASMSTART
	v_dot2_f32_f16 v50, v68, v80, v50
	;;#ASMEND
	;;#ASMSTART
	v_dot2_f32_f16 v50, v69, v81, v50
	;;#ASMEND
	;;#ASMSTART
	v_dot2_f32_f16 v50, v70, v82, v50
	;;#ASMEND
	;;#ASMSTART
	v_dot2_f32_f16 v50, v71, v83, v50
	;;#ASMEND
	s_waitcnt lgkmcnt(0)
	;;#ASMSTART
	v_dot2_f32_f16 v51, v68, v84, v51
	;;#ASMEND
	;;#ASMSTART
	v_dot2_f32_f16 v51, v69, v85, v51
	;;#ASMEND
	;;#ASMSTART
	v_dot2_f32_f16 v51, v70, v86, v51
	;;#ASMEND
	;;#ASMSTART
	v_dot2_f32_f16 v51, v71, v87, v51
	;;#ASMEND
	ds_read_b128 v[68:71], v36 offset:112
	ds_read_b128 v[72:75], v25 offset:112
	ds_read_b128 v[76:79], v25 offset:624
	ds_read_b128 v[80:83], v25 offset:1136
	ds_read_b128 v[84:87], v25 offset:1648
	s_waitcnt lgkmcnt(3)
	;;#ASMSTART
	v_dot2_f32_f16 v12, v68, v72, v12
	;;#ASMEND
	;;#ASMSTART
	v_dot2_f32_f16 v12, v69, v73, v12
	;;#ASMEND
	;;#ASMSTART
	v_dot2_f32_f16 v12, v70, v74, v12
	;;#ASMEND
	;;#ASMSTART
	v_dot2_f32_f16 v12, v71, v75, v12
	;;#ASMEND
	s_waitcnt lgkmcnt(2)
	;;#ASMSTART
	v_dot2_f32_f16 v49, v68, v76, v49
	;;#ASMEND
	;;#ASMSTART
	v_dot2_f32_f16 v49, v69, v77, v49
	;;#ASMEND
	;;#ASMSTART
	v_dot2_f32_f16 v49, v70, v78, v49
	;;#ASMEND
	;;#ASMSTART
	v_dot2_f32_f16 v49, v71, v79, v49
	;;#ASMEND
	s_waitcnt lgkmcnt(1)
	;;#ASMSTART
	v_dot2_f32_f16 v50, v68, v80, v50
	;;#ASMEND
	;;#ASMSTART
	v_dot2_f32_f16 v50, v69, v81, v50
	;;#ASMEND
	;;#ASMSTART
	v_dot2_f32_f16 v50, v70, v82, v50
	;;#ASMEND
	;;#ASMSTART
	v_dot2_f32_f16 v50, v71, v83, v50
	;;#ASMEND
	s_waitcnt lgkmcnt(0)
	;;#ASMSTART
	v_dot2_f32_f16 v51, v68, v84, v51
	;;#ASMEND
	;;#ASMSTART
	v_dot2_f32_f16 v51, v69, v85, v51
	;;#ASMEND
	;;#ASMSTART
	v_dot2_f32_f16 v51, v70, v86, v51
	;;#ASMEND
	;;#ASMSTART
	v_dot2_f32_f16 v51, v71, v87, v51
	;;#ASMEND
	ds_read_b128 v[68:71], v36 offset:128
	ds_read_b128 v[72:75], v25 offset:128
	ds_read_b128 v[76:79], v25 offset:640
	ds_read_b128 v[80:83], v25 offset:1152
	ds_read_b128 v[84:87], v25 offset:1664
	s_waitcnt lgkmcnt(3)
	;;#ASMSTART
	v_dot2_f32_f16 v12, v68, v72, v12
	;;#ASMEND
	;;#ASMSTART
	v_dot2_f32_f16 v12, v69, v73, v12
	;;#ASMEND
	;;#ASMSTART
	v_dot2_f32_f16 v12, v70, v74, v12
	;;#ASMEND
	;;#ASMSTART
	v_dot2_f32_f16 v12, v71, v75, v12
	;;#ASMEND
	s_waitcnt lgkmcnt(2)
	;;#ASMSTART
	v_dot2_f32_f16 v49, v68, v76, v49
	;;#ASMEND
	;;#ASMSTART
	v_dot2_f32_f16 v49, v69, v77, v49
	;;#ASMEND
	;;#ASMSTART
	v_dot2_f32_f16 v49, v70, v78, v49
	;;#ASMEND
	;;#ASMSTART
	v_dot2_f32_f16 v49, v71, v79, v49
	;;#ASMEND
	s_waitcnt lgkmcnt(1)
	;;#ASMSTART
	v_dot2_f32_f16 v50, v68, v80, v50
	;;#ASMEND
	;;#ASMSTART
	v_dot2_f32_f16 v50, v69, v81, v50
	;;#ASMEND
	;;#ASMSTART
	v_dot2_f32_f16 v50, v70, v82, v50
	;;#ASMEND
	;;#ASMSTART
	v_dot2_f32_f16 v50, v71, v83, v50
	;;#ASMEND
	s_waitcnt lgkmcnt(0)
	;;#ASMSTART
	v_dot2_f32_f16 v51, v68, v84, v51
	;;#ASMEND
	;;#ASMSTART
	v_dot2_f32_f16 v51, v69, v85, v51
	;;#ASMEND
	;;#ASMSTART
	v_dot2_f32_f16 v51, v70, v86, v51
	;;#ASMEND
	;;#ASMSTART
	v_dot2_f32_f16 v51, v71, v87, v51
	;;#ASMEND
	ds_read_b128 v[68:71], v36 offset:144
	ds_read_b128 v[72:75], v25 offset:144
	ds_read_b128 v[76:79], v25 offset:656
	ds_read_b128 v[80:83], v25 offset:1168
	ds_read_b128 v[84:87], v25 offset:1680
	s_waitcnt lgkmcnt(3)
	;;#ASMSTART
	v_dot2_f32_f16 v12, v68, v72, v12
	;;#ASMEND
	;;#ASMSTART
	v_dot2_f32_f16 v12, v69, v73, v12
	;;#ASMEND
	;;#ASMSTART
	v_dot2_f32_f16 v12, v70, v74, v12
	;;#ASMEND
	;;#ASMSTART
	v_dot2_f32_f16 v12, v71, v75, v12
	;;#ASMEND
	s_waitcnt lgkmcnt(2)
	;;#ASMSTART
	v_dot2_f32_f16 v49, v68, v76, v49
	;;#ASMEND
	;;#ASMSTART
	v_dot2_f32_f16 v49, v69, v77, v49
	;;#ASMEND
	;;#ASMSTART
	v_dot2_f32_f16 v49, v70, v78, v49
	;;#ASMEND
	;;#ASMSTART
	v_dot2_f32_f16 v49, v71, v79, v49
	;;#ASMEND
	s_waitcnt lgkmcnt(1)
	;;#ASMSTART
	v_dot2_f32_f16 v50, v68, v80, v50
	;;#ASMEND
	;;#ASMSTART
	v_dot2_f32_f16 v50, v69, v81, v50
	;;#ASMEND
	;;#ASMSTART
	v_dot2_f32_f16 v50, v70, v82, v50
	;;#ASMEND
	;;#ASMSTART
	v_dot2_f32_f16 v50, v71, v83, v50
	;;#ASMEND
	s_waitcnt lgkmcnt(0)
	;;#ASMSTART
	v_dot2_f32_f16 v51, v68, v84, v51
	;;#ASMEND
	;;#ASMSTART
	v_dot2_f32_f16 v51, v69, v85, v51
	;;#ASMEND
	;;#ASMSTART
	v_dot2_f32_f16 v51, v70, v86, v51
	;;#ASMEND
	;;#ASMSTART
	v_dot2_f32_f16 v51, v71, v87, v51
	;;#ASMEND
	ds_read_b128 v[68:71], v36 offset:160
	ds_read_b128 v[72:75], v25 offset:160
	ds_read_b128 v[76:79], v25 offset:672
	ds_read_b128 v[80:83], v25 offset:1184
	ds_read_b128 v[84:87], v25 offset:1696
	s_waitcnt lgkmcnt(3)
	;;#ASMSTART
	v_dot2_f32_f16 v12, v68, v72, v12
	;;#ASMEND
	;;#ASMSTART
	v_dot2_f32_f16 v12, v69, v73, v12
	;;#ASMEND
	;;#ASMSTART
	v_dot2_f32_f16 v12, v70, v74, v12
	;;#ASMEND
	;;#ASMSTART
	v_dot2_f32_f16 v12, v71, v75, v12
	;;#ASMEND
	s_waitcnt lgkmcnt(2)
	;;#ASMSTART
	v_dot2_f32_f16 v49, v68, v76, v49
	;;#ASMEND
	;;#ASMSTART
	v_dot2_f32_f16 v49, v69, v77, v49
	;;#ASMEND
	;;#ASMSTART
	v_dot2_f32_f16 v49, v70, v78, v49
	;;#ASMEND
	;;#ASMSTART
	v_dot2_f32_f16 v49, v71, v79, v49
	;;#ASMEND
	s_waitcnt lgkmcnt(1)
	;;#ASMSTART
	v_dot2_f32_f16 v50, v68, v80, v50
	;;#ASMEND
	;;#ASMSTART
	v_dot2_f32_f16 v50, v69, v81, v50
	;;#ASMEND
	;;#ASMSTART
	v_dot2_f32_f16 v50, v70, v82, v50
	;;#ASMEND
	;;#ASMSTART
	v_dot2_f32_f16 v50, v71, v83, v50
	;;#ASMEND
	s_waitcnt lgkmcnt(0)
	;;#ASMSTART
	v_dot2_f32_f16 v51, v68, v84, v51
	;;#ASMEND
	;;#ASMSTART
	v_dot2_f32_f16 v51, v69, v85, v51
	;;#ASMEND
	;;#ASMSTART
	v_dot2_f32_f16 v51, v70, v86, v51
	;;#ASMEND
	;;#ASMSTART
	v_dot2_f32_f16 v51, v71, v87, v51
	;;#ASMEND
	ds_read_b128 v[68:71], v36 offset:176
	ds_read_b128 v[72:75], v25 offset:176
	ds_read_b128 v[76:79], v25 offset:688
	ds_read_b128 v[80:83], v25 offset:1200
	ds_read_b128 v[84:87], v25 offset:1712
	s_waitcnt lgkmcnt(3)
	;;#ASMSTART
	v_dot2_f32_f16 v12, v68, v72, v12
	;;#ASMEND
	;;#ASMSTART
	v_dot2_f32_f16 v12, v69, v73, v12
	;;#ASMEND
	;;#ASMSTART
	v_dot2_f32_f16 v12, v70, v74, v12
	;;#ASMEND
	;;#ASMSTART
	v_dot2_f32_f16 v12, v71, v75, v12
	;;#ASMEND
	s_waitcnt lgkmcnt(2)
	;;#ASMSTART
	v_dot2_f32_f16 v49, v68, v76, v49
	;;#ASMEND
	;;#ASMSTART
	v_dot2_f32_f16 v49, v69, v77, v49
	;;#ASMEND
	;;#ASMSTART
	v_dot2_f32_f16 v49, v70, v78, v49
	;;#ASMEND
	;;#ASMSTART
	v_dot2_f32_f16 v49, v71, v79, v49
	;;#ASMEND
	s_waitcnt lgkmcnt(1)
	;;#ASMSTART
	v_dot2_f32_f16 v50, v68, v80, v50
	;;#ASMEND
	;;#ASMSTART
	v_dot2_f32_f16 v50, v69, v81, v50
	;;#ASMEND
	;;#ASMSTART
	v_dot2_f32_f16 v50, v70, v82, v50
	;;#ASMEND
	;;#ASMSTART
	v_dot2_f32_f16 v50, v71, v83, v50
	;;#ASMEND
	s_waitcnt lgkmcnt(0)
	;;#ASMSTART
	v_dot2_f32_f16 v51, v68, v84, v51
	;;#ASMEND
	;;#ASMSTART
	v_dot2_f32_f16 v51, v69, v85, v51
	;;#ASMEND
	;;#ASMSTART
	v_dot2_f32_f16 v51, v70, v86, v51
	;;#ASMEND
	;;#ASMSTART
	v_dot2_f32_f16 v51, v71, v87, v51
	;;#ASMEND
	ds_read_b128 v[68:71], v36 offset:192
	ds_read_b128 v[72:75], v25 offset:192
	ds_read_b128 v[76:79], v25 offset:704
	ds_read_b128 v[80:83], v25 offset:1216
	ds_read_b128 v[84:87], v25 offset:1728
	s_waitcnt lgkmcnt(3)
	;;#ASMSTART
	v_dot2_f32_f16 v12, v68, v72, v12
	;;#ASMEND
	;;#ASMSTART
	v_dot2_f32_f16 v12, v69, v73, v12
	;;#ASMEND
	;;#ASMSTART
	v_dot2_f32_f16 v12, v70, v74, v12
	;;#ASMEND
	;;#ASMSTART
	v_dot2_f32_f16 v12, v71, v75, v12
	;;#ASMEND
	s_waitcnt lgkmcnt(2)
	;;#ASMSTART
	v_dot2_f32_f16 v49, v68, v76, v49
	;;#ASMEND
	;;#ASMSTART
	v_dot2_f32_f16 v49, v69, v77, v49
	;;#ASMEND
	;;#ASMSTART
	v_dot2_f32_f16 v49, v70, v78, v49
	;;#ASMEND
	;;#ASMSTART
	v_dot2_f32_f16 v49, v71, v79, v49
	;;#ASMEND
	s_waitcnt lgkmcnt(1)
	;;#ASMSTART
	v_dot2_f32_f16 v50, v68, v80, v50
	;;#ASMEND
	;;#ASMSTART
	v_dot2_f32_f16 v50, v69, v81, v50
	;;#ASMEND
	;;#ASMSTART
	v_dot2_f32_f16 v50, v70, v82, v50
	;;#ASMEND
	;;#ASMSTART
	v_dot2_f32_f16 v50, v71, v83, v50
	;;#ASMEND
	s_waitcnt lgkmcnt(0)
	;;#ASMSTART
	v_dot2_f32_f16 v51, v68, v84, v51
	;;#ASMEND
	;;#ASMSTART
	v_dot2_f32_f16 v51, v69, v85, v51
	;;#ASMEND
	;;#ASMSTART
	v_dot2_f32_f16 v51, v70, v86, v51
	;;#ASMEND
	;;#ASMSTART
	v_dot2_f32_f16 v51, v71, v87, v51
	;;#ASMEND
	ds_read_b128 v[68:71], v36 offset:208
	ds_read_b128 v[72:75], v25 offset:208
	ds_read_b128 v[76:79], v25 offset:720
	ds_read_b128 v[80:83], v25 offset:1232
	ds_read_b128 v[84:87], v25 offset:1744
	s_waitcnt lgkmcnt(3)
	;;#ASMSTART
	v_dot2_f32_f16 v12, v68, v72, v12
	;;#ASMEND
	;;#ASMSTART
	v_dot2_f32_f16 v12, v69, v73, v12
	;;#ASMEND
	;;#ASMSTART
	v_dot2_f32_f16 v12, v70, v74, v12
	;;#ASMEND
	;;#ASMSTART
	v_dot2_f32_f16 v12, v71, v75, v12
	;;#ASMEND
	s_waitcnt lgkmcnt(2)
	;;#ASMSTART
	v_dot2_f32_f16 v49, v68, v76, v49
	;;#ASMEND
	;;#ASMSTART
	v_dot2_f32_f16 v49, v69, v77, v49
	;;#ASMEND
	;;#ASMSTART
	v_dot2_f32_f16 v49, v70, v78, v49
	;;#ASMEND
	;;#ASMSTART
	v_dot2_f32_f16 v49, v71, v79, v49
	;;#ASMEND
	s_waitcnt lgkmcnt(1)
	;;#ASMSTART
	v_dot2_f32_f16 v50, v68, v80, v50
	;;#ASMEND
	;;#ASMSTART
	v_dot2_f32_f16 v50, v69, v81, v50
	;;#ASMEND
	;;#ASMSTART
	v_dot2_f32_f16 v50, v70, v82, v50
	;;#ASMEND
	;;#ASMSTART
	v_dot2_f32_f16 v50, v71, v83, v50
	;;#ASMEND
	s_waitcnt lgkmcnt(0)
	;;#ASMSTART
	v_dot2_f32_f16 v51, v68, v84, v51
	;;#ASMEND
	;;#ASMSTART
	v_dot2_f32_f16 v51, v69, v85, v51
	;;#ASMEND
	;;#ASMSTART
	v_dot2_f32_f16 v51, v70, v86, v51
	;;#ASMEND
	;;#ASMSTART
	v_dot2_f32_f16 v51, v71, v87, v51
	;;#ASMEND
	ds_read_b128 v[68:71], v36 offset:224
	ds_read_b128 v[72:75], v25 offset:224
	ds_read_b128 v[76:79], v25 offset:736
	ds_read_b128 v[80:83], v25 offset:1248
	ds_read_b128 v[84:87], v25 offset:1760
	s_waitcnt lgkmcnt(3)
	;;#ASMSTART
	v_dot2_f32_f16 v12, v68, v72, v12
	;;#ASMEND
	;;#ASMSTART
	v_dot2_f32_f16 v12, v69, v73, v12
	;;#ASMEND
	;;#ASMSTART
	v_dot2_f32_f16 v12, v70, v74, v12
	;;#ASMEND
	;;#ASMSTART
	v_dot2_f32_f16 v12, v71, v75, v12
	;;#ASMEND
	s_waitcnt lgkmcnt(2)
	;;#ASMSTART
	v_dot2_f32_f16 v49, v68, v76, v49
	;;#ASMEND
	;;#ASMSTART
	v_dot2_f32_f16 v49, v69, v77, v49
	;;#ASMEND
	;;#ASMSTART
	v_dot2_f32_f16 v49, v70, v78, v49
	;;#ASMEND
	;;#ASMSTART
	v_dot2_f32_f16 v49, v71, v79, v49
	;;#ASMEND
	s_waitcnt lgkmcnt(1)
	;;#ASMSTART
	v_dot2_f32_f16 v50, v68, v80, v50
	;;#ASMEND
	;;#ASMSTART
	v_dot2_f32_f16 v50, v69, v81, v50
	;;#ASMEND
	;;#ASMSTART
	v_dot2_f32_f16 v50, v70, v82, v50
	;;#ASMEND
	;;#ASMSTART
	v_dot2_f32_f16 v50, v71, v83, v50
	;;#ASMEND
	s_waitcnt lgkmcnt(0)
	;;#ASMSTART
	v_dot2_f32_f16 v51, v68, v84, v51
	;;#ASMEND
	;;#ASMSTART
	v_dot2_f32_f16 v51, v69, v85, v51
	;;#ASMEND
	;;#ASMSTART
	v_dot2_f32_f16 v51, v70, v86, v51
	;;#ASMEND
	;;#ASMSTART
	v_dot2_f32_f16 v51, v71, v87, v51
	;;#ASMEND
	ds_read_b128 v[68:71], v36 offset:240
	ds_read_b128 v[72:75], v25 offset:240
	ds_read_b128 v[76:79], v25 offset:752
	ds_read_b128 v[80:83], v25 offset:1264
	;; [unrolled: 1-line block ×3, first 2 shown]
	s_waitcnt lgkmcnt(3)
	;;#ASMSTART
	v_dot2_f32_f16 v12, v68, v72, v12
	;;#ASMEND
	;;#ASMSTART
	v_dot2_f32_f16 v12, v69, v73, v12
	;;#ASMEND
	;;#ASMSTART
	v_dot2_f32_f16 v12, v70, v74, v12
	;;#ASMEND
	;;#ASMSTART
	v_dot2_f32_f16 v12, v71, v75, v12
	;;#ASMEND
	s_waitcnt lgkmcnt(2)
	;;#ASMSTART
	v_dot2_f32_f16 v49, v68, v76, v49
	;;#ASMEND
	;;#ASMSTART
	v_dot2_f32_f16 v49, v69, v77, v49
	;;#ASMEND
	;;#ASMSTART
	v_dot2_f32_f16 v49, v70, v78, v49
	;;#ASMEND
	;;#ASMSTART
	v_dot2_f32_f16 v49, v71, v79, v49
	;;#ASMEND
	;; [unrolled: 13-line block ×4, first 2 shown]
	s_barrier
	global_load_dwordx4 v[68:71], v[1:2], off offset:256
	s_waitcnt vmcnt(0)
	ds_write_b128 v34, v[68:71]
	global_load_dwordx4 v[1:4], v[3:4], off offset:256
	s_waitcnt vmcnt(0)
	ds_write_b128 v35, v[1:4]
	s_waitcnt lgkmcnt(0)
	s_barrier
	ds_read_b128 v[1:4], v36
	ds_read_b128 v[68:71], v25 offset:256
	ds_read_b128 v[72:75], v25 offset:768
	ds_read_b128 v[76:79], v25 offset:1280
	ds_read_b128 v[80:83], v25 offset:1792
	s_waitcnt lgkmcnt(3)
	;;#ASMSTART
	v_dot2_f32_f16 v12, v1, v68, v12
	;;#ASMEND
	;;#ASMSTART
	v_dot2_f32_f16 v12, v2, v69, v12
	;;#ASMEND
	;;#ASMSTART
	v_dot2_f32_f16 v12, v3, v70, v12
	;;#ASMEND
	;;#ASMSTART
	v_dot2_f32_f16 v12, v4, v71, v12
	;;#ASMEND
	s_waitcnt lgkmcnt(2)
	;;#ASMSTART
	v_dot2_f32_f16 v49, v1, v72, v49
	;;#ASMEND
	;;#ASMSTART
	v_dot2_f32_f16 v49, v2, v73, v49
	;;#ASMEND
	;;#ASMSTART
	v_dot2_f32_f16 v49, v3, v74, v49
	;;#ASMEND
	;;#ASMSTART
	v_dot2_f32_f16 v49, v4, v75, v49
	;;#ASMEND
	s_waitcnt lgkmcnt(1)
	;;#ASMSTART
	v_dot2_f32_f16 v50, v1, v76, v50
	;;#ASMEND
	;;#ASMSTART
	v_dot2_f32_f16 v50, v2, v77, v50
	;;#ASMEND
	;;#ASMSTART
	v_dot2_f32_f16 v50, v3, v78, v50
	;;#ASMEND
	;;#ASMSTART
	v_dot2_f32_f16 v50, v4, v79, v50
	;;#ASMEND
	s_waitcnt lgkmcnt(0)
	;;#ASMSTART
	v_dot2_f32_f16 v51, v1, v80, v51
	;;#ASMEND
	;;#ASMSTART
	v_dot2_f32_f16 v51, v2, v81, v51
	;;#ASMEND
	;;#ASMSTART
	v_dot2_f32_f16 v51, v3, v82, v51
	;;#ASMEND
	;;#ASMSTART
	v_dot2_f32_f16 v51, v4, v83, v51
	;;#ASMEND
	ds_read_b128 v[1:4], v36 offset:16
	ds_read_b128 v[68:71], v25 offset:272
	ds_read_b128 v[72:75], v25 offset:784
	ds_read_b128 v[76:79], v25 offset:1296
	ds_read_b128 v[80:83], v25 offset:1808
	s_waitcnt lgkmcnt(3)
	;;#ASMSTART
	v_dot2_f32_f16 v12, v1, v68, v12
	;;#ASMEND
	;;#ASMSTART
	v_dot2_f32_f16 v12, v2, v69, v12
	;;#ASMEND
	;;#ASMSTART
	v_dot2_f32_f16 v12, v3, v70, v12
	;;#ASMEND
	;;#ASMSTART
	v_dot2_f32_f16 v12, v4, v71, v12
	;;#ASMEND
	s_waitcnt lgkmcnt(2)
	;;#ASMSTART
	v_dot2_f32_f16 v49, v1, v72, v49
	;;#ASMEND
	;;#ASMSTART
	v_dot2_f32_f16 v49, v2, v73, v49
	;;#ASMEND
	;;#ASMSTART
	v_dot2_f32_f16 v49, v3, v74, v49
	;;#ASMEND
	;;#ASMSTART
	v_dot2_f32_f16 v49, v4, v75, v49
	;;#ASMEND
	s_waitcnt lgkmcnt(1)
	;;#ASMSTART
	v_dot2_f32_f16 v50, v1, v76, v50
	;;#ASMEND
	;;#ASMSTART
	v_dot2_f32_f16 v50, v2, v77, v50
	;;#ASMEND
	;;#ASMSTART
	v_dot2_f32_f16 v50, v3, v78, v50
	;;#ASMEND
	;;#ASMSTART
	v_dot2_f32_f16 v50, v4, v79, v50
	;;#ASMEND
	s_waitcnt lgkmcnt(0)
	;;#ASMSTART
	v_dot2_f32_f16 v51, v1, v80, v51
	;;#ASMEND
	;;#ASMSTART
	v_dot2_f32_f16 v51, v2, v81, v51
	;;#ASMEND
	;;#ASMSTART
	v_dot2_f32_f16 v51, v3, v82, v51
	;;#ASMEND
	;;#ASMSTART
	v_dot2_f32_f16 v51, v4, v83, v51
	;;#ASMEND
	ds_read_b128 v[1:4], v36 offset:32
	;; [unrolled: 57-line block ×15, first 2 shown]
	ds_read_b128 v[68:71], v25 offset:496
	ds_read_b128 v[72:75], v25 offset:1008
	;; [unrolled: 1-line block ×4, first 2 shown]
	s_waitcnt lgkmcnt(3)
	;;#ASMSTART
	v_dot2_f32_f16 v12, v1, v68, v12
	;;#ASMEND
	;;#ASMSTART
	v_dot2_f32_f16 v12, v2, v69, v12
	;;#ASMEND
	;;#ASMSTART
	v_dot2_f32_f16 v12, v3, v70, v12
	;;#ASMEND
	;;#ASMSTART
	v_dot2_f32_f16 v12, v4, v71, v12
	;;#ASMEND
	s_waitcnt lgkmcnt(2)
	;;#ASMSTART
	v_dot2_f32_f16 v49, v1, v72, v49
	;;#ASMEND
	;;#ASMSTART
	v_dot2_f32_f16 v49, v2, v73, v49
	;;#ASMEND
	;;#ASMSTART
	v_dot2_f32_f16 v49, v3, v74, v49
	;;#ASMEND
	;;#ASMSTART
	v_dot2_f32_f16 v49, v4, v75, v49
	;;#ASMEND
	;; [unrolled: 13-line block ×3, first 2 shown]
	s_waitcnt lgkmcnt(0)
	;;#ASMSTART
	v_dot2_f32_f16 v51, v1, v80, v51
	;;#ASMEND
	v_add_u32_e32 v1, s6, v13
	;;#ASMSTART
	v_dot2_f32_f16 v51, v2, v81, v51
	;;#ASMEND
	v_ashrrev_i32_e32 v2, 31, v1
	v_lshlrev_b64 v[1:2], 1, v[1:2]
	;;#ASMSTART
	v_dot2_f32_f16 v51, v3, v82, v51
	;;#ASMEND
	v_add_co_u32_e32 v1, vcc, s26, v1
	v_addc_co_u32_e32 v2, vcc, v42, v2, vcc
	;;#ASMSTART
	v_dot2_f32_f16 v51, v4, v83, v51
	;;#ASMEND
	global_load_ushort v1, v[1:2], off
	v_cmp_lt_i32_e32 vcc, v32, v27
	v_max_f32_e32 v2, v11, v11
	v_max_f32_e32 v3, v9, v9
	s_waitcnt vmcnt(0)
	s_barrier
	v_cvt_f32_f16_e32 v4, v1
	v_cndmask_b32_e32 v1, v26, v32, vcc
	v_cmp_lt_i32_e32 vcc, v31, v27
	v_lshlrev_b32_e32 v68, 2, v1
	v_cndmask_b32_e32 v1, v26, v31, vcc
	v_cmp_lt_i32_e32 vcc, v30, v27
	v_lshlrev_b32_e32 v69, 2, v1
	;; [unrolled: 3-line block ×4, first 2 shown]
	v_cndmask_b32_e32 v1, v26, v29, vcc
	v_add_f32_e32 v12, v12, v4
	v_lshlrev_b32_e32 v72, 2, v1
	v_add_f32_e32 v1, 0x40051340, v12
	v_max_f32_e32 v1, v2, v1
	ds_bpermute_b32 v2, v68, v1
	v_add_f32_e32 v49, v49, v4
	v_add_f32_e32 v73, v50, v4
	v_max_f32_e32 v50, v7, v7
	v_add_f32_e32 v74, v51, v4
	s_waitcnt lgkmcnt(0)
	v_max_f32_e32 v2, v2, v2
	v_max_f32_e32 v1, v1, v2
	ds_bpermute_b32 v2, v69, v1
	v_add_f32_e32 v4, 0x40051340, v74
	s_waitcnt lgkmcnt(0)
	v_max_f32_e32 v2, v2, v2
	v_max_f32_e32 v1, v1, v2
	ds_bpermute_b32 v2, v70, v1
	s_waitcnt lgkmcnt(0)
	v_max_f32_e32 v2, v2, v2
	v_max_f32_e32 v1, v1, v2
	ds_bpermute_b32 v2, v71, v1
	;; [unrolled: 4-line block ×3, first 2 shown]
	s_waitcnt lgkmcnt(0)
	v_max_f32_e32 v2, v2, v2
	v_max_f32_e32 v1, v1, v2
	v_add_f32_e32 v2, 0x40051340, v49
	v_max_f32_e32 v2, v3, v2
	ds_bpermute_b32 v3, v68, v2
	v_sub_f32_e32 v11, v11, v1
	v_cmp_ngt_f32_e32 vcc, s15, v11
	v_sub_f32_e32 v12, v12, v1
	s_waitcnt lgkmcnt(0)
	v_max_f32_e32 v3, v3, v3
	v_max_f32_e32 v2, v2, v3
	ds_bpermute_b32 v3, v69, v2
	s_waitcnt lgkmcnt(0)
	v_max_f32_e32 v3, v3, v3
	v_max_f32_e32 v2, v2, v3
	ds_bpermute_b32 v3, v70, v2
	;; [unrolled: 4-line block ×4, first 2 shown]
	s_waitcnt lgkmcnt(0)
	v_max_f32_e32 v3, v3, v3
	v_max_f32_e32 v2, v2, v3
	v_add_f32_e32 v3, 0x40051340, v73
	v_max_f32_e32 v3, v50, v3
	ds_bpermute_b32 v50, v68, v3
	v_sub_f32_e32 v9, v9, v2
	v_sub_f32_e32 v49, v49, v2
	s_waitcnt lgkmcnt(0)
	v_max_f32_e32 v50, v50, v50
	v_max_f32_e32 v3, v3, v50
	ds_bpermute_b32 v50, v69, v3
	s_waitcnt lgkmcnt(0)
	v_max_f32_e32 v50, v50, v50
	v_max_f32_e32 v3, v3, v50
	ds_bpermute_b32 v50, v70, v3
	;; [unrolled: 4-line block ×4, first 2 shown]
	s_waitcnt lgkmcnt(0)
	v_max_f32_e32 v50, v50, v50
	v_max_f32_e32 v3, v3, v50
	;; [unrolled: 1-line block ×4, first 2 shown]
	ds_bpermute_b32 v50, v68, v4
	v_sub_f32_e32 v7, v7, v3
	s_waitcnt lgkmcnt(0)
	v_max_f32_e32 v50, v50, v50
	v_max_f32_e32 v4, v4, v50
	ds_bpermute_b32 v50, v69, v4
	s_waitcnt lgkmcnt(0)
	v_max_f32_e32 v50, v50, v50
	v_max_f32_e32 v4, v4, v50
	ds_bpermute_b32 v50, v70, v4
	;; [unrolled: 4-line block ×4, first 2 shown]
	s_waitcnt lgkmcnt(0)
	v_max_f32_e32 v50, v50, v50
	v_max_f32_e32 v4, v4, v50
	v_mul_f32_e32 v50, 0x3fb8aa3b, v11
	v_fma_f32 v51, v11, s14, -v50
	v_rndne_f32_e32 v68, v50
	v_fmac_f32_e32 v51, 0x32a5705f, v11
	v_sub_f32_e32 v50, v50, v68
	v_add_f32_e32 v50, v50, v51
	v_exp_f32_e32 v50, v50
	v_cvt_i32_f32_e32 v51, v68
	v_sub_f32_e32 v5, v5, v4
	v_ldexp_f32 v50, v50, v51
	v_cndmask_b32_e32 v50, 0, v50, vcc
	v_cmp_nlt_f32_e32 vcc, s18, v11
	v_cndmask_b32_e32 v11, v43, v50, vcc
	v_mul_f32_e32 v50, 0x3fb8aa3b, v12
	v_fma_f32 v51, v12, s14, -v50
	v_rndne_f32_e32 v68, v50
	v_fmac_f32_e32 v51, 0x32a5705f, v12
	v_sub_f32_e32 v50, v50, v68
	v_add_f32_e32 v50, v50, v51
	v_exp_f32_e32 v50, v50
	v_cvt_i32_f32_e32 v51, v68
	v_cmp_ngt_f32_e32 vcc, s15, v12
	v_ldexp_f32 v50, v50, v51
	v_cndmask_b32_e32 v50, 0, v50, vcc
	v_cmp_nlt_f32_e32 vcc, s18, v12
	v_cndmask_b32_e32 v50, v43, v50, vcc
	v_cvt_f16_f32_e32 v69, v50
	v_fmac_f32_e32 v50, v10, v11
	v_cvt_f16_f32_e32 v10, v11
	v_mul_f32_e32 v51, 0x3fb8aa3b, v9
	v_cmp_ngt_f32_e32 vcc, s15, v9
	v_mul_u32_u24_e32 v68, 0x10001, v10
	v_pk_mul_f16 v11, v65, v68
	v_pk_mul_f16 v10, v66, v68
	v_fma_f32 v65, v9, s14, -v51
	v_rndne_f32_e32 v66, v51
	v_fmac_f32_e32 v65, 0x32a5705f, v9
	v_sub_f32_e32 v51, v51, v66
	v_add_f32_e32 v51, v51, v65
	v_exp_f32_e32 v51, v51
	v_cvt_i32_f32_e32 v65, v66
	v_pk_mul_f16 v12, v67, v68
	v_ldexp_f32 v51, v51, v65
	v_cndmask_b32_e32 v51, 0, v51, vcc
	v_cmp_nlt_f32_e32 vcc, s18, v9
	v_cndmask_b32_e32 v9, v43, v51, vcc
	v_mul_f32_e32 v51, 0x3fb8aa3b, v49
	v_fma_f32 v65, v49, s14, -v51
	v_rndne_f32_e32 v66, v51
	v_fmac_f32_e32 v65, 0x32a5705f, v49
	v_sub_f32_e32 v51, v51, v66
	v_add_f32_e32 v51, v51, v65
	v_exp_f32_e32 v51, v51
	v_cvt_i32_f32_e32 v65, v66
	v_cmp_ngt_f32_e32 vcc, s15, v49
	v_ldexp_f32 v51, v51, v65
	v_cndmask_b32_e32 v51, 0, v51, vcc
	v_cmp_nlt_f32_e32 vcc, s18, v49
	v_cndmask_b32_e32 v49, v43, v51, vcc
	v_cvt_f16_f32_e32 v66, v49
	v_fmac_f32_e32 v49, v8, v9
	v_cvt_f16_f32_e32 v8, v9
	v_mul_f32_e32 v51, 0x3fb8aa3b, v7
	v_cmp_ngt_f32_e32 vcc, s15, v7
	v_mul_u32_u24_e32 v65, 0x10001, v8
	v_pk_mul_f16 v9, v62, v65
	v_pk_mul_f16 v8, v63, v65
	v_fma_f32 v62, v7, s14, -v51
	v_rndne_f32_e32 v63, v51
	v_fmac_f32_e32 v62, 0x32a5705f, v7
	v_sub_f32_e32 v51, v51, v63
	v_add_f32_e32 v51, v51, v62
	v_exp_f32_e32 v51, v51
	v_cvt_i32_f32_e32 v62, v63
	v_pk_mul_f16 v64, v64, v65
	v_ldexp_f32 v51, v51, v62
	v_cndmask_b32_e32 v51, 0, v51, vcc
	v_cmp_nlt_f32_e32 vcc, s18, v7
	v_cndmask_b32_e32 v7, v43, v51, vcc
	v_sub_f32_e32 v51, v73, v3
	v_mul_f32_e32 v62, 0x3fb8aa3b, v51
	v_fma_f32 v63, v51, s14, -v62
	v_rndne_f32_e32 v67, v62
	v_fmac_f32_e32 v63, 0x32a5705f, v51
	v_sub_f32_e32 v62, v62, v67
	v_add_f32_e32 v62, v62, v63
	v_exp_f32_e32 v62, v62
	v_cvt_i32_f32_e32 v63, v67
	v_cmp_ngt_f32_e32 vcc, s15, v51
	v_ldexp_f32 v62, v62, v63
	v_cndmask_b32_e32 v62, 0, v62, vcc
	v_cmp_nlt_f32_e32 vcc, s18, v51
	v_cndmask_b32_e32 v51, v43, v62, vcc
	v_cvt_f16_f32_e32 v63, v51
	v_fmac_f32_e32 v51, v6, v7
	v_cvt_f16_f32_e32 v6, v7
	v_cmp_ngt_f32_e32 vcc, s15, v5
	v_mul_u32_u24_e32 v62, 0x10001, v6
	v_pk_mul_f16 v7, v59, v62
	v_mul_f32_e32 v59, 0x3fb8aa3b, v5
	v_pk_mul_f16 v6, v60, v62
	v_fma_f32 v60, v5, s14, -v59
	v_rndne_f32_e32 v67, v59
	v_fmac_f32_e32 v60, 0x32a5705f, v5
	v_sub_f32_e32 v59, v59, v67
	v_add_f32_e32 v59, v59, v60
	v_exp_f32_e32 v59, v59
	v_cvt_i32_f32_e32 v60, v67
	v_pk_mul_f16 v61, v61, v62
	v_ldexp_f32 v59, v59, v60
	v_cndmask_b32_e32 v59, 0, v59, vcc
	v_cmp_nlt_f32_e32 vcc, s18, v5
	v_cndmask_b32_e32 v5, v43, v59, vcc
	v_sub_f32_e32 v59, v74, v4
	v_mul_f32_e32 v60, 0x3fb8aa3b, v59
	v_fma_f32 v67, v59, s14, -v60
	v_rndne_f32_e32 v70, v60
	v_fmac_f32_e32 v67, 0x32a5705f, v59
	v_sub_f32_e32 v60, v60, v70
	v_add_f32_e32 v60, v60, v67
	v_exp_f32_e32 v60, v60
	v_cvt_i32_f32_e32 v67, v70
	v_cmp_ngt_f32_e32 vcc, s15, v59
	v_ldexp_f32 v60, v60, v67
	v_cndmask_b32_e32 v60, 0, v60, vcc
	v_cmp_nlt_f32_e32 vcc, s18, v59
	v_cndmask_b32_e32 v60, v43, v60, vcc
	v_mov_b32_e32 v67, v33
	v_mov_b32_e32 v33, v60
	v_fmac_f32_e32 v33, v67, v5
	v_cvt_f16_f32_e32 v5, v5
	v_cvt_f16_f32_e32 v59, v60
	v_mul_u32_u24_e32 v5, 0x10001, v5
	v_pk_mul_f16 v60, v55, v5
	v_pk_mul_f16 v67, v54, v5
	v_pack_b32_f16 v55, v63, v59
	v_pack_b32_f16 v54, v69, v66
	v_pk_mul_f16 v56, v56, v5
	v_pk_mul_f16 v5, v52, v5
	ds_write_b64 v44, v[54:55]
	v_add_co_u32_e32 v52, vcc, s27, v18
	v_mov_b32_e32 v54, s28
	v_addc_co_u32_e32 v55, vcc, v54, v19, vcc
	v_add_co_u32_e32 v54, vcc, v52, v38
	v_addc_co_u32_e32 v55, vcc, 0, v55, vcc
	global_load_dwordx4 v[69:72], v[54:55], off
	v_add_co_u32_e32 v52, vcc, s27, v20
	v_mov_b32_e32 v54, s28
	v_addc_co_u32_e32 v55, vcc, v54, v21, vcc
	v_add_co_u32_e32 v54, vcc, v52, v38
	v_addc_co_u32_e32 v55, vcc, 0, v55, vcc
	s_or_b32 s27, s6, 16
	s_mul_hi_i32 s29, s27, s8
	s_mul_i32 s28, s27, s8
	s_lshl_b64 s[28:29], s[28:29], 2
	s_add_u32 s27, s12, s28
	s_addc_u32 s28, s13, s29
	s_waitcnt vmcnt(0)
	ds_write_b128 v39, v[69:72]
	global_load_dwordx4 v[69:72], v[54:55], off
	s_waitcnt vmcnt(0)
	ds_write_b128 v40, v[69:72]
	s_waitcnt lgkmcnt(0)
	s_barrier
	ds_read2_b64 v[69:72], v45 offset1:32
	ds_read_b128 v[73:76], v37
	ds_read_b128 v[77:80], v37 offset:16
	ds_read_b128 v[81:84], v37 offset:32
	;; [unrolled: 1-line block ×3, first 2 shown]
	s_waitcnt lgkmcnt(3)
	v_mul_u32_u24_sdwa v52, v73, s19 dst_sel:DWORD dst_unused:UNUSED_PAD src0_sel:WORD_0 src1_sel:DWORD
	v_mul_u32_u24_sdwa v54, v73, s19 dst_sel:DWORD dst_unused:UNUSED_PAD src0_sel:WORD_1 src1_sel:DWORD
	v_pk_mul_f16 v63, v69, v52
	v_mul_u32_u24_sdwa v55, v74, s19 dst_sel:DWORD dst_unused:UNUSED_PAD src0_sel:WORD_0 src1_sel:DWORD
	v_pk_fma_f16 v58, v58, v68, v63
	v_pk_mul_f16 v63, v69, v54
	v_mul_u32_u24_sdwa v59, v74, s19 dst_sel:DWORD dst_unused:UNUSED_PAD src0_sel:WORD_1 src1_sel:DWORD
	v_pk_fma_f16 v57, v57, v65, v63
	v_pk_mul_f16 v63, v69, v55
	v_pk_fma_f16 v53, v53, v62, v63
	v_pk_fma_f16 v12, v70, v52, v12
	;; [unrolled: 1-line block ×11, first 2 shown]
	ds_read2_b64 v[5:8], v45 offset0:64 offset1:96
	v_pk_fma_f16 v60, v69, v59, v60
	v_pk_fma_f16 v56, v70, v59, v56
	;; [unrolled: 1-line block ×3, first 2 shown]
	v_mul_u32_u24_sdwa v59, v75, s19 dst_sel:DWORD dst_unused:UNUSED_PAD src0_sel:WORD_0 src1_sel:DWORD
	v_mul_u32_u24_sdwa v65, v75, s19 dst_sel:DWORD dst_unused:UNUSED_PAD src0_sel:WORD_1 src1_sel:DWORD
	v_mul_u32_u24_sdwa v66, v76, s19 dst_sel:DWORD dst_unused:UNUSED_PAD src0_sel:WORD_0 src1_sel:DWORD
	v_mul_u32_u24_sdwa v67, v76, s19 dst_sel:DWORD dst_unused:UNUSED_PAD src0_sel:WORD_1 src1_sel:DWORD
	s_waitcnt lgkmcnt(0)
	v_pk_fma_f16 v58, v5, v59, v58
	v_pk_fma_f16 v57, v5, v65, v57
	;; [unrolled: 1-line block ×16, first 2 shown]
	ds_read2_b64 v[5:8], v45 offset0:128 offset1:160
	v_mul_u32_u24_sdwa v59, v77, s19 dst_sel:DWORD dst_unused:UNUSED_PAD src0_sel:WORD_0 src1_sel:DWORD
	v_mul_u32_u24_sdwa v65, v77, s19 dst_sel:DWORD dst_unused:UNUSED_PAD src0_sel:WORD_1 src1_sel:DWORD
	v_mul_u32_u24_sdwa v66, v78, s19 dst_sel:DWORD dst_unused:UNUSED_PAD src0_sel:WORD_0 src1_sel:DWORD
	v_mul_u32_u24_sdwa v67, v78, s19 dst_sel:DWORD dst_unused:UNUSED_PAD src0_sel:WORD_1 src1_sel:DWORD
	s_waitcnt lgkmcnt(0)
	v_pk_fma_f16 v58, v5, v59, v58
	v_pk_fma_f16 v57, v5, v65, v57
	;; [unrolled: 1-line block ×16, first 2 shown]
	ds_read2_b64 v[5:8], v45 offset0:192 offset1:224
	v_mul_u32_u24_sdwa v59, v79, s19 dst_sel:DWORD dst_unused:UNUSED_PAD src0_sel:WORD_0 src1_sel:DWORD
	v_mul_u32_u24_sdwa v65, v79, s19 dst_sel:DWORD dst_unused:UNUSED_PAD src0_sel:WORD_1 src1_sel:DWORD
	v_mul_u32_u24_sdwa v66, v80, s19 dst_sel:DWORD dst_unused:UNUSED_PAD src0_sel:WORD_0 src1_sel:DWORD
	v_mul_u32_u24_sdwa v67, v80, s19 dst_sel:DWORD dst_unused:UNUSED_PAD src0_sel:WORD_1 src1_sel:DWORD
	s_waitcnt lgkmcnt(0)
	v_pk_fma_f16 v58, v5, v59, v58
	v_pk_fma_f16 v57, v5, v65, v57
	;; [unrolled: 1-line block ×16, first 2 shown]
	ds_read2_b64 v[5:8], v46 offset1:32
	v_mul_u32_u24_sdwa v59, v81, s19 dst_sel:DWORD dst_unused:UNUSED_PAD src0_sel:WORD_0 src1_sel:DWORD
	v_mul_u32_u24_sdwa v65, v81, s19 dst_sel:DWORD dst_unused:UNUSED_PAD src0_sel:WORD_1 src1_sel:DWORD
	v_mul_u32_u24_sdwa v66, v82, s19 dst_sel:DWORD dst_unused:UNUSED_PAD src0_sel:WORD_0 src1_sel:DWORD
	v_mul_u32_u24_sdwa v67, v82, s19 dst_sel:DWORD dst_unused:UNUSED_PAD src0_sel:WORD_1 src1_sel:DWORD
	s_waitcnt lgkmcnt(0)
	v_pk_fma_f16 v58, v5, v59, v58
	v_pk_fma_f16 v57, v5, v65, v57
	v_pk_fma_f16 v53, v5, v66, v53
	v_pk_fma_f16 v60, v5, v67, v60
	v_pk_fma_f16 v12, v6, v59, v12
	v_pk_fma_f16 v62, v6, v65, v62
	v_pk_fma_f16 v61, v6, v66, v61
	v_pk_fma_f16 v56, v6, v67, v56
	v_pk_fma_f16 v11, v7, v59, v11
	v_pk_fma_f16 v9, v7, v65, v9
	v_pk_fma_f16 v63, v7, v66, v63
	v_pk_fma_f16 v64, v7, v67, v64
	v_pk_fma_f16 v10, v8, v59, v10
	v_pk_fma_f16 v52, v8, v65, v52
	v_pk_fma_f16 v54, v8, v66, v54
	v_pk_fma_f16 v55, v8, v67, v55
	ds_read2_b64 v[5:8], v46 offset0:64 offset1:96
	v_mul_u32_u24_sdwa v59, v83, s19 dst_sel:DWORD dst_unused:UNUSED_PAD src0_sel:WORD_0 src1_sel:DWORD
	v_mul_u32_u24_sdwa v65, v83, s19 dst_sel:DWORD dst_unused:UNUSED_PAD src0_sel:WORD_1 src1_sel:DWORD
	v_mul_u32_u24_sdwa v66, v84, s19 dst_sel:DWORD dst_unused:UNUSED_PAD src0_sel:WORD_0 src1_sel:DWORD
	v_mul_u32_u24_sdwa v67, v84, s19 dst_sel:DWORD dst_unused:UNUSED_PAD src0_sel:WORD_1 src1_sel:DWORD
	s_waitcnt lgkmcnt(0)
	v_pk_fma_f16 v58, v5, v59, v58
	v_pk_fma_f16 v57, v5, v65, v57
	v_pk_fma_f16 v53, v5, v66, v53
	v_pk_fma_f16 v60, v5, v67, v60
	v_pk_fma_f16 v12, v6, v59, v12
	v_pk_fma_f16 v62, v6, v65, v62
	v_pk_fma_f16 v61, v6, v66, v61
	v_pk_fma_f16 v56, v6, v67, v56
	v_pk_fma_f16 v11, v7, v59, v11
	v_pk_fma_f16 v9, v7, v65, v9
	v_pk_fma_f16 v63, v7, v66, v63
	v_pk_fma_f16 v64, v7, v67, v64
	v_pk_fma_f16 v10, v8, v59, v10
	v_pk_fma_f16 v52, v8, v65, v52
	v_pk_fma_f16 v54, v8, v66, v54
	v_pk_fma_f16 v55, v8, v67, v55
	ds_read2_b64 v[5:8], v46 offset0:128 offset1:160
	;; [unrolled: 22-line block ×3, first 2 shown]
	v_mul_u32_u24_sdwa v59, v87, s19 dst_sel:DWORD dst_unused:UNUSED_PAD src0_sel:WORD_0 src1_sel:DWORD
	v_mul_u32_u24_sdwa v65, v87, s19 dst_sel:DWORD dst_unused:UNUSED_PAD src0_sel:WORD_1 src1_sel:DWORD
	v_mul_u32_u24_sdwa v66, v88, s19 dst_sel:DWORD dst_unused:UNUSED_PAD src0_sel:WORD_0 src1_sel:DWORD
	v_mul_u32_u24_sdwa v67, v88, s19 dst_sel:DWORD dst_unused:UNUSED_PAD src0_sel:WORD_1 src1_sel:DWORD
	s_waitcnt lgkmcnt(0)
	v_pk_fma_f16 v58, v5, v59, v58
	v_pk_fma_f16 v57, v5, v65, v57
	;; [unrolled: 1-line block ×16, first 2 shown]
	ds_read2_b64 v[5:8], v47 offset1:32
	ds_read_b128 v[9:12], v37 offset:64
	s_waitcnt lgkmcnt(0)
	v_mul_u32_u24_sdwa v65, v9, s19 dst_sel:DWORD dst_unused:UNUSED_PAD src0_sel:WORD_0 src1_sel:DWORD
	v_mul_u32_u24_sdwa v9, v9, s19 dst_sel:DWORD dst_unused:UNUSED_PAD src0_sel:WORD_1 src1_sel:DWORD
	v_mul_u32_u24_sdwa v66, v10, s19 dst_sel:DWORD dst_unused:UNUSED_PAD src0_sel:WORD_0 src1_sel:DWORD
	v_mul_u32_u24_sdwa v10, v10, s19 dst_sel:DWORD dst_unused:UNUSED_PAD src0_sel:WORD_1 src1_sel:DWORD
	v_pk_fma_f16 v58, v5, v65, v58
	v_pk_fma_f16 v57, v5, v9, v57
	;; [unrolled: 1-line block ×16, first 2 shown]
	ds_read2_b64 v[5:8], v47 offset0:64 offset1:96
	v_mul_u32_u24_sdwa v54, v11, s19 dst_sel:DWORD dst_unused:UNUSED_PAD src0_sel:WORD_0 src1_sel:DWORD
	v_mul_u32_u24_sdwa v11, v11, s19 dst_sel:DWORD dst_unused:UNUSED_PAD src0_sel:WORD_1 src1_sel:DWORD
	v_mul_u32_u24_sdwa v55, v12, s19 dst_sel:DWORD dst_unused:UNUSED_PAD src0_sel:WORD_0 src1_sel:DWORD
	v_mul_u32_u24_sdwa v12, v12, s19 dst_sel:DWORD dst_unused:UNUSED_PAD src0_sel:WORD_1 src1_sel:DWORD
	s_waitcnt lgkmcnt(0)
	v_pk_fma_f16 v58, v5, v54, v58
	v_pk_fma_f16 v57, v5, v11, v57
	;; [unrolled: 1-line block ×16, first 2 shown]
	ds_read2_b64 v[5:8], v47 offset0:128 offset1:160
	ds_read_b128 v[9:12], v37 offset:80
	s_waitcnt lgkmcnt(0)
	v_mul_u32_u24_sdwa v68, v9, s19 dst_sel:DWORD dst_unused:UNUSED_PAD src0_sel:WORD_0 src1_sel:DWORD
	v_mul_u32_u24_sdwa v9, v9, s19 dst_sel:DWORD dst_unused:UNUSED_PAD src0_sel:WORD_1 src1_sel:DWORD
	v_mul_u32_u24_sdwa v69, v10, s19 dst_sel:DWORD dst_unused:UNUSED_PAD src0_sel:WORD_0 src1_sel:DWORD
	v_mul_u32_u24_sdwa v10, v10, s19 dst_sel:DWORD dst_unused:UNUSED_PAD src0_sel:WORD_1 src1_sel:DWORD
	v_pk_fma_f16 v58, v5, v68, v58
	v_pk_fma_f16 v57, v5, v9, v57
	;; [unrolled: 1-line block ×16, first 2 shown]
	ds_read2_b64 v[5:8], v47 offset0:192 offset1:224
	v_mul_u32_u24_sdwa v55, v11, s19 dst_sel:DWORD dst_unused:UNUSED_PAD src0_sel:WORD_0 src1_sel:DWORD
	v_mul_u32_u24_sdwa v11, v11, s19 dst_sel:DWORD dst_unused:UNUSED_PAD src0_sel:WORD_1 src1_sel:DWORD
	v_mul_u32_u24_sdwa v59, v12, s19 dst_sel:DWORD dst_unused:UNUSED_PAD src0_sel:WORD_0 src1_sel:DWORD
	v_mul_u32_u24_sdwa v12, v12, s19 dst_sel:DWORD dst_unused:UNUSED_PAD src0_sel:WORD_1 src1_sel:DWORD
	s_waitcnt lgkmcnt(0)
	v_pk_fma_f16 v58, v5, v55, v58
	v_pk_fma_f16 v57, v5, v11, v57
	;; [unrolled: 1-line block ×16, first 2 shown]
	ds_read2_b64 v[5:8], v48 offset1:32
	ds_read_b128 v[9:12], v37 offset:96
	s_waitcnt lgkmcnt(0)
	v_mul_u32_u24_sdwa v68, v9, s19 dst_sel:DWORD dst_unused:UNUSED_PAD src0_sel:WORD_0 src1_sel:DWORD
	v_mul_u32_u24_sdwa v9, v9, s19 dst_sel:DWORD dst_unused:UNUSED_PAD src0_sel:WORD_1 src1_sel:DWORD
	v_mul_u32_u24_sdwa v69, v10, s19 dst_sel:DWORD dst_unused:UNUSED_PAD src0_sel:WORD_0 src1_sel:DWORD
	v_mul_u32_u24_sdwa v10, v10, s19 dst_sel:DWORD dst_unused:UNUSED_PAD src0_sel:WORD_1 src1_sel:DWORD
	v_pk_fma_f16 v58, v5, v68, v58
	v_pk_fma_f16 v57, v5, v9, v57
	v_pk_fma_f16 v53, v5, v69, v53
	v_pk_fma_f16 v60, v5, v10, v60
	v_pk_fma_f16 v65, v6, v68, v65
	v_pk_fma_f16 v62, v6, v9, v62
	v_pk_fma_f16 v61, v6, v69, v61
	v_pk_fma_f16 v56, v6, v10, v56
	v_pk_fma_f16 v66, v7, v68, v66
	v_pk_fma_f16 v67, v7, v9, v67
	v_pk_fma_f16 v63, v7, v69, v63
	v_pk_fma_f16 v64, v7, v10, v64
	v_pk_fma_f16 v54, v8, v68, v54
	v_pk_fma_f16 v9, v8, v9, v55
	v_pk_fma_f16 v52, v8, v69, v52
	v_pk_fma_f16 v10, v8, v10, v59
	ds_read2_b64 v[5:8], v48 offset0:64 offset1:96
	v_mul_u32_u24_sdwa v55, v11, s19 dst_sel:DWORD dst_unused:UNUSED_PAD src0_sel:WORD_0 src1_sel:DWORD
	v_mul_u32_u24_sdwa v11, v11, s19 dst_sel:DWORD dst_unused:UNUSED_PAD src0_sel:WORD_1 src1_sel:DWORD
	v_mul_u32_u24_sdwa v59, v12, s19 dst_sel:DWORD dst_unused:UNUSED_PAD src0_sel:WORD_0 src1_sel:DWORD
	v_mul_u32_u24_sdwa v12, v12, s19 dst_sel:DWORD dst_unused:UNUSED_PAD src0_sel:WORD_1 src1_sel:DWORD
	s_waitcnt lgkmcnt(0)
	v_pk_fma_f16 v58, v5, v55, v58
	v_pk_fma_f16 v57, v5, v11, v57
	;; [unrolled: 1-line block ×16, first 2 shown]
	ds_read2_b64 v[5:8], v48 offset0:128 offset1:160
	ds_read_b128 v[9:12], v37 offset:112
	s_waitcnt lgkmcnt(0)
	v_mul_u32_u24_sdwa v68, v9, s19 dst_sel:DWORD dst_unused:UNUSED_PAD src0_sel:WORD_0 src1_sel:DWORD
	v_mul_u32_u24_sdwa v9, v9, s19 dst_sel:DWORD dst_unused:UNUSED_PAD src0_sel:WORD_1 src1_sel:DWORD
	v_mul_u32_u24_sdwa v69, v10, s19 dst_sel:DWORD dst_unused:UNUSED_PAD src0_sel:WORD_0 src1_sel:DWORD
	v_mul_u32_u24_sdwa v10, v10, s19 dst_sel:DWORD dst_unused:UNUSED_PAD src0_sel:WORD_1 src1_sel:DWORD
	v_pk_fma_f16 v58, v5, v68, v58
	v_pk_fma_f16 v57, v5, v9, v57
	;; [unrolled: 1-line block ×16, first 2 shown]
	ds_read2_b64 v[5:8], v48 offset0:192 offset1:224
	v_mul_u32_u24_sdwa v72, v11, s19 dst_sel:DWORD dst_unused:UNUSED_PAD src0_sel:WORD_0 src1_sel:DWORD
	v_mul_u32_u24_sdwa v11, v11, s19 dst_sel:DWORD dst_unused:UNUSED_PAD src0_sel:WORD_1 src1_sel:DWORD
	v_mul_u32_u24_sdwa v73, v12, s19 dst_sel:DWORD dst_unused:UNUSED_PAD src0_sel:WORD_0 src1_sel:DWORD
	v_mul_u32_u24_sdwa v12, v12, s19 dst_sel:DWORD dst_unused:UNUSED_PAD src0_sel:WORD_1 src1_sel:DWORD
	s_waitcnt lgkmcnt(0)
	v_pk_fma_f16 v52, v5, v72, v58
	v_pk_fma_f16 v53, v5, v11, v57
	;; [unrolled: 1-line block ×8, first 2 shown]
	v_add_co_u32_e32 v5, vcc, s27, v18
	v_mov_b32_e32 v6, s28
	v_addc_co_u32_e32 v6, vcc, v6, v19, vcc
	v_add_co_u32_e32 v5, vcc, v5, v38
	v_addc_co_u32_e32 v6, vcc, 0, v6, vcc
	v_pk_fma_f16 v60, v7, v72, v66
	v_pk_fma_f16 v61, v7, v11, v67
	;; [unrolled: 1-line block ×8, first 2 shown]
	s_barrier
	global_load_dwordx4 v[5:8], v[5:6], off
	s_waitcnt vmcnt(0)
	ds_write_b128 v39, v[5:8]
	v_add_co_u32_e32 v5, vcc, s27, v20
	v_mov_b32_e32 v6, s28
	v_addc_co_u32_e32 v6, vcc, v6, v21, vcc
	v_add_co_u32_e32 v5, vcc, v5, v38
	v_addc_co_u32_e32 v6, vcc, 0, v6, vcc
	global_load_dwordx4 v[5:8], v[5:6], off
	s_waitcnt vmcnt(0)
	ds_write_b128 v40, v[5:8]
	s_waitcnt lgkmcnt(0)
	s_barrier
	ds_read2_b64 v[68:71], v45 offset1:32
	ds_read_b128 v[72:75], v37 offset:128
	ds_read_b128 v[76:79], v37 offset:144
	;; [unrolled: 1-line block ×4, first 2 shown]
	s_waitcnt lgkmcnt(3)
	v_mul_u32_u24_sdwa v80, v72, s19 dst_sel:DWORD dst_unused:UNUSED_PAD src0_sel:WORD_0 src1_sel:DWORD
	v_mul_u32_u24_sdwa v72, v72, s19 dst_sel:DWORD dst_unused:UNUSED_PAD src0_sel:WORD_1 src1_sel:DWORD
	v_mul_u32_u24_sdwa v81, v73, s19 dst_sel:DWORD dst_unused:UNUSED_PAD src0_sel:WORD_0 src1_sel:DWORD
	v_mul_u32_u24_sdwa v73, v73, s19 dst_sel:DWORD dst_unused:UNUSED_PAD src0_sel:WORD_1 src1_sel:DWORD
	v_pk_fma_f16 v82, v68, v80, v52
	v_pk_fma_f16 v83, v68, v72, v53
	;; [unrolled: 1-line block ×4, first 2 shown]
	ds_read2_b64 v[52:55], v45 offset0:64 offset1:96
	v_pk_fma_f16 v56, v69, v80, v56
	v_pk_fma_f16 v57, v69, v72, v57
	;; [unrolled: 1-line block ×12, first 2 shown]
	v_mul_u32_u24_sdwa v69, v74, s19 dst_sel:DWORD dst_unused:UNUSED_PAD src0_sel:WORD_0 src1_sel:DWORD
	v_mul_u32_u24_sdwa v70, v74, s19 dst_sel:DWORD dst_unused:UNUSED_PAD src0_sel:WORD_1 src1_sel:DWORD
	v_mul_u32_u24_sdwa v71, v75, s19 dst_sel:DWORD dst_unused:UNUSED_PAD src0_sel:WORD_0 src1_sel:DWORD
	v_mul_u32_u24_sdwa v72, v75, s19 dst_sel:DWORD dst_unused:UNUSED_PAD src0_sel:WORD_1 src1_sel:DWORD
	s_waitcnt lgkmcnt(0)
	v_pk_fma_f16 v73, v52, v69, v82
	v_pk_fma_f16 v74, v52, v70, v83
	;; [unrolled: 1-line block ×16, first 2 shown]
	ds_read2_b64 v[52:55], v45 offset0:128 offset1:160
	v_mul_u32_u24_sdwa v69, v76, s19 dst_sel:DWORD dst_unused:UNUSED_PAD src0_sel:WORD_0 src1_sel:DWORD
	v_mul_u32_u24_sdwa v70, v76, s19 dst_sel:DWORD dst_unused:UNUSED_PAD src0_sel:WORD_1 src1_sel:DWORD
	v_mul_u32_u24_sdwa v71, v77, s19 dst_sel:DWORD dst_unused:UNUSED_PAD src0_sel:WORD_0 src1_sel:DWORD
	v_mul_u32_u24_sdwa v72, v77, s19 dst_sel:DWORD dst_unused:UNUSED_PAD src0_sel:WORD_1 src1_sel:DWORD
	s_waitcnt lgkmcnt(0)
	v_pk_fma_f16 v73, v52, v69, v73
	v_pk_fma_f16 v74, v52, v70, v74
	;; [unrolled: 1-line block ×16, first 2 shown]
	ds_read2_b64 v[52:55], v45 offset0:192 offset1:224
	v_mul_u32_u24_sdwa v69, v78, s19 dst_sel:DWORD dst_unused:UNUSED_PAD src0_sel:WORD_0 src1_sel:DWORD
	v_mul_u32_u24_sdwa v70, v78, s19 dst_sel:DWORD dst_unused:UNUSED_PAD src0_sel:WORD_1 src1_sel:DWORD
	v_mul_u32_u24_sdwa v71, v79, s19 dst_sel:DWORD dst_unused:UNUSED_PAD src0_sel:WORD_0 src1_sel:DWORD
	v_mul_u32_u24_sdwa v72, v79, s19 dst_sel:DWORD dst_unused:UNUSED_PAD src0_sel:WORD_1 src1_sel:DWORD
	s_waitcnt lgkmcnt(0)
	v_pk_fma_f16 v73, v52, v69, v73
	v_pk_fma_f16 v74, v52, v70, v74
	;; [unrolled: 1-line block ×16, first 2 shown]
	ds_read2_b64 v[52:55], v46 offset1:32
	v_mul_u32_u24_sdwa v69, v9, s19 dst_sel:DWORD dst_unused:UNUSED_PAD src0_sel:WORD_0 src1_sel:DWORD
	v_mul_u32_u24_sdwa v9, v9, s19 dst_sel:DWORD dst_unused:UNUSED_PAD src0_sel:WORD_1 src1_sel:DWORD
	v_mul_u32_u24_sdwa v70, v10, s19 dst_sel:DWORD dst_unused:UNUSED_PAD src0_sel:WORD_0 src1_sel:DWORD
	v_mul_u32_u24_sdwa v10, v10, s19 dst_sel:DWORD dst_unused:UNUSED_PAD src0_sel:WORD_1 src1_sel:DWORD
	s_waitcnt lgkmcnt(0)
	v_pk_fma_f16 v71, v52, v69, v73
	v_pk_fma_f16 v72, v52, v9, v74
	v_pk_fma_f16 v73, v52, v70, v75
	v_pk_fma_f16 v68, v52, v10, v68
	v_pk_fma_f16 v56, v53, v69, v56
	v_pk_fma_f16 v57, v53, v9, v57
	v_pk_fma_f16 v58, v53, v70, v58
	v_pk_fma_f16 v59, v53, v10, v59
	v_pk_fma_f16 v60, v54, v69, v60
	v_pk_fma_f16 v61, v54, v9, v61
	v_pk_fma_f16 v62, v54, v70, v62
	v_pk_fma_f16 v63, v54, v10, v63
	v_pk_fma_f16 v64, v55, v69, v64
	v_pk_fma_f16 v9, v55, v9, v65
	v_pk_fma_f16 v65, v55, v70, v66
	v_pk_fma_f16 v10, v55, v10, v67
	ds_read2_b64 v[52:55], v46 offset0:64 offset1:96
	v_mul_u32_u24_sdwa v66, v11, s19 dst_sel:DWORD dst_unused:UNUSED_PAD src0_sel:WORD_0 src1_sel:DWORD
	v_mul_u32_u24_sdwa v11, v11, s19 dst_sel:DWORD dst_unused:UNUSED_PAD src0_sel:WORD_1 src1_sel:DWORD
	v_mul_u32_u24_sdwa v67, v12, s19 dst_sel:DWORD dst_unused:UNUSED_PAD src0_sel:WORD_0 src1_sel:DWORD
	v_mul_u32_u24_sdwa v12, v12, s19 dst_sel:DWORD dst_unused:UNUSED_PAD src0_sel:WORD_1 src1_sel:DWORD
	s_waitcnt lgkmcnt(0)
	v_pk_fma_f16 v69, v52, v66, v71
	v_pk_fma_f16 v70, v52, v11, v72
	v_pk_fma_f16 v71, v52, v67, v73
	v_pk_fma_f16 v52, v52, v12, v68
	v_pk_fma_f16 v56, v53, v66, v56
	v_pk_fma_f16 v57, v53, v11, v57
	v_pk_fma_f16 v58, v53, v67, v58
	v_pk_fma_f16 v53, v53, v12, v59
	v_pk_fma_f16 v59, v54, v66, v60
	v_pk_fma_f16 v60, v54, v11, v61
	v_pk_fma_f16 v61, v54, v67, v62
	v_pk_fma_f16 v54, v54, v12, v63
	v_pk_fma_f16 v62, v55, v66, v64
	v_pk_fma_f16 v63, v55, v11, v9
	v_pk_fma_f16 v64, v55, v67, v65
	v_pk_fma_f16 v55, v55, v12, v10
	ds_read2_b64 v[9:12], v46 offset0:128 offset1:160
	;; [unrolled: 22-line block ×3, first 2 shown]
	v_mul_u32_u24_sdwa v55, v7, s19 dst_sel:DWORD dst_unused:UNUSED_PAD src0_sel:WORD_0 src1_sel:DWORD
	v_mul_u32_u24_sdwa v7, v7, s19 dst_sel:DWORD dst_unused:UNUSED_PAD src0_sel:WORD_1 src1_sel:DWORD
	v_mul_u32_u24_sdwa v64, v8, s19 dst_sel:DWORD dst_unused:UNUSED_PAD src0_sel:WORD_0 src1_sel:DWORD
	v_mul_u32_u24_sdwa v8, v8, s19 dst_sel:DWORD dst_unused:UNUSED_PAD src0_sel:WORD_1 src1_sel:DWORD
	s_waitcnt lgkmcnt(0)
	v_pk_fma_f16 v65, v9, v55, v67
	v_pk_fma_f16 v66, v9, v7, v68
	;; [unrolled: 1-line block ×16, first 2 shown]
	ds_read2_b64 v[5:8], v47 offset1:32
	ds_read_b128 v[9:12], v37 offset:192
	s_waitcnt lgkmcnt(0)
	v_mul_u32_u24_sdwa v68, v9, s19 dst_sel:DWORD dst_unused:UNUSED_PAD src0_sel:WORD_0 src1_sel:DWORD
	v_mul_u32_u24_sdwa v9, v9, s19 dst_sel:DWORD dst_unused:UNUSED_PAD src0_sel:WORD_1 src1_sel:DWORD
	v_mul_u32_u24_sdwa v69, v10, s19 dst_sel:DWORD dst_unused:UNUSED_PAD src0_sel:WORD_0 src1_sel:DWORD
	v_mul_u32_u24_sdwa v10, v10, s19 dst_sel:DWORD dst_unused:UNUSED_PAD src0_sel:WORD_1 src1_sel:DWORD
	v_pk_fma_f16 v65, v5, v68, v65
	v_pk_fma_f16 v66, v5, v9, v66
	;; [unrolled: 1-line block ×16, first 2 shown]
	ds_read2_b64 v[5:8], v47 offset0:64 offset1:96
	v_mul_u32_u24_sdwa v63, v11, s19 dst_sel:DWORD dst_unused:UNUSED_PAD src0_sel:WORD_0 src1_sel:DWORD
	v_mul_u32_u24_sdwa v11, v11, s19 dst_sel:DWORD dst_unused:UNUSED_PAD src0_sel:WORD_1 src1_sel:DWORD
	v_mul_u32_u24_sdwa v64, v12, s19 dst_sel:DWORD dst_unused:UNUSED_PAD src0_sel:WORD_0 src1_sel:DWORD
	v_mul_u32_u24_sdwa v12, v12, s19 dst_sel:DWORD dst_unused:UNUSED_PAD src0_sel:WORD_1 src1_sel:DWORD
	s_waitcnt lgkmcnt(0)
	v_pk_fma_f16 v65, v5, v63, v65
	v_pk_fma_f16 v66, v5, v11, v66
	;; [unrolled: 1-line block ×16, first 2 shown]
	ds_read2_b64 v[5:8], v47 offset0:128 offset1:160
	ds_read_b128 v[9:12], v37 offset:208
	s_waitcnt lgkmcnt(0)
	v_mul_u32_u24_sdwa v68, v9, s19 dst_sel:DWORD dst_unused:UNUSED_PAD src0_sel:WORD_0 src1_sel:DWORD
	v_mul_u32_u24_sdwa v9, v9, s19 dst_sel:DWORD dst_unused:UNUSED_PAD src0_sel:WORD_1 src1_sel:DWORD
	v_mul_u32_u24_sdwa v69, v10, s19 dst_sel:DWORD dst_unused:UNUSED_PAD src0_sel:WORD_0 src1_sel:DWORD
	v_mul_u32_u24_sdwa v10, v10, s19 dst_sel:DWORD dst_unused:UNUSED_PAD src0_sel:WORD_1 src1_sel:DWORD
	v_pk_fma_f16 v65, v5, v68, v65
	v_pk_fma_f16 v66, v5, v9, v66
	;; [unrolled: 1-line block ×16, first 2 shown]
	ds_read2_b64 v[5:8], v47 offset0:192 offset1:224
	v_mul_u32_u24_sdwa v63, v11, s19 dst_sel:DWORD dst_unused:UNUSED_PAD src0_sel:WORD_0 src1_sel:DWORD
	v_mul_u32_u24_sdwa v11, v11, s19 dst_sel:DWORD dst_unused:UNUSED_PAD src0_sel:WORD_1 src1_sel:DWORD
	v_mul_u32_u24_sdwa v64, v12, s19 dst_sel:DWORD dst_unused:UNUSED_PAD src0_sel:WORD_0 src1_sel:DWORD
	v_mul_u32_u24_sdwa v12, v12, s19 dst_sel:DWORD dst_unused:UNUSED_PAD src0_sel:WORD_1 src1_sel:DWORD
	s_waitcnt lgkmcnt(0)
	v_pk_fma_f16 v65, v5, v63, v65
	v_pk_fma_f16 v66, v5, v11, v66
	;; [unrolled: 1-line block ×16, first 2 shown]
	ds_read2_b64 v[5:8], v48 offset1:32
	ds_read_b128 v[9:12], v37 offset:224
	s_waitcnt lgkmcnt(0)
	v_mul_u32_u24_sdwa v68, v9, s19 dst_sel:DWORD dst_unused:UNUSED_PAD src0_sel:WORD_0 src1_sel:DWORD
	v_mul_u32_u24_sdwa v9, v9, s19 dst_sel:DWORD dst_unused:UNUSED_PAD src0_sel:WORD_1 src1_sel:DWORD
	v_mul_u32_u24_sdwa v69, v10, s19 dst_sel:DWORD dst_unused:UNUSED_PAD src0_sel:WORD_0 src1_sel:DWORD
	v_mul_u32_u24_sdwa v10, v10, s19 dst_sel:DWORD dst_unused:UNUSED_PAD src0_sel:WORD_1 src1_sel:DWORD
	v_pk_fma_f16 v65, v5, v68, v65
	v_pk_fma_f16 v66, v5, v9, v66
	;; [unrolled: 1-line block ×16, first 2 shown]
	ds_read2_b64 v[5:8], v48 offset0:64 offset1:96
	v_mul_u32_u24_sdwa v63, v11, s19 dst_sel:DWORD dst_unused:UNUSED_PAD src0_sel:WORD_0 src1_sel:DWORD
	v_mul_u32_u24_sdwa v11, v11, s19 dst_sel:DWORD dst_unused:UNUSED_PAD src0_sel:WORD_1 src1_sel:DWORD
	v_mul_u32_u24_sdwa v64, v12, s19 dst_sel:DWORD dst_unused:UNUSED_PAD src0_sel:WORD_0 src1_sel:DWORD
	v_mul_u32_u24_sdwa v12, v12, s19 dst_sel:DWORD dst_unused:UNUSED_PAD src0_sel:WORD_1 src1_sel:DWORD
	s_waitcnt lgkmcnt(0)
	v_pk_fma_f16 v65, v5, v63, v65
	v_pk_fma_f16 v66, v5, v11, v66
	;; [unrolled: 1-line block ×16, first 2 shown]
	ds_read2_b64 v[5:8], v48 offset0:128 offset1:160
	ds_read_b128 v[9:12], v37 offset:240
	s_waitcnt lgkmcnt(0)
	v_mul_u32_u24_sdwa v68, v9, s19 dst_sel:DWORD dst_unused:UNUSED_PAD src0_sel:WORD_0 src1_sel:DWORD
	v_mul_u32_u24_sdwa v9, v9, s19 dst_sel:DWORD dst_unused:UNUSED_PAD src0_sel:WORD_1 src1_sel:DWORD
	v_mul_u32_u24_sdwa v69, v10, s19 dst_sel:DWORD dst_unused:UNUSED_PAD src0_sel:WORD_0 src1_sel:DWORD
	v_mul_u32_u24_sdwa v10, v10, s19 dst_sel:DWORD dst_unused:UNUSED_PAD src0_sel:WORD_1 src1_sel:DWORD
	v_pk_fma_f16 v65, v5, v68, v65
	v_pk_fma_f16 v66, v5, v9, v66
	;; [unrolled: 1-line block ×16, first 2 shown]
	ds_read2_b64 v[5:8], v48 offset0:192 offset1:224
	s_waitcnt lgkmcnt(0)
	s_barrier
	s_load_dword s27, s[0:1], 0x4
	v_mul_u32_u24_sdwa v63, v11, s19 dst_sel:DWORD dst_unused:UNUSED_PAD src0_sel:WORD_0 src1_sel:DWORD
	v_mul_u32_u24_sdwa v11, v11, s19 dst_sel:DWORD dst_unused:UNUSED_PAD src0_sel:WORD_1 src1_sel:DWORD
	v_mul_u32_u24_sdwa v74, v12, s19 dst_sel:DWORD dst_unused:UNUSED_PAD src0_sel:WORD_0 src1_sel:DWORD
	v_mul_u32_u24_sdwa v12, v12, s19 dst_sel:DWORD dst_unused:UNUSED_PAD src0_sel:WORD_1 src1_sel:DWORD
	s_waitcnt lgkmcnt(0)
	s_lshl_b32 s27, s27, 5
	s_add_i32 s6, s27, s6
	v_pk_fma_f16 v58, v5, v63, v65
	v_pk_fma_f16 v57, v5, v11, v66
	;; [unrolled: 1-line block ×16, first 2 shown]
	s_cmp_ge_i32 s6, s24
	s_cbranch_scc0 .LBB0_9
.LBB0_10:
	v_cmp_lt_i32_e32 vcc, v32, v27
	v_cndmask_b32_e32 v5, v26, v32, vcc
	v_lshlrev_b32_e32 v5, 2, v5
	ds_bpermute_b32 v6, v5, v50
	ds_bpermute_b32 v12, v5, v49
	ds_bpermute_b32 v13, v5, v51
	ds_bpermute_b32 v5, v5, v33
	v_cmp_lt_i32_e32 vcc, v31, v27
	v_cndmask_b32_e32 v7, v26, v31, vcc
	v_lshlrev_b32_e32 v7, 2, v7
	s_waitcnt lgkmcnt(3)
	v_add_f32_e32 v6, v50, v6
	s_waitcnt lgkmcnt(2)
	v_add_f32_e32 v12, v49, v12
	s_waitcnt lgkmcnt(1)
	v_add_f32_e32 v13, v51, v13
	s_waitcnt lgkmcnt(0)
	v_add_f32_e32 v5, v33, v5
	ds_bpermute_b32 v8, v7, v6
	ds_bpermute_b32 v14, v7, v12
	ds_bpermute_b32 v15, v7, v13
	ds_bpermute_b32 v7, v7, v5
	v_cmp_lt_i32_e32 vcc, v30, v27
	v_cndmask_b32_e32 v9, v26, v30, vcc
	v_lshlrev_b32_e32 v9, 2, v9
	s_waitcnt lgkmcnt(3)
	v_add_f32_e32 v6, v6, v8
	s_waitcnt lgkmcnt(2)
	v_add_f32_e32 v12, v12, v14
	s_waitcnt lgkmcnt(1)
	v_add_f32_e32 v13, v13, v15
	s_waitcnt lgkmcnt(0)
	v_add_f32_e32 v5, v5, v7
	;; [unrolled: 15-line block ×4, first 2 shown]
	ds_bpermute_b32 v8, v11, v6
	ds_bpermute_b32 v10, v11, v9
	;; [unrolled: 1-line block ×4, first 2 shown]
	s_cmp_lg_u64 s[16:17], 0
	s_cselect_b64 s[0:1], -1, 0
	s_cmp_eq_u32 s7, 0
	s_cselect_b64 s[8:9], -1, 0
	s_and_b64 s[0:1], s[8:9], s[0:1]
	s_waitcnt lgkmcnt(3)
	v_add_f32_e32 v5, v6, v8
	s_waitcnt lgkmcnt(2)
	v_add_f32_e32 v6, v9, v10
	;; [unrolled: 2-line block ×4, first 2 shown]
	s_and_b64 vcc, exec, s[0:1]
	s_cbranch_vccz .LBB0_13
; %bb.11:
	v_add_u32_e32 v9, s25, v24
	v_ashrrev_i32_e32 v10, 31, v9
	v_lshlrev_b64 v[9:10], 2, v[9:10]
	v_mov_b32_e32 v11, s17
	v_add_co_u32_e32 v9, vcc, s16, v9
	v_addc_co_u32_e32 v10, vcc, v11, v10, vcc
	global_load_dwordx4 v[9:12], v[9:10], off
	v_max_f32_e32 v13, v1, v1
	v_max_f32_e32 v14, v2, v2
	s_mov_b32 s6, 0x3fb8aa3b
	v_max_f32_e32 v15, v3, v3
	s_mov_b32 s1, 0xc2ce8ed0
	s_mov_b32 s0, 0x42b17218
	v_mov_b32_e32 v17, 0x7f800000
	s_waitcnt vmcnt(0)
	v_max_f32_e32 v16, v9, v9
	v_max_f32_e32 v13, v13, v16
	;; [unrolled: 1-line block ×3, first 2 shown]
	v_sub_f32_e32 v1, v1, v13
	v_max_f32_e32 v14, v14, v18
	v_sub_f32_e32 v9, v9, v13
	v_mul_f32_e32 v16, 0x3fb8aa3b, v1
	v_max_f32_e32 v19, v11, v11
	v_sub_f32_e32 v2, v2, v14
	v_mul_f32_e32 v18, 0x3fb8aa3b, v9
	v_fma_f32 v26, v1, s6, -v16
	v_rndne_f32_e32 v27, v16
	v_max_f32_e32 v15, v15, v19
	v_sub_f32_e32 v10, v10, v14
	v_mul_f32_e32 v19, 0x3fb8aa3b, v2
	v_fma_f32 v28, v9, s6, -v18
	v_rndne_f32_e32 v29, v18
	v_fmac_f32_e32 v26, 0x32a5705f, v1
	v_sub_f32_e32 v16, v16, v27
	v_mul_f32_e32 v20, 0x3fb8aa3b, v10
	v_fma_f32 v30, v2, s6, -v19
	v_rndne_f32_e32 v31, v19
	v_fmac_f32_e32 v28, 0x32a5705f, v9
	v_sub_f32_e32 v18, v18, v29
	v_add_f32_e32 v16, v16, v26
	v_fma_f32 v32, v10, s6, -v20
	v_rndne_f32_e32 v33, v20
	v_cvt_i32_f32_e32 v27, v27
	v_fmac_f32_e32 v30, 0x32a5705f, v2
	v_sub_f32_e32 v19, v19, v31
	v_add_f32_e32 v18, v18, v28
	v_exp_f32_e32 v16, v16
	v_cvt_i32_f32_e32 v29, v29
	v_fmac_f32_e32 v32, 0x32a5705f, v10
	v_sub_f32_e32 v20, v20, v33
	v_add_f32_e32 v19, v19, v30
	v_exp_f32_e32 v18, v18
	v_cvt_i32_f32_e32 v31, v31
	v_add_f32_e32 v20, v20, v32
	v_exp_f32_e32 v19, v19
	v_cvt_i32_f32_e32 v33, v33
	v_exp_f32_e32 v20, v20
	v_ldexp_f32 v16, v16, v27
	v_cmp_ngt_f32_e32 vcc, s1, v1
	v_ldexp_f32 v18, v18, v29
	v_cndmask_b32_e32 v16, 0, v16, vcc
	v_cmp_ngt_f32_e32 vcc, s1, v9
	v_ldexp_f32 v19, v19, v31
	v_cndmask_b32_e32 v18, 0, v18, vcc
	;; [unrolled: 3-line block ×3, first 2 shown]
	v_cmp_ngt_f32_e32 vcc, s1, v10
	v_cndmask_b32_e32 v20, 0, v20, vcc
	v_cmp_nlt_f32_e32 vcc, s0, v1
	v_cndmask_b32_e32 v1, v17, v16, vcc
	v_cmp_nlt_f32_e32 vcc, s0, v9
	;; [unrolled: 2-line block ×3, first 2 shown]
	v_sub_f32_e32 v3, v3, v15
	v_cndmask_b32_e32 v2, v17, v19, vcc
	v_cvt_f16_f32_e32 v16, v1
	v_mul_f32_e32 v21, 0x3fb8aa3b, v3
	v_cvt_f16_f32_e32 v18, v2
	v_fma_f32 v34, v3, s6, -v21
	v_rndne_f32_e32 v35, v21
	v_sub_f32_e32 v11, v11, v15
	v_fmac_f32_e32 v34, 0x32a5705f, v3
	v_sub_f32_e32 v21, v21, v35
	v_cmp_nlt_f32_e32 vcc, s0, v10
	v_mul_f32_e32 v25, 0x3fb8aa3b, v11
	v_add_f32_e32 v21, v21, v34
	v_cndmask_b32_e32 v10, v17, v20, vcc
	v_fmac_f32_e32 v9, v5, v1
	v_mul_u32_u24_e32 v1, 0x10001, v16
	v_fma_f32 v36, v11, s6, -v25
	v_cvt_i32_f32_e32 v35, v35
	v_exp_f32_e32 v21, v21
	v_fmac_f32_e32 v10, v6, v2
	v_mul_u32_u24_e32 v2, 0x10001, v18
	v_pk_mul_f16 v58, v58, v1
	v_pk_mul_f16 v67, v67, v1
	;; [unrolled: 1-line block ×4, first 2 shown]
	v_rndne_f32_e32 v1, v25
	v_pk_mul_f16 v57, v57, v2
	v_pk_mul_f16 v64, v64, v2
	v_pk_mul_f16 v62, v62, v2
	v_pk_mul_f16 v63, v63, v2
	v_fmac_f32_e32 v36, 0x32a5705f, v11
	v_sub_f32_e32 v2, v25, v1
	v_add_f32_e32 v2, v2, v36
	v_exp_f32_e32 v2, v2
	v_cvt_i32_f32_e32 v1, v1
	v_ldexp_f32 v21, v21, v35
	v_cmp_ngt_f32_e32 vcc, s1, v3
	v_cndmask_b32_e32 v5, 0, v21, vcc
	v_cmp_nlt_f32_e32 vcc, s0, v3
	v_cndmask_b32_e32 v3, v17, v5, vcc
	v_ldexp_f32 v1, v2, v1
	v_cvt_f16_f32_e32 v2, v3
	v_cmp_ngt_f32_e32 vcc, s1, v11
	v_cndmask_b32_e32 v1, 0, v1, vcc
	v_cmp_nlt_f32_e32 vcc, s0, v11
	v_cndmask_b32_e32 v11, v17, v1, vcc
	v_fmac_f32_e32 v11, v7, v3
	v_mul_u32_u24_e32 v1, 0x10001, v2
	v_max_f32_e32 v2, v12, v12
	v_max_f32_e32 v3, v4, v4
	;; [unrolled: 1-line block ×3, first 2 shown]
	v_sub_f32_e32 v2, v4, v16
	v_mul_f32_e32 v3, 0x3fb8aa3b, v2
	v_fma_f32 v4, v2, s6, -v3
	v_rndne_f32_e32 v5, v3
	v_fmac_f32_e32 v4, 0x32a5705f, v2
	v_sub_f32_e32 v3, v3, v5
	v_add_f32_e32 v3, v3, v4
	v_exp_f32_e32 v3, v3
	v_cvt_i32_f32_e32 v4, v5
	v_pk_mul_f16 v53, v53, v1
	v_pk_mul_f16 v61, v61, v1
	;; [unrolled: 1-line block ×4, first 2 shown]
	v_ldexp_f32 v1, v3, v4
	v_sub_f32_e32 v3, v12, v16
	v_mul_f32_e32 v4, 0x3fb8aa3b, v3
	v_fma_f32 v5, v3, s6, -v4
	v_rndne_f32_e32 v6, v4
	v_fmac_f32_e32 v5, 0x32a5705f, v3
	v_sub_f32_e32 v4, v4, v6
	v_add_f32_e32 v4, v4, v5
	v_exp_f32_e32 v4, v4
	v_cvt_i32_f32_e32 v5, v6
	v_cmp_ngt_f32_e32 vcc, s1, v2
	v_cndmask_b32_e32 v1, 0, v1, vcc
	v_cmp_nlt_f32_e32 vcc, s0, v2
	v_cndmask_b32_e32 v1, v17, v1, vcc
	v_ldexp_f32 v2, v4, v5
	v_cvt_f16_f32_e32 v4, v1
	v_cmp_ngt_f32_e32 vcc, s1, v3
	v_cndmask_b32_e32 v2, 0, v2, vcc
	v_cmp_nlt_f32_e32 vcc, s0, v3
	v_cndmask_b32_e32 v12, v17, v2, vcc
	v_fmac_f32_e32 v12, v8, v1
	v_mul_u32_u24_e32 v1, 0x10001, v4
	v_pk_mul_f16 v55, v55, v1
	v_pk_mul_f16 v56, v56, v1
	v_pk_mul_f16 v54, v54, v1
	v_pk_mul_f16 v52, v52, v1
	v_mov_b32_e32 v1, v13
	v_mov_b32_e32 v2, v14
	v_mov_b32_e32 v3, v15
	v_mov_b32_e32 v4, v16
	v_mov_b32_e32 v5, v9
	v_mov_b32_e32 v6, v10
	v_mov_b32_e32 v7, v11
	v_mov_b32_e32 v8, v12
	v_cmp_gt_i32_e32 vcc, s2, v22
	s_and_saveexec_b64 s[0:1], vcc
	s_cbranch_execnz .LBB0_14
.LBB0_12:
	s_endpgm
.LBB0_13:
	v_mov_b32_e32 v12, v8
	v_mov_b32_e32 v11, v7
	;; [unrolled: 1-line block ×4, first 2 shown]
	v_cmp_gt_i32_e32 vcc, s2, v22
	s_and_saveexec_b64 s[0:1], vcc
	s_cbranch_execz .LBB0_12
.LBB0_14:
	s_load_dword s6, s[4:5], 0xd4
	v_mov_b32_e32 v14, 1.0
	s_waitcnt lgkmcnt(0)
	s_cmp_lg_u32 s6, 1
	s_cselect_b64 s[0:1], -1, 0
	s_cmp_eq_u32 s6, 1
	s_cselect_b64 s[4:5], -1, 0
	s_and_b64 vcc, exec, s[0:1]
	s_cbranch_vccnz .LBB0_16
; %bb.15:
	v_div_scale_f32 v13, s[8:9], v5, v5, 1.0
	v_div_scale_f32 v14, vcc, 1.0, v5, 1.0
	v_rcp_f32_e32 v15, v13
	v_fma_f32 v16, -v13, v15, 1.0
	v_fmac_f32_e32 v15, v16, v15
	v_mul_f32_e32 v16, v14, v15
	v_fma_f32 v17, -v13, v16, v14
	v_fmac_f32_e32 v16, v17, v15
	v_fma_f32 v13, -v13, v16, v14
	v_div_fmas_f32 v13, v13, v15, v16
	v_div_fixup_f32 v14, v13, v5, 1.0
.LBB0_16:
	s_mul_i32 s30, s30, s2
	v_add_u32_e32 v5, s30, v22
	v_mul_lo_u32 v5, v5, s3
	v_cvt_f32_f16_e32 v15, v67
	v_cvt_f32_f16_e32 v20, v58
	v_cmp_eq_u32_e32 vcc, 0, v0
	v_add3_u32 v5, s25, v24, v5
	v_mul_lo_u32 v5, s6, v5
	v_cvt_f32_f16_sdwa v0, v67 dst_sel:DWORD dst_unused:UNUSED_PAD src0_sel:WORD_1
	v_cvt_f32_f16_sdwa v16, v58 dst_sel:DWORD dst_unused:UNUSED_PAD src0_sel:WORD_1
	v_mul_f32_e32 v17, v14, v15
	v_add_u32_e32 v13, s7, v5
	v_lshl_add_u32 v19, v13, 8, v23
	v_mul_f32_e32 v15, v14, v20
	v_mov_b32_e32 v20, 0
	v_lshlrev_b64 v[21:22], 2, v[19:20]
	s_and_b64 s[2:3], vcc, s[0:1]
	v_mul_f32_e32 v18, v14, v0
	v_mov_b32_e32 v0, s21
	v_add_co_u32_e32 v21, vcc, s20, v21
	v_mul_f32_e32 v16, v14, v16
	v_addc_co_u32_e32 v22, vcc, v0, v22, vcc
	global_store_dwordx4 v[21:22], v[15:18], off
	v_cvt_f32_f16_sdwa v0, v66 dst_sel:DWORD dst_unused:UNUSED_PAD src0_sel:WORD_1
	v_cvt_f32_f16_e32 v5, v66
	v_cvt_f32_f16_sdwa v15, v65 dst_sel:DWORD dst_unused:UNUSED_PAD src0_sel:WORD_1
	v_cvt_f32_f16_e32 v18, v65
	v_add_u32_e32 v19, 0x80, v19
	v_mul_f32_e32 v17, v14, v0
	v_mul_f32_e32 v16, v14, v5
	;; [unrolled: 1-line block ×4, first 2 shown]
	v_lshlrev_b64 v[18:19], 2, v[19:20]
	v_mov_b32_e32 v0, s21
	v_add_co_u32_e32 v18, vcc, s20, v18
	v_addc_co_u32_e32 v19, vcc, v0, v19, vcc
	global_store_dwordx4 v[18:19], v[14:17], off
	s_and_saveexec_b64 s[0:1], s[2:3]
	s_cbranch_execz .LBB0_18
; %bb.17:
	v_ashrrev_i32_e32 v14, 31, v13
	v_lshlrev_b64 v[14:15], 3, v[13:14]
	v_mov_b32_e32 v0, s23
	v_add_co_u32_e32 v14, vcc, s22, v14
	v_addc_co_u32_e32 v15, vcc, v0, v15, vcc
	v_mov_b32_e32 v0, v1
	v_mov_b32_e32 v1, v9
	global_store_dwordx2 v[14:15], v[0:1], off
.LBB0_18:
	s_or_b64 exec, exec, s[0:1]
	v_cndmask_b32_e64 v0, 0, 1, s[4:5]
	v_cmp_ne_u32_e64 s[0:1], 1, v0
	s_andn2_b64 vcc, exec, s[4:5]
	v_mov_b32_e32 v1, 1.0
	s_cbranch_vccnz .LBB0_20
; %bb.19:
	v_div_scale_f32 v0, s[4:5], v6, v6, 1.0
	v_div_scale_f32 v1, vcc, 1.0, v6, 1.0
	v_rcp_f32_e32 v5, v0
	v_fma_f32 v9, -v0, v5, 1.0
	v_fmac_f32_e32 v5, v9, v5
	v_mul_f32_e32 v9, v1, v5
	v_fma_f32 v14, -v0, v9, v1
	v_fmac_f32_e32 v9, v14, v5
	v_fma_f32 v0, -v0, v9, v1
	v_div_fmas_f32 v0, v0, v5, v9
	v_div_fixup_f32 v1, v0, v6, 1.0
.LBB0_20:
	v_cvt_f32_f16_sdwa v6, v64 dst_sel:DWORD dst_unused:UNUSED_PAD src0_sel:WORD_1
	v_add_u32_e32 v0, s6, v13
	v_cvt_f32_f16_sdwa v13, v57 dst_sel:DWORD dst_unused:UNUSED_PAD src0_sel:WORD_1
	v_cvt_f32_f16_e32 v17, v57
	v_cvt_f32_f16_e32 v9, v64
	v_lshl_add_u32 v5, v0, 8, v23
	v_mul_f32_e32 v16, v1, v6
	v_mov_b32_e32 v6, 0
	v_mul_f32_e32 v14, v1, v13
	v_mul_f32_e32 v13, v1, v17
	v_lshlrev_b64 v[17:18], 2, v[5:6]
	v_mul_f32_e32 v15, v1, v9
	v_mov_b32_e32 v9, s21
	v_add_co_u32_e32 v17, vcc, s20, v17
	v_addc_co_u32_e32 v18, vcc, v9, v18, vcc
	global_store_dwordx4 v[17:18], v[13:16], off
	v_cvt_f32_f16_sdwa v9, v63 dst_sel:DWORD dst_unused:UNUSED_PAD src0_sel:WORD_1
	v_cvt_f32_f16_e32 v13, v63
	v_cvt_f32_f16_sdwa v14, v62 dst_sel:DWORD dst_unused:UNUSED_PAD src0_sel:WORD_1
	v_cvt_f32_f16_e32 v17, v62
	v_add_u32_e32 v5, 0x80, v5
	v_lshlrev_b64 v[5:6], 2, v[5:6]
	v_mul_f32_e32 v16, v1, v9
	v_mul_f32_e32 v15, v1, v13
	;; [unrolled: 1-line block ×4, first 2 shown]
	v_mov_b32_e32 v1, s21
	v_add_co_u32_e32 v5, vcc, s20, v5
	v_addc_co_u32_e32 v6, vcc, v1, v6, vcc
	global_store_dwordx4 v[5:6], v[13:16], off
	s_and_saveexec_b64 s[4:5], s[2:3]
	s_cbranch_execz .LBB0_22
; %bb.21:
	v_ashrrev_i32_e32 v1, 31, v0
	v_lshlrev_b64 v[5:6], 3, v[0:1]
	v_mov_b32_e32 v1, s23
	v_add_co_u32_e32 v5, vcc, s22, v5
	v_addc_co_u32_e32 v6, vcc, v1, v6, vcc
	v_mov_b32_e32 v9, v2
	global_store_dwordx2 v[5:6], v[9:10], off
.LBB0_22:
	s_or_b64 exec, exec, s[4:5]
	s_and_b64 vcc, exec, s[0:1]
	v_mov_b32_e32 v1, 1.0
	s_cbranch_vccnz .LBB0_24
; %bb.23:
	v_div_scale_f32 v1, s[4:5], v7, v7, 1.0
	v_div_scale_f32 v2, vcc, 1.0, v7, 1.0
	v_rcp_f32_e32 v5, v1
	v_fma_f32 v6, -v1, v5, 1.0
	v_fmac_f32_e32 v5, v6, v5
	v_mul_f32_e32 v6, v2, v5
	v_fma_f32 v9, -v1, v6, v2
	v_fmac_f32_e32 v6, v9, v5
	v_fma_f32 v1, -v1, v6, v2
	v_div_fmas_f32 v1, v1, v5, v6
	v_div_fixup_f32 v1, v1, v7, 1.0
.LBB0_24:
	v_cvt_f32_f16_e32 v6, v61
	v_cvt_f32_f16_e32 v9, v53
	v_add_u32_e32 v0, s6, v0
	v_cvt_f32_f16_sdwa v2, v61 dst_sel:DWORD dst_unused:UNUSED_PAD src0_sel:WORD_1
	v_lshl_add_u32 v5, v0, 8, v23
	v_cvt_f32_f16_sdwa v7, v53 dst_sel:DWORD dst_unused:UNUSED_PAD src0_sel:WORD_1
	v_mul_f32_e32 v15, v1, v6
	v_mov_b32_e32 v6, 0
	v_mul_f32_e32 v13, v1, v9
	v_lshlrev_b64 v[9:10], 2, v[5:6]
	v_mul_f32_e32 v16, v1, v2
	v_mov_b32_e32 v2, s21
	v_add_co_u32_e32 v9, vcc, s20, v9
	v_mul_f32_e32 v14, v1, v7
	v_addc_co_u32_e32 v10, vcc, v2, v10, vcc
	global_store_dwordx4 v[9:10], v[13:16], off
	v_cvt_f32_f16_sdwa v2, v60 dst_sel:DWORD dst_unused:UNUSED_PAD src0_sel:WORD_1
	v_cvt_f32_f16_e32 v7, v60
	v_cvt_f32_f16_sdwa v9, v59 dst_sel:DWORD dst_unused:UNUSED_PAD src0_sel:WORD_1
	v_cvt_f32_f16_e32 v10, v59
	v_add_u32_e32 v5, 0x80, v5
	v_mul_f32_e32 v16, v1, v2
	v_mul_f32_e32 v15, v1, v7
	;; [unrolled: 1-line block ×4, first 2 shown]
	v_lshlrev_b64 v[1:2], 2, v[5:6]
	v_mov_b32_e32 v5, s21
	v_add_co_u32_e32 v1, vcc, s20, v1
	v_addc_co_u32_e32 v2, vcc, v5, v2, vcc
	global_store_dwordx4 v[1:2], v[13:16], off
	s_and_saveexec_b64 s[4:5], s[2:3]
	s_cbranch_execz .LBB0_26
; %bb.25:
	v_ashrrev_i32_e32 v1, 31, v0
	v_lshlrev_b64 v[1:2], 3, v[0:1]
	v_mov_b32_e32 v5, s23
	v_add_co_u32_e32 v1, vcc, s22, v1
	v_addc_co_u32_e32 v2, vcc, v5, v2, vcc
	v_mov_b32_e32 v10, v3
	global_store_dwordx2 v[1:2], v[10:11], off
.LBB0_26:
	s_or_b64 exec, exec, s[4:5]
	s_and_b64 vcc, exec, s[0:1]
	v_mov_b32_e32 v1, 1.0
	s_cbranch_vccnz .LBB0_28
; %bb.27:
	v_div_scale_f32 v1, s[0:1], v8, v8, 1.0
	v_div_scale_f32 v2, vcc, 1.0, v8, 1.0
	v_rcp_f32_e32 v3, v1
	v_fma_f32 v5, -v1, v3, 1.0
	v_fmac_f32_e32 v3, v5, v3
	v_mul_f32_e32 v5, v2, v3
	v_fma_f32 v6, -v1, v5, v2
	v_fmac_f32_e32 v5, v6, v3
	v_fma_f32 v1, -v1, v5, v2
	v_div_fmas_f32 v1, v1, v3, v5
	v_div_fixup_f32 v1, v1, v8, 1.0
.LBB0_28:
	v_cvt_f32_f16_sdwa v3, v56 dst_sel:DWORD dst_unused:UNUSED_PAD src0_sel:WORD_1
	v_cvt_f32_f16_e32 v5, v56
	v_cvt_f32_f16_e32 v9, v55
	v_add_u32_e32 v0, s6, v0
	v_lshl_add_u32 v2, v0, 8, v23
	v_cvt_f32_f16_sdwa v6, v55 dst_sel:DWORD dst_unused:UNUSED_PAD src0_sel:WORD_1
	v_mul_f32_e32 v8, v1, v3
	v_mov_b32_e32 v3, 0
	v_mul_f32_e32 v7, v1, v5
	v_mul_f32_e32 v5, v1, v9
	v_lshlrev_b64 v[9:10], 2, v[2:3]
	v_mov_b32_e32 v11, s21
	v_add_co_u32_e32 v9, vcc, s20, v9
	v_mul_f32_e32 v6, v1, v6
	v_addc_co_u32_e32 v10, vcc, v11, v10, vcc
	global_store_dwordx4 v[9:10], v[5:8], off
	v_cvt_f32_f16_sdwa v9, v54 dst_sel:DWORD dst_unused:UNUSED_PAD src0_sel:WORD_1
	v_cvt_f32_f16_sdwa v5, v52 dst_sel:DWORD dst_unused:UNUSED_PAD src0_sel:WORD_1
	v_cvt_f32_f16_e32 v6, v52
	v_cvt_f32_f16_e32 v10, v54
	v_add_u32_e32 v2, 0x80, v2
	v_mul_f32_e32 v8, v1, v5
	v_mul_f32_e32 v7, v1, v6
	;; [unrolled: 1-line block ×4, first 2 shown]
	v_lshlrev_b64 v[1:2], 2, v[2:3]
	v_mov_b32_e32 v3, s21
	v_add_co_u32_e32 v1, vcc, s20, v1
	v_addc_co_u32_e32 v2, vcc, v3, v2, vcc
	global_store_dwordx4 v[1:2], v[5:8], off
	s_and_b64 exec, exec, s[2:3]
	s_cbranch_execz .LBB0_12
; %bb.29:
	v_ashrrev_i32_e32 v1, 31, v0
	v_lshlrev_b64 v[0:1], 3, v[0:1]
	v_mov_b32_e32 v2, s23
	v_add_co_u32_e32 v0, vcc, s22, v0
	v_addc_co_u32_e32 v1, vcc, v2, v1, vcc
	v_mov_b32_e32 v11, v4
	global_store_dwordx2 v[0:1], v[11:12], off
	s_endpgm
	.section	.rodata,"a",@progbits
	.p2align	6, 0x0
	.amdhsa_kernel _ZL15flash_attn_tileILi256ELi256ELi4ELi8ELb0EEvPKcS1_S1_S1_S1_PKiPfP15HIP_vector_typeIfLj2EEffffjfiS5_IjLj3EEiiiiiiiiiiiliiliiiiil
		.amdhsa_group_segment_fixed_size 27136
		.amdhsa_private_segment_fixed_size 0
		.amdhsa_kernarg_size 464
		.amdhsa_user_sgpr_count 6
		.amdhsa_user_sgpr_private_segment_buffer 1
		.amdhsa_user_sgpr_dispatch_ptr 0
		.amdhsa_user_sgpr_queue_ptr 0
		.amdhsa_user_sgpr_kernarg_segment_ptr 1
		.amdhsa_user_sgpr_dispatch_id 0
		.amdhsa_user_sgpr_flat_scratch_init 0
		.amdhsa_user_sgpr_private_segment_size 0
		.amdhsa_uses_dynamic_stack 0
		.amdhsa_system_sgpr_private_segment_wavefront_offset 0
		.amdhsa_system_sgpr_workgroup_id_x 1
		.amdhsa_system_sgpr_workgroup_id_y 1
		.amdhsa_system_sgpr_workgroup_id_z 1
		.amdhsa_system_sgpr_workgroup_info 0
		.amdhsa_system_vgpr_workitem_id 1
		.amdhsa_next_free_vgpr 89
		.amdhsa_next_free_sgpr 98
		.amdhsa_reserve_vcc 1
		.amdhsa_reserve_flat_scratch 0
		.amdhsa_float_round_mode_32 0
		.amdhsa_float_round_mode_16_64 0
		.amdhsa_float_denorm_mode_32 3
		.amdhsa_float_denorm_mode_16_64 3
		.amdhsa_dx10_clamp 1
		.amdhsa_ieee_mode 1
		.amdhsa_fp16_overflow 0
		.amdhsa_exception_fp_ieee_invalid_op 0
		.amdhsa_exception_fp_denorm_src 0
		.amdhsa_exception_fp_ieee_div_zero 0
		.amdhsa_exception_fp_ieee_overflow 0
		.amdhsa_exception_fp_ieee_underflow 0
		.amdhsa_exception_fp_ieee_inexact 0
		.amdhsa_exception_int_div_zero 0
	.end_amdhsa_kernel
	.section	.text._ZL15flash_attn_tileILi256ELi256ELi4ELi8ELb0EEvPKcS1_S1_S1_S1_PKiPfP15HIP_vector_typeIfLj2EEffffjfiS5_IjLj3EEiiiiiiiiiiiliiliiiiil,"axG",@progbits,_ZL15flash_attn_tileILi256ELi256ELi4ELi8ELb0EEvPKcS1_S1_S1_S1_PKiPfP15HIP_vector_typeIfLj2EEffffjfiS5_IjLj3EEiiiiiiiiiiiliiliiiiil,comdat
.Lfunc_end0:
	.size	_ZL15flash_attn_tileILi256ELi256ELi4ELi8ELb0EEvPKcS1_S1_S1_S1_PKiPfP15HIP_vector_typeIfLj2EEffffjfiS5_IjLj3EEiiiiiiiiiiiliiliiiiil, .Lfunc_end0-_ZL15flash_attn_tileILi256ELi256ELi4ELi8ELb0EEvPKcS1_S1_S1_S1_PKiPfP15HIP_vector_typeIfLj2EEffffjfiS5_IjLj3EEiiiiiiiiiiiliiliiiiil
                                        ; -- End function
	.set _ZL15flash_attn_tileILi256ELi256ELi4ELi8ELb0EEvPKcS1_S1_S1_S1_PKiPfP15HIP_vector_typeIfLj2EEffffjfiS5_IjLj3EEiiiiiiiiiiiliiliiiiil.num_vgpr, 89
	.set _ZL15flash_attn_tileILi256ELi256ELi4ELi8ELb0EEvPKcS1_S1_S1_S1_PKiPfP15HIP_vector_typeIfLj2EEffffjfiS5_IjLj3EEiiiiiiiiiiiliiliiiiil.num_agpr, 0
	.set _ZL15flash_attn_tileILi256ELi256ELi4ELi8ELb0EEvPKcS1_S1_S1_S1_PKiPfP15HIP_vector_typeIfLj2EEffffjfiS5_IjLj3EEiiiiiiiiiiiliiliiiiil.numbered_sgpr, 40
	.set _ZL15flash_attn_tileILi256ELi256ELi4ELi8ELb0EEvPKcS1_S1_S1_S1_PKiPfP15HIP_vector_typeIfLj2EEffffjfiS5_IjLj3EEiiiiiiiiiiiliiliiiiil.num_named_barrier, 0
	.set _ZL15flash_attn_tileILi256ELi256ELi4ELi8ELb0EEvPKcS1_S1_S1_S1_PKiPfP15HIP_vector_typeIfLj2EEffffjfiS5_IjLj3EEiiiiiiiiiiiliiliiiiil.private_seg_size, 0
	.set _ZL15flash_attn_tileILi256ELi256ELi4ELi8ELb0EEvPKcS1_S1_S1_S1_PKiPfP15HIP_vector_typeIfLj2EEffffjfiS5_IjLj3EEiiiiiiiiiiiliiliiiiil.uses_vcc, 1
	.set _ZL15flash_attn_tileILi256ELi256ELi4ELi8ELb0EEvPKcS1_S1_S1_S1_PKiPfP15HIP_vector_typeIfLj2EEffffjfiS5_IjLj3EEiiiiiiiiiiiliiliiiiil.uses_flat_scratch, 0
	.set _ZL15flash_attn_tileILi256ELi256ELi4ELi8ELb0EEvPKcS1_S1_S1_S1_PKiPfP15HIP_vector_typeIfLj2EEffffjfiS5_IjLj3EEiiiiiiiiiiiliiliiiiil.has_dyn_sized_stack, 0
	.set _ZL15flash_attn_tileILi256ELi256ELi4ELi8ELb0EEvPKcS1_S1_S1_S1_PKiPfP15HIP_vector_typeIfLj2EEffffjfiS5_IjLj3EEiiiiiiiiiiiliiliiiiil.has_recursion, 0
	.set _ZL15flash_attn_tileILi256ELi256ELi4ELi8ELb0EEvPKcS1_S1_S1_S1_PKiPfP15HIP_vector_typeIfLj2EEffffjfiS5_IjLj3EEiiiiiiiiiiiliiliiiiil.has_indirect_call, 0
	.section	.AMDGPU.csdata,"",@progbits
; Kernel info:
; codeLenInByte = 18500
; TotalNumSgprs: 44
; NumVgprs: 89
; ScratchSize: 0
; MemoryBound: 0
; FloatMode: 240
; IeeeMode: 1
; LDSByteSize: 27136 bytes/workgroup (compile time only)
; SGPRBlocks: 12
; VGPRBlocks: 22
; NumSGPRsForWavesPerEU: 102
; NumVGPRsForWavesPerEU: 89
; Occupancy: 2
; WaveLimiterHint : 1
; COMPUTE_PGM_RSRC2:SCRATCH_EN: 0
; COMPUTE_PGM_RSRC2:USER_SGPR: 6
; COMPUTE_PGM_RSRC2:TRAP_HANDLER: 0
; COMPUTE_PGM_RSRC2:TGID_X_EN: 1
; COMPUTE_PGM_RSRC2:TGID_Y_EN: 1
; COMPUTE_PGM_RSRC2:TGID_Z_EN: 1
; COMPUTE_PGM_RSRC2:TIDIG_COMP_CNT: 1
	.section	.text._ZL25flash_attn_mask_to_KV_maxILi4EEvPK7__half2Piiii,"axG",@progbits,_ZL25flash_attn_mask_to_KV_maxILi4EEvPK7__half2Piiii,comdat
	.globl	_ZL25flash_attn_mask_to_KV_maxILi4EEvPK7__half2Piiii ; -- Begin function _ZL25flash_attn_mask_to_KV_maxILi4EEvPK7__half2Piiii
	.p2align	8
	.type	_ZL25flash_attn_mask_to_KV_maxILi4EEvPK7__half2Piiii,@function
_ZL25flash_attn_mask_to_KV_maxILi4EEvPK7__half2Piiii: ; @_ZL25flash_attn_mask_to_KV_maxILi4EEvPK7__half2Piiii
; %bb.0:
	s_load_dwordx4 s[8:11], s[4:5], 0x0
	v_cmp_gt_u32_e32 vcc, 32, v0
	s_and_saveexec_b64 s[0:1], vcc
; %bb.1:
	v_lshlrev_b32_e32 v1, 2, v0
	v_mov_b32_e32 v2, 1
	ds_write_b32 v1, v2
; %bb.2:
	s_or_b64 exec, exec, s[0:1]
	s_load_dwordx4 s[12:15], s[4:5], 0x10
	s_load_dword s22, s[4:5], 0x20
	v_and_b32_e32 v1, 31, v0
	v_lshlrev_b32_e32 v6, 2, v1
	v_lshrrev_b32_e32 v5, 3, v0
	s_waitcnt lgkmcnt(0)
	s_mul_i32 s1, s6, s13
	s_mul_i32 s0, s14, s7
	s_lshl_b32 s1, s1, 2
	s_add_i32 s0, s0, s1
	s_ashr_i32 s1, s0, 31
	s_lshl_b64 s[0:1], s[0:1], 2
	s_add_u32 s23, s8, s0
	s_addc_u32 s24, s9, s1
	v_cmp_eq_u32_e64 s[0:1], 0, v1
	v_mbcnt_lo_u32_b32 v1, -1, 0
	s_lshl_b32 s12, s12, 8
	s_mov_b64 s[4:5], 0
	v_mov_b32_e32 v2, 0
	s_movk_i32 s25, 0x204
	v_mbcnt_hi_u32_b32 v7, -1, v1
	s_barrier
                                        ; implicit-def: $sgpr2_sgpr3
	s_branch .LBB1_5
.LBB1_3:                                ;   in Loop: Header=BB1_5 Depth=1
	s_or_b64 exec, exec, s[8:9]
	s_waitcnt lgkmcnt(0)
	s_barrier
	ds_read_b32 v10, v6
	s_waitcnt lgkmcnt(0)
	s_barrier
	ds_bpermute_b32 v1, v1, v10
	v_cmp_ne_u32_e32 vcc, 0, v10
	s_waitcnt lgkmcnt(0)
	v_cmp_ne_u32_e64 s[2:3], 0, v1
	s_and_b64 s[2:3], vcc, s[2:3]
	v_cndmask_b32_e64 v1, 0, 1, s[2:3]
	ds_bpermute_b32 v1, v3, v1
	s_waitcnt lgkmcnt(0)
	v_cmp_ne_u32_e32 vcc, 0, v1
	s_and_b64 s[2:3], vcc, s[2:3]
	v_cndmask_b32_e64 v1, 0, 1, s[2:3]
	ds_bpermute_b32 v1, v4, v1
	s_waitcnt lgkmcnt(0)
	v_cmp_ne_u32_e32 vcc, 0, v1
	;; [unrolled: 5-line block ×3, first 2 shown]
	s_and_b64 s[2:3], vcc, s[2:3]
	v_cndmask_b32_e64 v1, 0, 1, s[2:3]
	ds_bpermute_b32 v1, v9, v1
	s_xor_b64 s[2:3], s[2:3], -1
	s_waitcnt lgkmcnt(0)
	v_cmp_eq_u32_e32 vcc, 0, v1
	s_or_b64 s[2:3], vcc, s[2:3]
.LBB1_4:                                ;   in Loop: Header=BB1_5 Depth=1
	s_and_b64 s[8:9], exec, s[2:3]
	s_or_b64 s[4:5], s[8:9], s[4:5]
	v_mov_b32_e32 v1, s12
	s_mov_b32 s12, s26
	s_andn2_b64 exec, exec, s[4:5]
	s_cbranch_execz .LBB1_20
.LBB1_5:                                ; =>This Inner Loop Header: Depth=1
	s_add_i32 s26, s12, 0xffffff00
	s_or_b64 s[2:3], s[2:3], exec
	s_cmp_lt_i32 s26, 0
	s_cbranch_scc1 .LBB1_4
; %bb.6:                                ;   in Loop: Header=BB1_5 Depth=1
	s_lshr_b32 s2, s26, 1
	v_add_u32_e32 v1, s2, v0
	v_lshlrev_b64 v[3:4], 2, v[1:2]
	v_mov_b32_e32 v8, s24
	v_add_co_u32_e32 v3, vcc, s23, v3
	v_addc_co_u32_e32 v4, vcc, v8, v4, vcc
	global_load_dword v3, v[3:4], off
	v_mov_b32_e32 v4, 0
	s_waitcnt vmcnt(0)
	v_cmp_class_f16_e64 s[2:3], v3, s25
	v_cmp_class_f16_sdwa s[8:9], v3, s25 src0_sel:WORD_1 src1_sel:DWORD
	s_and_b64 s[8:9], s[2:3], s[8:9]
	s_and_saveexec_b64 s[2:3], s[8:9]
	s_cbranch_execz .LBB1_18
; %bb.7:                                ;   in Loop: Header=BB1_5 Depth=1
	v_add_u32_e32 v3, s13, v1
	v_ashrrev_i32_e32 v4, 31, v3
	v_lshlrev_b64 v[8:9], 2, v[3:4]
	v_mov_b32_e32 v1, s24
	v_add_co_u32_e32 v8, vcc, s23, v8
	v_addc_co_u32_e32 v9, vcc, v1, v9, vcc
	global_load_dword v1, v[8:9], off
	v_mov_b32_e32 v4, 0
	s_waitcnt vmcnt(0)
	v_cmp_class_f16_e64 s[14:15], v1, s25
	s_and_saveexec_b64 s[8:9], s[14:15]
	s_cbranch_execz .LBB1_17
; %bb.8:                                ;   in Loop: Header=BB1_5 Depth=1
	v_cmp_class_f16_sdwa s[16:17], v1, s25 src0_sel:WORD_1 src1_sel:DWORD
	v_mov_b32_e32 v4, 0
	s_and_saveexec_b64 s[14:15], s[16:17]
	s_cbranch_execz .LBB1_16
; %bb.9:                                ;   in Loop: Header=BB1_5 Depth=1
	v_add_u32_e32 v3, s13, v3
	v_ashrrev_i32_e32 v4, 31, v3
	v_lshlrev_b64 v[8:9], 2, v[3:4]
	v_mov_b32_e32 v1, s24
	v_add_co_u32_e32 v8, vcc, s23, v8
	v_addc_co_u32_e32 v9, vcc, v1, v9, vcc
	global_load_dword v1, v[8:9], off
	v_mov_b32_e32 v4, 0
	s_waitcnt vmcnt(0)
	v_cmp_class_f16_e64 s[18:19], v1, s25
	s_and_saveexec_b64 s[16:17], s[18:19]
	s_cbranch_execz .LBB1_15
; %bb.10:                               ;   in Loop: Header=BB1_5 Depth=1
	v_cmp_class_f16_sdwa s[20:21], v1, s25 src0_sel:WORD_1 src1_sel:DWORD
	v_mov_b32_e32 v4, 0
	s_and_saveexec_b64 s[18:19], s[20:21]
	s_cbranch_execz .LBB1_14
; %bb.11:                               ;   in Loop: Header=BB1_5 Depth=1
	v_add_u32_e32 v3, s13, v3
	v_ashrrev_i32_e32 v4, 31, v3
	v_lshlrev_b64 v[3:4], 2, v[3:4]
	v_mov_b32_e32 v1, s24
	v_add_co_u32_e32 v3, vcc, s23, v3
	v_addc_co_u32_e32 v4, vcc, v1, v4, vcc
	global_load_dword v1, v[3:4], off
	v_mov_b32_e32 v4, 0
	s_waitcnt vmcnt(0)
	v_cmp_class_f16_e64 s[28:29], v1, s25
	s_and_saveexec_b64 s[20:21], s[28:29]
; %bb.12:                               ;   in Loop: Header=BB1_5 Depth=1
	v_cmp_class_f16_sdwa s[28:29], v1, s25 src0_sel:WORD_1 src1_sel:DWORD
	v_cndmask_b32_e64 v4, 0, 1, s[28:29]
; %bb.13:                               ;   in Loop: Header=BB1_5 Depth=1
	s_or_b64 exec, exec, s[20:21]
.LBB1_14:                               ;   in Loop: Header=BB1_5 Depth=1
	s_or_b64 exec, exec, s[18:19]
.LBB1_15:                               ;   in Loop: Header=BB1_5 Depth=1
	s_or_b64 exec, exec, s[16:17]
.LBB1_16:                               ;   in Loop: Header=BB1_5 Depth=1
	s_or_b64 exec, exec, s[14:15]
.LBB1_17:                               ;   in Loop: Header=BB1_5 Depth=1
	s_or_b64 exec, exec, s[8:9]
.LBB1_18:                               ;   in Loop: Header=BB1_5 Depth=1
	s_or_b64 exec, exec, s[2:3]
	v_and_b32_e32 v1, 0x60, v7
	v_add_u32_e32 v9, 32, v1
	v_xor_b32_e32 v1, 16, v7
	v_cmp_lt_i32_e32 vcc, v1, v9
	v_cndmask_b32_e32 v1, v7, v1, vcc
	v_lshlrev_b32_e32 v1, 2, v1
	ds_bpermute_b32 v3, v1, v4
	v_cmp_ne_u32_e32 vcc, 0, v4
	v_xor_b32_e32 v11, 1, v7
	s_waitcnt lgkmcnt(0)
	v_cmp_ne_u32_e64 s[2:3], 0, v3
	v_xor_b32_e32 v3, 8, v7
	s_and_b64 s[2:3], vcc, s[2:3]
	v_cmp_lt_i32_e32 vcc, v3, v9
	v_cndmask_b32_e32 v3, v7, v3, vcc
	v_cndmask_b32_e64 v4, 0, 1, s[2:3]
	v_lshlrev_b32_e32 v3, 2, v3
	ds_bpermute_b32 v4, v3, v4
	s_waitcnt lgkmcnt(0)
	v_cmp_ne_u32_e32 vcc, 0, v4
	v_xor_b32_e32 v4, 4, v7
	s_and_b64 s[2:3], vcc, s[2:3]
	v_cmp_lt_i32_e32 vcc, v4, v9
	v_cndmask_b32_e32 v4, v7, v4, vcc
	v_cndmask_b32_e64 v8, 0, 1, s[2:3]
	v_lshlrev_b32_e32 v4, 2, v4
	ds_bpermute_b32 v8, v4, v8
	s_waitcnt lgkmcnt(0)
	v_cmp_ne_u32_e32 vcc, 0, v8
	;; [unrolled: 9-line block ×3, first 2 shown]
	s_and_b64 s[2:3], vcc, s[2:3]
	v_cmp_lt_i32_e32 vcc, v11, v9
	v_cndmask_b32_e32 v9, v7, v11, vcc
	v_cndmask_b32_e64 v10, 0, 1, s[2:3]
	v_lshlrev_b32_e32 v9, 2, v9
	ds_bpermute_b32 v10, v9, v10
	s_and_saveexec_b64 s[8:9], s[0:1]
	s_cbranch_execz .LBB1_3
; %bb.19:                               ;   in Loop: Header=BB1_5 Depth=1
	s_waitcnt lgkmcnt(0)
	v_cmp_ne_u32_e32 vcc, 0, v10
	s_and_b64 s[2:3], vcc, s[2:3]
	v_cndmask_b32_e64 v10, 0, 1, s[2:3]
	ds_write_b32 v5, v10
	s_branch .LBB1_3
.LBB1_20:
	s_or_b64 exec, exec, s[4:5]
	v_cmp_eq_u32_e32 vcc, 0, v0
	s_and_saveexec_b64 s[0:1], vcc
	s_cbranch_execz .LBB1_22
; %bb.21:
	s_mul_i32 s0, s22, s7
	s_add_i32 s0, s0, s6
	s_ashr_i32 s1, s0, 31
	s_lshl_b64 s[0:1], s[0:1], 2
	s_add_u32 s0, s10, s0
	s_addc_u32 s1, s11, s1
	v_mov_b32_e32 v0, 0
	global_store_dword v0, v1, s[0:1]
.LBB1_22:
	s_endpgm
	.section	.rodata,"a",@progbits
	.p2align	6, 0x0
	.amdhsa_kernel _ZL25flash_attn_mask_to_KV_maxILi4EEvPK7__half2Piiii
		.amdhsa_group_segment_fixed_size 128
		.amdhsa_private_segment_fixed_size 0
		.amdhsa_kernarg_size 288
		.amdhsa_user_sgpr_count 6
		.amdhsa_user_sgpr_private_segment_buffer 1
		.amdhsa_user_sgpr_dispatch_ptr 0
		.amdhsa_user_sgpr_queue_ptr 0
		.amdhsa_user_sgpr_kernarg_segment_ptr 1
		.amdhsa_user_sgpr_dispatch_id 0
		.amdhsa_user_sgpr_flat_scratch_init 0
		.amdhsa_user_sgpr_private_segment_size 0
		.amdhsa_uses_dynamic_stack 0
		.amdhsa_system_sgpr_private_segment_wavefront_offset 0
		.amdhsa_system_sgpr_workgroup_id_x 1
		.amdhsa_system_sgpr_workgroup_id_y 1
		.amdhsa_system_sgpr_workgroup_id_z 0
		.amdhsa_system_sgpr_workgroup_info 0
		.amdhsa_system_vgpr_workitem_id 0
		.amdhsa_next_free_vgpr 12
		.amdhsa_next_free_sgpr 30
		.amdhsa_reserve_vcc 1
		.amdhsa_reserve_flat_scratch 0
		.amdhsa_float_round_mode_32 0
		.amdhsa_float_round_mode_16_64 0
		.amdhsa_float_denorm_mode_32 3
		.amdhsa_float_denorm_mode_16_64 3
		.amdhsa_dx10_clamp 1
		.amdhsa_ieee_mode 1
		.amdhsa_fp16_overflow 0
		.amdhsa_exception_fp_ieee_invalid_op 0
		.amdhsa_exception_fp_denorm_src 0
		.amdhsa_exception_fp_ieee_div_zero 0
		.amdhsa_exception_fp_ieee_overflow 0
		.amdhsa_exception_fp_ieee_underflow 0
		.amdhsa_exception_fp_ieee_inexact 0
		.amdhsa_exception_int_div_zero 0
	.end_amdhsa_kernel
	.section	.text._ZL25flash_attn_mask_to_KV_maxILi4EEvPK7__half2Piiii,"axG",@progbits,_ZL25flash_attn_mask_to_KV_maxILi4EEvPK7__half2Piiii,comdat
.Lfunc_end1:
	.size	_ZL25flash_attn_mask_to_KV_maxILi4EEvPK7__half2Piiii, .Lfunc_end1-_ZL25flash_attn_mask_to_KV_maxILi4EEvPK7__half2Piiii
                                        ; -- End function
	.set _ZL25flash_attn_mask_to_KV_maxILi4EEvPK7__half2Piiii.num_vgpr, 12
	.set _ZL25flash_attn_mask_to_KV_maxILi4EEvPK7__half2Piiii.num_agpr, 0
	.set _ZL25flash_attn_mask_to_KV_maxILi4EEvPK7__half2Piiii.numbered_sgpr, 30
	.set _ZL25flash_attn_mask_to_KV_maxILi4EEvPK7__half2Piiii.num_named_barrier, 0
	.set _ZL25flash_attn_mask_to_KV_maxILi4EEvPK7__half2Piiii.private_seg_size, 0
	.set _ZL25flash_attn_mask_to_KV_maxILi4EEvPK7__half2Piiii.uses_vcc, 1
	.set _ZL25flash_attn_mask_to_KV_maxILi4EEvPK7__half2Piiii.uses_flat_scratch, 0
	.set _ZL25flash_attn_mask_to_KV_maxILi4EEvPK7__half2Piiii.has_dyn_sized_stack, 0
	.set _ZL25flash_attn_mask_to_KV_maxILi4EEvPK7__half2Piiii.has_recursion, 0
	.set _ZL25flash_attn_mask_to_KV_maxILi4EEvPK7__half2Piiii.has_indirect_call, 0
	.section	.AMDGPU.csdata,"",@progbits
; Kernel info:
; codeLenInByte = 1008
; TotalNumSgprs: 34
; NumVgprs: 12
; ScratchSize: 0
; MemoryBound: 0
; FloatMode: 240
; IeeeMode: 1
; LDSByteSize: 128 bytes/workgroup (compile time only)
; SGPRBlocks: 4
; VGPRBlocks: 2
; NumSGPRsForWavesPerEU: 34
; NumVGPRsForWavesPerEU: 12
; Occupancy: 10
; WaveLimiterHint : 0
; COMPUTE_PGM_RSRC2:SCRATCH_EN: 0
; COMPUTE_PGM_RSRC2:USER_SGPR: 6
; COMPUTE_PGM_RSRC2:TRAP_HANDLER: 0
; COMPUTE_PGM_RSRC2:TGID_X_EN: 1
; COMPUTE_PGM_RSRC2:TGID_Y_EN: 1
; COMPUTE_PGM_RSRC2:TGID_Z_EN: 0
; COMPUTE_PGM_RSRC2:TIDIG_COMP_CNT: 0
	.section	.text._ZL33flash_attn_stream_k_fixup_uniformILi256ELi4ELi8EEvPfPK15HIP_vector_typeIfLj2EEiiiiiiS1_IjLj3EES5_S5_,"axG",@progbits,_ZL33flash_attn_stream_k_fixup_uniformILi256ELi4ELi8EEvPfPK15HIP_vector_typeIfLj2EEiiiiiiS1_IjLj3EES5_S5_,comdat
	.globl	_ZL33flash_attn_stream_k_fixup_uniformILi256ELi4ELi8EEvPfPK15HIP_vector_typeIfLj2EEiiiiiiS1_IjLj3EES5_S5_ ; -- Begin function _ZL33flash_attn_stream_k_fixup_uniformILi256ELi4ELi8EEvPfPK15HIP_vector_typeIfLj2EEiiiiiiS1_IjLj3EES5_S5_
	.p2align	8
	.type	_ZL33flash_attn_stream_k_fixup_uniformILi256ELi4ELi8EEvPfPK15HIP_vector_typeIfLj2EEiiiiiiS1_IjLj3EES5_S5_,@function
_ZL33flash_attn_stream_k_fixup_uniformILi256ELi4ELi8EEvPfPK15HIP_vector_typeIfLj2EEiiiiiiS1_IjLj3EES5_S5_: ; @_ZL33flash_attn_stream_k_fixup_uniformILi256ELi4ELi8EEvPfPK15HIP_vector_typeIfLj2EEiiiiiiS1_IjLj3EES5_S5_
; %bb.0:
	s_load_dwordx8 s[12:19], s[4:5], 0x1c
	s_load_dwordx2 s[10:11], s[4:5], 0x10
	s_load_dwordx4 s[0:3], s[4:5], 0x3c
	s_waitcnt lgkmcnt(0)
	s_mul_hi_u32 s9, s15, s6
	s_add_i32 s9, s6, s9
	s_lshr_b32 s9, s9, s16
	s_mul_i32 s15, s9, s17
	s_sub_i32 s15, s6, s15
	s_mul_hi_u32 s16, s15, s18
	s_add_i32 s16, s15, s16
	s_lshr_b32 s16, s16, s19
	s_mul_i32 s0, s16, s0
	s_sub_i32 s0, s15, s0
	;; [unrolled: 5-line block ×3, first 2 shown]
	s_lshl_b32 s0, s17, 2
	s_lshl_b32 s15, s1, 3
	s_add_i32 s0, s0, s7
	s_cmp_lt_i32 s0, s10
	s_cselect_b64 s[0:1], -1, 0
	s_add_i32 s2, s15, s8
	s_cmp_lt_i32 s2, s13
	s_cselect_b64 s[2:3], -1, 0
	s_and_b64 s[0:1], s[0:1], s[2:3]
	s_andn2_b64 vcc, exec, s[0:1]
	s_cbranch_vccnz .LBB2_6
; %bb.1:
	s_load_dwordx4 s[0:3], s[4:5], 0x0
	s_mul_i32 s4, s9, s10
	s_add_i32 s4, s4, s7
	s_mul_i32 s4, s4, s11
	s_mul_i32 s16, s16, s13
	s_add_i32 s4, s4, s8
	s_add_i32 s4, s4, s16
	s_mul_i32 s5, s11, s17
	s_add_i32 s4, s4, s15
	s_lshl_b32 s5, s5, 10
	s_lshl_b32 s4, s4, 8
	s_add_i32 s5, s5, s4
	v_or_b32_e32 v1, s5, v0
	v_ashrrev_i32_e32 v2, 31, v1
	v_lshlrev_b64 v[1:2], 2, v[1:2]
	s_waitcnt lgkmcnt(0)
	v_mov_b32_e32 v3, s1
	v_add_co_u32_e32 v1, vcc, s0, v1
	v_addc_co_u32_e32 v2, vcc, v3, v2, vcc
	global_load_dword v8, v[1:2], off
	s_mul_i32 s9, s14, s6
	s_lshl_b32 s4, s7, 3
	s_add_i32 s11, s9, s14
	s_add_i32 s0, s4, s8
	s_lshl_b32 s1, s11, 5
	s_add_i32 s0, s0, s1
	s_sub_i32 s0, s0, 32
	s_ashr_i32 s1, s0, 31
	s_lshl_b64 s[0:1], s[0:1], 3
	s_add_u32 s0, s2, s0
	s_addc_u32 s1, s3, s1
	s_load_dword s5, s[0:1], 0x4
	s_add_i32 s10, s11, -2
	s_cmp_lt_i32 s10, s9
	s_cbranch_scc1 .LBB2_4
; %bb.2:
	s_lshl_b32 s16, s12, 7
	s_ashr_i32 s17, s16, 31
	s_lshl_b64 s[16:17], s[16:17], 2
	s_add_u32 s10, s2, s16
	s_addc_u32 s13, s3, s17
	s_add_i32 s6, s6, 1
	s_load_dword s0, s[0:1], 0x0
	s_mul_i32 s1, s14, s6
	s_lshl_b32 s7, s7, 11
	s_lshl_b32 s14, s8, 8
	;; [unrolled: 1-line block ×3, first 2 shown]
	s_add_i32 s7, s14, s7
	s_lshl_b32 s1, s1, 5
	s_add_i32 s7, s7, s6
	s_add_i32 s1, s8, s1
	s_lshl_b32 s6, s12, 5
	s_add_i32 s1, s1, s6
	v_or_b32_e32 v0, s7, v0
	s_add_i32 s1, s1, s4
	s_add_i32 s11, s11, -1
	v_add_u32_e32 v3, 0xffffc000, v0
	s_sub_i32 s4, s1, 64
	s_waitcnt lgkmcnt(0)
	v_mov_b32_e32 v7, s5
	v_mov_b32_e32 v6, s0
	;; [unrolled: 1-line block ×3, first 2 shown]
	s_mov_b32 s6, 0x3fb8aa3b
	s_mov_b32 s7, 0xc2ce8ed0
	;; [unrolled: 1-line block ×3, first 2 shown]
	v_mov_b32_e32 v5, 0x7f800000
	s_mov_b32 s12, 0xc1a00000
.LBB2_3:                                ; =>This Inner Loop Header: Depth=1
	v_ashrrev_i32_e32 v4, 31, v3
	v_lshlrev_b64 v[9:10], 2, v[3:4]
	s_ashr_i32 s5, s4, 31
	v_add_co_u32_e32 v9, vcc, s10, v9
	v_addc_co_u32_e32 v10, vcc, v0, v10, vcc
	global_load_dword v4, v[9:10], off
	s_lshl_b64 s[0:1], s[4:5], 3
	s_add_u32 s0, s2, s0
	s_addc_u32 s1, s3, s1
	s_load_dwordx2 s[14:15], s[0:1], 0x0
	s_waitcnt vmcnt(1)
	v_mov_b32_e32 v9, v8
	v_max_f32_e32 v8, v6, v6
	v_mov_b32_e32 v10, v7
	s_add_i32 s11, s11, -1
	s_waitcnt lgkmcnt(0)
	v_max_f32_e64 v7, s14, s14
	v_max_f32_e32 v7, v8, v7
	v_sub_f32_e32 v11, s14, v7
	v_sub_f32_e32 v8, v6, v7
	v_mul_f32_e32 v12, 0x3fb8aa3b, v11
	v_mov_b32_e32 v6, v7
	v_mul_f32_e32 v7, 0x3fb8aa3b, v8
	v_fma_f32 v15, v11, s6, -v12
	v_rndne_f32_e32 v16, v12
	v_fma_f32 v13, v8, s6, -v7
	v_rndne_f32_e32 v14, v7
	v_fmac_f32_e32 v15, 0x32a5705f, v11
	v_sub_f32_e32 v12, v12, v16
	v_fmac_f32_e32 v13, 0x32a5705f, v8
	v_sub_f32_e32 v7, v7, v14
	v_add_f32_e32 v12, v12, v15
	v_cvt_i32_f32_e32 v16, v16
	v_add_f32_e32 v7, v7, v13
	v_exp_f32_e32 v12, v12
	v_cvt_i32_f32_e32 v14, v14
	v_exp_f32_e32 v7, v7
	v_cmp_ngt_f32_e32 vcc, s7, v11
	v_ldexp_f32 v12, v12, v16
	v_cmp_ngt_f32_e64 s[0:1], s7, v8
	v_ldexp_f32 v7, v7, v14
	v_cndmask_b32_e32 v12, 0, v12, vcc
	v_cmp_nlt_f32_e32 vcc, s8, v11
	v_cndmask_b32_e64 v7, 0, v7, s[0:1]
	v_cmp_nlt_f32_e64 s[0:1], s8, v8
	v_cndmask_b32_e32 v12, v5, v12, vcc
	v_cmp_le_f32_e32 vcc, s12, v11
	v_cndmask_b32_e64 v7, v5, v7, s[0:1]
	v_cmp_le_f32_e64 s[0:1], s12, v8
	v_cndmask_b32_e32 v8, 0, v12, vcc
	s_sub_i32 s4, s4, 32
	v_cndmask_b32_e64 v11, 0, v7, s[0:1]
	v_mul_f32_e32 v7, s15, v8
	v_add_u32_e32 v3, 0xffffe000, v3
	s_cmp_le_i32 s11, s9
	v_fmac_f32_e32 v7, v10, v11
	s_waitcnt vmcnt(0)
	v_mul_f32_e32 v8, v4, v8
	v_fmac_f32_e32 v8, v9, v11
	s_cbranch_scc0 .LBB2_3
	s_branch .LBB2_5
.LBB2_4:
	s_waitcnt lgkmcnt(0)
	v_mov_b32_e32 v7, s5
.LBB2_5:
	s_waitcnt vmcnt(0)
	v_div_scale_f32 v0, s[0:1], v7, v7, v8
	v_div_scale_f32 v3, vcc, v8, v7, v8
	v_rcp_f32_e32 v4, v0
	v_fma_f32 v5, -v0, v4, 1.0
	v_fmac_f32_e32 v4, v5, v4
	v_mul_f32_e32 v5, v3, v4
	v_fma_f32 v6, -v0, v5, v3
	v_fmac_f32_e32 v5, v6, v4
	v_fma_f32 v0, -v0, v5, v3
	v_div_fmas_f32 v0, v0, v4, v5
	v_div_fixup_f32 v0, v0, v7, v8
	global_store_dword v[1:2], v0, off
.LBB2_6:
	s_endpgm
	.section	.rodata,"a",@progbits
	.p2align	6, 0x0
	.amdhsa_kernel _ZL33flash_attn_stream_k_fixup_uniformILi256ELi4ELi8EEvPfPK15HIP_vector_typeIfLj2EEiiiiiiS1_IjLj3EES5_S5_
		.amdhsa_group_segment_fixed_size 0
		.amdhsa_private_segment_fixed_size 0
		.amdhsa_kernarg_size 76
		.amdhsa_user_sgpr_count 6
		.amdhsa_user_sgpr_private_segment_buffer 1
		.amdhsa_user_sgpr_dispatch_ptr 0
		.amdhsa_user_sgpr_queue_ptr 0
		.amdhsa_user_sgpr_kernarg_segment_ptr 1
		.amdhsa_user_sgpr_dispatch_id 0
		.amdhsa_user_sgpr_flat_scratch_init 0
		.amdhsa_user_sgpr_private_segment_size 0
		.amdhsa_uses_dynamic_stack 0
		.amdhsa_system_sgpr_private_segment_wavefront_offset 0
		.amdhsa_system_sgpr_workgroup_id_x 1
		.amdhsa_system_sgpr_workgroup_id_y 1
		.amdhsa_system_sgpr_workgroup_id_z 1
		.amdhsa_system_sgpr_workgroup_info 0
		.amdhsa_system_vgpr_workitem_id 0
		.amdhsa_next_free_vgpr 17
		.amdhsa_next_free_sgpr 20
		.amdhsa_reserve_vcc 1
		.amdhsa_reserve_flat_scratch 0
		.amdhsa_float_round_mode_32 0
		.amdhsa_float_round_mode_16_64 0
		.amdhsa_float_denorm_mode_32 3
		.amdhsa_float_denorm_mode_16_64 3
		.amdhsa_dx10_clamp 1
		.amdhsa_ieee_mode 1
		.amdhsa_fp16_overflow 0
		.amdhsa_exception_fp_ieee_invalid_op 0
		.amdhsa_exception_fp_denorm_src 0
		.amdhsa_exception_fp_ieee_div_zero 0
		.amdhsa_exception_fp_ieee_overflow 0
		.amdhsa_exception_fp_ieee_underflow 0
		.amdhsa_exception_fp_ieee_inexact 0
		.amdhsa_exception_int_div_zero 0
	.end_amdhsa_kernel
	.section	.text._ZL33flash_attn_stream_k_fixup_uniformILi256ELi4ELi8EEvPfPK15HIP_vector_typeIfLj2EEiiiiiiS1_IjLj3EES5_S5_,"axG",@progbits,_ZL33flash_attn_stream_k_fixup_uniformILi256ELi4ELi8EEvPfPK15HIP_vector_typeIfLj2EEiiiiiiS1_IjLj3EES5_S5_,comdat
.Lfunc_end2:
	.size	_ZL33flash_attn_stream_k_fixup_uniformILi256ELi4ELi8EEvPfPK15HIP_vector_typeIfLj2EEiiiiiiS1_IjLj3EES5_S5_, .Lfunc_end2-_ZL33flash_attn_stream_k_fixup_uniformILi256ELi4ELi8EEvPfPK15HIP_vector_typeIfLj2EEiiiiiiS1_IjLj3EES5_S5_
                                        ; -- End function
	.set _ZL33flash_attn_stream_k_fixup_uniformILi256ELi4ELi8EEvPfPK15HIP_vector_typeIfLj2EEiiiiiiS1_IjLj3EES5_S5_.num_vgpr, 17
	.set _ZL33flash_attn_stream_k_fixup_uniformILi256ELi4ELi8EEvPfPK15HIP_vector_typeIfLj2EEiiiiiiS1_IjLj3EES5_S5_.num_agpr, 0
	.set _ZL33flash_attn_stream_k_fixup_uniformILi256ELi4ELi8EEvPfPK15HIP_vector_typeIfLj2EEiiiiiiS1_IjLj3EES5_S5_.numbered_sgpr, 20
	.set _ZL33flash_attn_stream_k_fixup_uniformILi256ELi4ELi8EEvPfPK15HIP_vector_typeIfLj2EEiiiiiiS1_IjLj3EES5_S5_.num_named_barrier, 0
	.set _ZL33flash_attn_stream_k_fixup_uniformILi256ELi4ELi8EEvPfPK15HIP_vector_typeIfLj2EEiiiiiiS1_IjLj3EES5_S5_.private_seg_size, 0
	.set _ZL33flash_attn_stream_k_fixup_uniformILi256ELi4ELi8EEvPfPK15HIP_vector_typeIfLj2EEiiiiiiS1_IjLj3EES5_S5_.uses_vcc, 1
	.set _ZL33flash_attn_stream_k_fixup_uniformILi256ELi4ELi8EEvPfPK15HIP_vector_typeIfLj2EEiiiiiiS1_IjLj3EES5_S5_.uses_flat_scratch, 0
	.set _ZL33flash_attn_stream_k_fixup_uniformILi256ELi4ELi8EEvPfPK15HIP_vector_typeIfLj2EEiiiiiiS1_IjLj3EES5_S5_.has_dyn_sized_stack, 0
	.set _ZL33flash_attn_stream_k_fixup_uniformILi256ELi4ELi8EEvPfPK15HIP_vector_typeIfLj2EEiiiiiiS1_IjLj3EES5_S5_.has_recursion, 0
	.set _ZL33flash_attn_stream_k_fixup_uniformILi256ELi4ELi8EEvPfPK15HIP_vector_typeIfLj2EEiiiiiiS1_IjLj3EES5_S5_.has_indirect_call, 0
	.section	.AMDGPU.csdata,"",@progbits
; Kernel info:
; codeLenInByte = 856
; TotalNumSgprs: 24
; NumVgprs: 17
; ScratchSize: 0
; MemoryBound: 0
; FloatMode: 240
; IeeeMode: 1
; LDSByteSize: 0 bytes/workgroup (compile time only)
; SGPRBlocks: 2
; VGPRBlocks: 4
; NumSGPRsForWavesPerEU: 24
; NumVGPRsForWavesPerEU: 17
; Occupancy: 10
; WaveLimiterHint : 0
; COMPUTE_PGM_RSRC2:SCRATCH_EN: 0
; COMPUTE_PGM_RSRC2:USER_SGPR: 6
; COMPUTE_PGM_RSRC2:TRAP_HANDLER: 0
; COMPUTE_PGM_RSRC2:TGID_X_EN: 1
; COMPUTE_PGM_RSRC2:TGID_Y_EN: 1
; COMPUTE_PGM_RSRC2:TGID_Z_EN: 1
; COMPUTE_PGM_RSRC2:TIDIG_COMP_CNT: 0
	.section	.text._ZL33flash_attn_stream_k_fixup_generalILi256ELi4ELi8EEvPfPK15HIP_vector_typeIfLj2EEiiiiS1_IjLj3EES5_S5_S5_,"axG",@progbits,_ZL33flash_attn_stream_k_fixup_generalILi256ELi4ELi8EEvPfPK15HIP_vector_typeIfLj2EEiiiiS1_IjLj3EES5_S5_S5_,comdat
	.globl	_ZL33flash_attn_stream_k_fixup_generalILi256ELi4ELi8EEvPfPK15HIP_vector_typeIfLj2EEiiiiS1_IjLj3EES5_S5_S5_ ; -- Begin function _ZL33flash_attn_stream_k_fixup_generalILi256ELi4ELi8EEvPfPK15HIP_vector_typeIfLj2EEiiiiS1_IjLj3EES5_S5_S5_
	.p2align	8
	.type	_ZL33flash_attn_stream_k_fixup_generalILi256ELi4ELi8EEvPfPK15HIP_vector_typeIfLj2EEiiiiS1_IjLj3EES5_S5_S5_,@function
_ZL33flash_attn_stream_k_fixup_generalILi256ELi4ELi8EEvPfPK15HIP_vector_typeIfLj2EEiiiiS1_IjLj3EES5_S5_S5_: ; @_ZL33flash_attn_stream_k_fixup_generalILi256ELi4ELi8EEvPfPK15HIP_vector_typeIfLj2EEiiiiS1_IjLj3EES5_S5_S5_
; %bb.0:
	s_load_dwordx4 s[0:3], s[4:5], 0x10
	s_load_dword s22, s[4:5], 0x50
	s_mov_b32 s12, 0
	s_waitcnt lgkmcnt(0)
	s_mul_hi_i32 s13, s3, s6
	s_cmp_lg_u64 s[12:13], 0
	s_mul_i32 s9, s3, s6
	s_cbranch_scc0 .LBB3_20
; %bb.1:
	s_add_u32 s10, s22, 0
	s_addc_u32 s11, 0, 0
	s_xor_b64 s[10:11], s[10:11], 0
	v_cvt_f32_u32_e32 v1, s10
	v_cvt_f32_u32_e32 v2, s11
	s_sub_u32 s12, 0, s10
	s_subb_u32 s18, 0, s11
	v_madmk_f32 v1, v2, 0x4f800000, v1
	v_rcp_f32_e32 v1, v1
	v_mul_f32_e32 v1, 0x5f7ffffc, v1
	v_mul_f32_e32 v2, 0x2f800000, v1
	v_trunc_f32_e32 v2, v2
	v_madmk_f32 v1, v2, 0xcf800000, v1
	v_cvt_u32_f32_e32 v2, v2
	v_cvt_u32_f32_e32 v1, v1
	v_readfirstlane_b32 s19, v2
	v_readfirstlane_b32 s14, v1
	s_mul_i32 s15, s12, s19
	s_mul_hi_u32 s21, s12, s14
	s_mul_i32 s20, s18, s14
	s_add_i32 s15, s21, s15
	s_add_i32 s15, s15, s20
	s_mul_i32 s23, s12, s14
	s_mul_i32 s21, s14, s15
	s_mul_hi_u32 s24, s14, s23
	s_mul_hi_u32 s20, s14, s15
	s_add_u32 s21, s24, s21
	s_addc_u32 s20, 0, s20
	s_mul_hi_u32 s25, s19, s23
	s_mul_i32 s23, s19, s23
	s_add_u32 s21, s21, s23
	s_mul_hi_u32 s24, s19, s15
	s_addc_u32 s20, s20, s25
	s_addc_u32 s21, s24, 0
	s_mul_i32 s15, s19, s15
	s_add_u32 s15, s20, s15
	s_addc_u32 s20, 0, s21
	s_add_u32 s21, s14, s15
	s_cselect_b64 s[14:15], -1, 0
	s_cmp_lg_u64 s[14:15], 0
	s_addc_u32 s19, s19, s20
	s_mul_i32 s14, s12, s19
	s_mul_hi_u32 s15, s12, s21
	s_add_i32 s14, s15, s14
	s_mul_i32 s18, s18, s21
	s_add_i32 s14, s14, s18
	s_mul_i32 s12, s12, s21
	s_mul_hi_u32 s18, s19, s12
	s_mul_i32 s20, s19, s12
	s_mul_i32 s24, s21, s14
	s_mul_hi_u32 s12, s21, s12
	s_mul_hi_u32 s23, s21, s14
	s_add_u32 s12, s12, s24
	s_addc_u32 s23, 0, s23
	s_add_u32 s12, s12, s20
	s_mul_hi_u32 s15, s19, s14
	s_addc_u32 s12, s23, s18
	s_addc_u32 s15, s15, 0
	s_mul_i32 s14, s19, s14
	s_add_u32 s12, s12, s14
	s_addc_u32 s18, 0, s15
	s_add_u32 s20, s21, s12
	s_cselect_b64 s[14:15], -1, 0
	s_cmp_lg_u64 s[14:15], 0
	s_addc_u32 s18, s19, s18
	s_ashr_i32 s14, s13, 31
	s_add_u32 s12, s9, s14
	s_mov_b32 s15, s14
	s_addc_u32 s13, s13, s14
	s_xor_b64 s[12:13], s[12:13], s[14:15]
	s_mul_i32 s21, s12, s18
	s_mul_hi_u32 s23, s12, s20
	s_mul_hi_u32 s19, s12, s18
	s_add_u32 s21, s23, s21
	s_addc_u32 s19, 0, s19
	s_mul_hi_u32 s24, s13, s20
	s_mul_i32 s20, s13, s20
	s_add_u32 s20, s21, s20
	s_mul_hi_u32 s23, s13, s18
	s_addc_u32 s19, s19, s24
	s_addc_u32 s20, s23, 0
	s_mul_i32 s18, s13, s18
	s_add_u32 s23, s19, s18
	s_addc_u32 s24, 0, s20
	s_mul_i32 s18, s10, s24
	s_mul_hi_u32 s19, s10, s23
	s_add_i32 s18, s19, s18
	s_mul_i32 s19, s11, s23
	s_add_i32 s25, s18, s19
	s_sub_i32 s20, s13, s25
	s_mul_i32 s18, s10, s23
	s_sub_u32 s12, s12, s18
	s_cselect_b64 s[18:19], -1, 0
	s_cmp_lg_u64 s[18:19], 0
	s_subb_u32 s26, s20, s11
	s_sub_u32 s27, s12, s10
	s_cselect_b64 s[20:21], -1, 0
	s_cmp_lg_u64 s[20:21], 0
	s_subb_u32 s20, s26, 0
	s_cmp_ge_u32 s20, s11
	s_cselect_b32 s21, -1, 0
	s_cmp_ge_u32 s27, s10
	s_cselect_b32 s26, -1, 0
	s_cmp_eq_u32 s20, s11
	s_cselect_b32 s20, s26, s21
	s_add_u32 s21, s23, 1
	s_addc_u32 s26, s24, 0
	s_add_u32 s27, s23, 2
	s_addc_u32 s28, s24, 0
	s_cmp_lg_u32 s20, 0
	s_cselect_b32 s20, s27, s21
	s_cselect_b32 s21, s28, s26
	s_cmp_lg_u64 s[18:19], 0
	s_subb_u32 s13, s13, s25
	s_cmp_ge_u32 s13, s11
	s_cselect_b32 s18, -1, 0
	s_cmp_ge_u32 s12, s10
	s_cselect_b32 s10, -1, 0
	s_cmp_eq_u32 s13, s11
	s_cselect_b32 s10, s10, s18
	s_cmp_lg_u32 s10, 0
	s_cselect_b32 s11, s21, s24
	s_cselect_b32 s10, s20, s23
	s_xor_b64 s[12:13], s[14:15], 0
	s_xor_b64 s[10:11], s[10:11], s[12:13]
	s_sub_u32 s10, s10, s12
	s_load_dwordx4 s[12:15], s[4:5], 0x44
	s_cbranch_execnz .LBB3_3
.LBB3_2:
	v_cvt_f32_u32_e32 v1, s22
	s_sub_i32 s10, 0, s22
	v_rcp_iflag_f32_e32 v1, v1
	v_mul_f32_e32 v1, 0x4f7ffffe, v1
	v_cvt_u32_f32_e32 v1, v1
	v_readfirstlane_b32 s11, v1
	s_mul_i32 s10, s10, s11
	s_mul_hi_u32 s10, s11, s10
	s_add_i32 s11, s11, s10
	s_mul_hi_u32 s10, s9, s11
	s_waitcnt lgkmcnt(0)
	s_mul_i32 s15, s10, s22
	s_sub_i32 s9, s9, s15
	s_add_i32 s11, s10, 1
	s_sub_i32 s15, s9, s22
	s_cmp_ge_u32 s9, s22
	s_cselect_b32 s10, s11, s10
	s_cselect_b32 s9, s15, s9
	s_add_i32 s11, s10, 1
	s_cmp_ge_u32 s9, s22
	s_cselect_b32 s10, s11, s10
.LBB3_3:
	s_add_i32 s9, s6, 1
	s_mul_hi_i32 s21, s3, s9
	s_mov_b32 s20, 0
	s_cmp_lg_u64 s[20:21], 0
	s_mul_i32 s9, s3, s9
	s_cbranch_scc0 .LBB3_21
; %bb.4:
	s_add_u32 s16, s22, 0
	s_addc_u32 s17, 0, 0
	s_xor_b64 s[18:19], s[16:17], 0
	v_cvt_f32_u32_e32 v1, s18
	v_cvt_f32_u32_e32 v2, s19
	s_sub_u32 s11, 0, s18
	s_waitcnt lgkmcnt(0)
	s_subb_u32 s15, 0, s19
	v_madmk_f32 v1, v2, 0x4f800000, v1
	v_rcp_f32_e32 v1, v1
	v_mul_f32_e32 v1, 0x5f7ffffc, v1
	v_mul_f32_e32 v2, 0x2f800000, v1
	v_trunc_f32_e32 v2, v2
	v_madmk_f32 v1, v2, 0xcf800000, v1
	v_cvt_u32_f32_e32 v2, v2
	v_cvt_u32_f32_e32 v1, v1
	v_readfirstlane_b32 s20, v2
	v_readfirstlane_b32 s23, v1
	s_mul_i32 s24, s11, s20
	s_mul_hi_u32 s26, s11, s23
	s_mul_i32 s25, s15, s23
	s_add_i32 s24, s26, s24
	s_add_i32 s24, s24, s25
	s_mul_i32 s27, s11, s23
	s_mul_i32 s26, s23, s24
	s_mul_hi_u32 s28, s23, s27
	s_mul_hi_u32 s25, s23, s24
	s_add_u32 s26, s28, s26
	s_addc_u32 s25, 0, s25
	s_mul_hi_u32 s29, s20, s27
	s_mul_i32 s27, s20, s27
	s_add_u32 s26, s26, s27
	s_mul_hi_u32 s28, s20, s24
	s_addc_u32 s25, s25, s29
	s_addc_u32 s26, s28, 0
	s_mul_i32 s24, s20, s24
	s_add_u32 s24, s25, s24
	s_addc_u32 s26, 0, s26
	s_add_u32 s23, s23, s24
	s_cselect_b64 s[24:25], -1, 0
	s_cmp_lg_u64 s[24:25], 0
	s_addc_u32 s20, s20, s26
	s_mul_i32 s24, s11, s20
	s_mul_hi_u32 s25, s11, s23
	s_add_i32 s24, s25, s24
	s_mul_i32 s15, s15, s23
	s_add_i32 s24, s24, s15
	s_mul_i32 s11, s11, s23
	s_mul_hi_u32 s25, s20, s11
	s_mul_i32 s26, s20, s11
	s_mul_i32 s28, s23, s24
	s_mul_hi_u32 s11, s23, s11
	s_mul_hi_u32 s27, s23, s24
	s_add_u32 s11, s11, s28
	s_addc_u32 s27, 0, s27
	s_add_u32 s11, s11, s26
	s_mul_hi_u32 s15, s20, s24
	s_addc_u32 s11, s27, s25
	s_addc_u32 s15, s15, 0
	s_mul_i32 s24, s20, s24
	s_add_u32 s11, s11, s24
	s_addc_u32 s15, 0, s15
	s_add_u32 s11, s23, s11
	s_cselect_b64 s[24:25], -1, 0
	s_cmp_lg_u64 s[24:25], 0
	s_addc_u32 s15, s20, s15
	s_ashr_i32 s24, s21, 31
	s_add_u32 s20, s9, s24
	s_mov_b32 s25, s24
	s_addc_u32 s21, s21, s24
	s_xor_b64 s[20:21], s[20:21], s[24:25]
	s_mul_i32 s26, s20, s15
	s_mul_hi_u32 s27, s20, s11
	s_mul_hi_u32 s23, s20, s15
	s_add_u32 s26, s27, s26
	s_addc_u32 s23, 0, s23
	s_mul_hi_u32 s28, s21, s11
	s_mul_i32 s11, s21, s11
	s_add_u32 s11, s26, s11
	s_mul_hi_u32 s27, s21, s15
	s_addc_u32 s11, s23, s28
	s_addc_u32 s23, s27, 0
	s_mul_i32 s15, s21, s15
	s_add_u32 s11, s11, s15
	s_addc_u32 s15, 0, s23
	s_mul_i32 s23, s18, s15
	s_mul_hi_u32 s26, s18, s11
	s_add_i32 s23, s26, s23
	s_mul_i32 s26, s19, s11
	s_add_i32 s23, s23, s26
	s_sub_i32 s28, s21, s23
	s_mul_i32 s26, s18, s11
	s_sub_u32 s20, s20, s26
	s_cselect_b64 s[26:27], -1, 0
	s_cmp_lg_u64 s[26:27], 0
	s_subb_u32 s30, s28, s19
	s_sub_u32 s31, s20, s18
	s_cselect_b64 s[28:29], -1, 0
	s_cmp_lg_u64 s[28:29], 0
	s_subb_u32 s28, s30, 0
	s_cmp_ge_u32 s28, s19
	s_cselect_b32 s29, -1, 0
	s_cmp_ge_u32 s31, s18
	s_cselect_b32 s30, -1, 0
	s_cmp_eq_u32 s28, s19
	s_cselect_b32 s28, s30, s29
	s_add_u32 s29, s11, 1
	s_addc_u32 s30, s15, 0
	s_add_u32 s31, s11, 2
	s_addc_u32 s33, s15, 0
	s_cmp_lg_u32 s28, 0
	s_cselect_b32 s28, s31, s29
	s_cselect_b32 s29, s33, s30
	s_cmp_lg_u64 s[26:27], 0
	s_subb_u32 s21, s21, s23
	s_cmp_ge_u32 s21, s19
	s_cselect_b32 s23, -1, 0
	s_cmp_ge_u32 s20, s18
	s_cselect_b32 s18, -1, 0
	s_cmp_eq_u32 s21, s19
	s_cselect_b32 s18, s18, s23
	s_cmp_lg_u32 s18, 0
	s_cselect_b32 s19, s29, s15
	s_cselect_b32 s18, s28, s11
	s_xor_b64 s[20:21], s[24:25], 0
	s_xor_b64 s[18:19], s[18:19], s[20:21]
	s_sub_u32 s18, s18, s20
	s_cbranch_execnz .LBB3_6
.LBB3_5:
	v_cvt_f32_u32_e32 v1, s22
	s_sub_i32 s11, 0, s22
	v_rcp_iflag_f32_e32 v1, v1
	v_mul_f32_e32 v1, 0x4f7ffffe, v1
	v_cvt_u32_f32_e32 v1, v1
	s_waitcnt lgkmcnt(0)
	v_readfirstlane_b32 s15, v1
	s_mul_i32 s11, s11, s15
	s_mul_hi_u32 s11, s15, s11
	s_add_i32 s15, s15, s11
	s_mul_hi_u32 s11, s9, s15
	s_mul_i32 s16, s11, s22
	s_sub_i32 s9, s9, s16
	s_add_i32 s15, s11, 1
	s_sub_i32 s16, s9, s22
	s_cmp_ge_u32 s9, s22
	s_cselect_b32 s11, s15, s11
	s_cselect_b32 s9, s16, s9
	s_add_i32 s15, s11, 1
	s_cmp_ge_u32 s9, s22
	s_cselect_b32 s18, s15, s11
.LBB3_6:
	s_cmp_eq_u32 s10, s18
	s_waitcnt lgkmcnt(0)
	s_mul_hi_u32 s9, s10, s12
	s_cselect_b64 s[16:17], -1, 0
	s_add_i32 s9, s9, s10
	s_lshr_b32 s11, s9, s13
	s_mul_i32 s9, s11, s14
	s_cmp_eq_u32 s9, s10
	s_mul_hi_u32 s9, s18, s12
	s_cselect_b64 s[20:21], -1, 0
	s_add_i32 s9, s9, s18
	s_lshr_b32 s9, s9, s13
	s_cmp_eq_u32 s11, s9
	s_mul_i32 s9, s9, s14
	s_cselect_b64 s[24:25], -1, 0
	s_cmp_lg_u32 s9, s18
	s_cselect_b64 s[18:19], -1, 0
	s_and_b64 s[18:19], s[24:25], s[18:19]
	s_or_b64 s[16:17], s[16:17], s[20:21]
	s_or_b64 s[16:17], s[16:17], s[18:19]
	s_and_b64 vcc, exec, s[16:17]
	s_cbranch_vccnz .LBB3_23
; %bb.7:
	s_load_dwordx8 s[24:31], s[4:5], 0x20
	s_load_dword s15, s[4:5], 0x40
	s_waitcnt lgkmcnt(0)
	s_mul_hi_u32 s9, s10, s24
	s_add_i32 s9, s9, s10
	s_lshr_b32 s9, s9, s25
	s_mul_i32 s16, s9, s26
	s_sub_i32 s16, s10, s16
	s_mul_hi_u32 s17, s16, s27
	s_add_i32 s17, s16, s17
	s_lshr_b32 s23, s17, s28
	s_mul_i32 s17, s23, s29
	s_sub_i32 s16, s16, s17
	;; [unrolled: 5-line block ×3, first 2 shown]
	s_mul_hi_u32 s16, s15, s12
	s_add_i32 s15, s15, s16
	s_lshr_b32 s25, s15, s13
	s_lshl_b32 s15, s25, 2
	s_lshl_b32 s24, s17, 3
	s_add_i32 s15, s15, s7
	s_cmp_lt_i32 s15, s0
	s_cselect_b64 s[16:17], -1, 0
	s_add_i32 s15, s24, s8
	s_cmp_lt_i32 s15, s2
	s_cselect_b64 s[18:19], -1, 0
	s_and_b64 s[16:17], s[16:17], s[18:19]
	s_andn2_b64 vcc, exec, s[16:17]
	s_cbranch_vccnz .LBB3_23
; %bb.8:
	s_load_dwordx4 s[16:19], s[4:5], 0x0
	s_mov_b32 s4, 0
	s_lshl_b32 s15, s7, 3
	s_lshl_b32 s20, s22, 7
	s_mov_b32 s21, s4
	s_add_i32 s15, s15, s8
	s_lshl_b64 s[20:21], s[20:21], 2
	s_waitcnt lgkmcnt(0)
	s_add_u32 s20, s18, s20
	s_mul_i32 s0, s9, s0
	s_addc_u32 s21, s19, s21
	s_add_i32 s0, s0, s7
	s_mul_i32 s0, s0, s1
	s_mul_i32 s23, s23, s2
	s_add_i32 s0, s0, s8
	s_add_i32 s0, s0, s23
	s_mul_i32 s2, s1, s25
	s_add_i32 s0, s0, s24
	s_lshl_b32 s2, s2, 10
	s_lshl_b32 s0, s0, 8
	s_add_i32 s2, s2, s0
	v_or_b32_e32 v1, s2, v0
	v_ashrrev_i32_e32 v2, 31, v1
	v_lshlrev_b64 v[1:2], 2, v[1:2]
	v_mov_b32_e32 v3, s17
	v_add_co_u32_e32 v1, vcc, s16, v1
	v_addc_co_u32_e32 v2, vcc, v3, v2, vcc
	global_load_dword v3, v[1:2], off
	v_cvt_f32_u32_e32 v4, s22
	s_lshl_b32 s0, s6, 5
	s_add_i32 s0, s15, s0
	s_ashr_i32 s1, s0, 31
	s_lshl_b64 s[0:1], s[0:1], 3
	v_rcp_iflag_f32_e32 v4, v4
	s_add_u32 s0, s18, s0
	s_addc_u32 s1, s19, s1
	s_load_dwordx2 s[0:1], s[0:1], 0x0
	v_mul_f32_e32 v4, 0x4f7ffffe, v4
	v_cvt_u32_f32_e32 v4, v4
	s_add_i32 s24, s6, -1
	v_lshl_or_b32 v0, s15, 8, v0
	s_waitcnt lgkmcnt(0)
	v_mov_b32_e32 v6, s1
	v_mov_b32_e32 v7, s0
	s_mov_b32 s2, 0x3fb8aa3b
	s_mov_b32 s16, 0xc2ce8ed0
	;; [unrolled: 1-line block ×4, first 2 shown]
	v_mov_b32_e32 v5, 0x7f800000
	s_mul_hi_i32 s5, s24, s3
	s_cmp_lg_u64 s[4:5], 0
	s_mul_i32 s8, s24, s3
	s_cbranch_scc0 .LBB3_19
.LBB3_9:
	s_add_u32 s0, s22, 0
	s_addc_u32 s1, 0, 0
	s_xor_b64 s[0:1], s[0:1], 0
	v_cvt_f32_u32_e32 v8, s0
	v_cvt_f32_u32_e32 v9, s1
	s_sub_u32 s9, 0, s0
	s_subb_u32 s25, 0, s1
	v_mac_f32_e32 v8, 0x4f800000, v9
	v_rcp_f32_e32 v8, v8
	v_mul_f32_e32 v8, 0x5f7ffffc, v8
	v_mul_f32_e32 v9, 0x2f800000, v8
	v_trunc_f32_e32 v9, v9
	v_mac_f32_e32 v8, 0xcf800000, v9
	v_cvt_u32_f32_e32 v9, v9
	v_cvt_u32_f32_e32 v8, v8
	v_readfirstlane_b32 s26, v9
	v_readfirstlane_b32 s6, v8
	s_mul_i32 s7, s9, s26
	s_mul_hi_u32 s28, s9, s6
	s_mul_i32 s27, s25, s6
	s_add_i32 s7, s28, s7
	s_mul_i32 s29, s9, s6
	s_add_i32 s7, s7, s27
	s_mul_i32 s28, s6, s7
	s_mul_hi_u32 s30, s6, s29
	s_mul_hi_u32 s27, s6, s7
	s_add_u32 s28, s30, s28
	s_addc_u32 s27, 0, s27
	s_mul_hi_u32 s31, s26, s29
	s_mul_i32 s29, s26, s29
	s_add_u32 s28, s28, s29
	s_mul_hi_u32 s30, s26, s7
	s_addc_u32 s27, s27, s31
	s_addc_u32 s28, s30, 0
	s_mul_i32 s7, s26, s7
	s_add_u32 s7, s27, s7
	s_addc_u32 s27, 0, s28
	s_add_u32 s28, s6, s7
	s_cselect_b64 s[6:7], -1, 0
	s_cmp_lg_u64 s[6:7], 0
	s_addc_u32 s26, s26, s27
	s_mul_i32 s6, s9, s26
	s_mul_hi_u32 s7, s9, s28
	s_add_i32 s6, s7, s6
	s_mul_i32 s25, s25, s28
	s_add_i32 s6, s6, s25
	s_mul_i32 s9, s9, s28
	s_mul_hi_u32 s25, s26, s9
	s_mul_i32 s27, s26, s9
	s_mul_i32 s30, s28, s6
	s_mul_hi_u32 s9, s28, s9
	s_mul_hi_u32 s29, s28, s6
	s_add_u32 s9, s9, s30
	s_addc_u32 s29, 0, s29
	s_add_u32 s9, s9, s27
	s_mul_hi_u32 s7, s26, s6
	s_addc_u32 s9, s29, s25
	s_addc_u32 s7, s7, 0
	s_mul_i32 s6, s26, s6
	s_add_u32 s6, s9, s6
	s_addc_u32 s9, 0, s7
	s_add_u32 s25, s28, s6
	s_cselect_b64 s[6:7], -1, 0
	s_cmp_lg_u64 s[6:7], 0
	s_addc_u32 s9, s26, s9
	s_ashr_i32 s6, s5, 31
	s_add_u32 s26, s8, s6
	s_mov_b32 s7, s6
	s_addc_u32 s27, s5, s6
	s_xor_b64 s[26:27], s[26:27], s[6:7]
	s_mul_i32 s28, s26, s9
	s_mul_hi_u32 s29, s26, s25
	s_mul_hi_u32 s5, s26, s9
	s_add_u32 s28, s29, s28
	s_addc_u32 s5, 0, s5
	s_mul_hi_u32 s30, s27, s25
	s_mul_i32 s25, s27, s25
	s_add_u32 s25, s28, s25
	s_mul_hi_u32 s29, s27, s9
	s_addc_u32 s5, s5, s30
	s_addc_u32 s25, s29, 0
	s_mul_i32 s9, s27, s9
	s_add_u32 s5, s5, s9
	s_addc_u32 s9, 0, s25
	s_mul_i32 s25, s0, s9
	s_mul_hi_u32 s28, s0, s5
	s_add_i32 s25, s28, s25
	s_mul_i32 s28, s1, s5
	s_add_i32 s25, s25, s28
	s_sub_i32 s30, s27, s25
	s_mul_i32 s28, s0, s5
	s_sub_u32 s26, s26, s28
	s_cselect_b64 s[28:29], -1, 0
	s_cmp_lg_u64 s[28:29], 0
	s_subb_u32 s33, s30, s1
	s_sub_u32 s34, s26, s0
	s_cselect_b64 s[30:31], -1, 0
	s_cmp_lg_u64 s[30:31], 0
	s_subb_u32 s30, s33, 0
	s_cmp_ge_u32 s30, s1
	s_cselect_b32 s31, -1, 0
	s_cmp_ge_u32 s34, s0
	s_cselect_b32 s33, -1, 0
	s_cmp_eq_u32 s30, s1
	s_cselect_b32 s30, s33, s31
	s_add_u32 s31, s5, 1
	s_addc_u32 s33, s9, 0
	s_add_u32 s34, s5, 2
	s_addc_u32 s35, s9, 0
	s_cmp_lg_u32 s30, 0
	s_cselect_b32 s30, s34, s31
	s_cselect_b32 s31, s35, s33
	s_cmp_lg_u64 s[28:29], 0
	s_subb_u32 s25, s27, s25
	s_cmp_ge_u32 s25, s1
	s_cselect_b32 s27, -1, 0
	s_cmp_ge_u32 s26, s0
	s_cselect_b32 s0, -1, 0
	s_cmp_eq_u32 s25, s1
	s_cselect_b32 s0, s0, s27
	s_cmp_lg_u32 s0, 0
	s_cselect_b32 s1, s31, s9
	s_cselect_b32 s0, s30, s5
	s_xor_b64 s[6:7], s[6:7], 0
	s_xor_b64 s[0:1], s[0:1], s[6:7]
	s_sub_u32 s6, s0, s6
	s_cbranch_execnz .LBB3_11
.LBB3_10:
	s_sub_i32 s0, 0, s22
	v_readfirstlane_b32 s1, v4
	s_mul_i32 s0, s0, s1
	s_mul_hi_u32 s0, s1, s0
	s_add_i32 s1, s1, s0
	s_mul_hi_u32 s0, s8, s1
	s_mul_i32 s5, s0, s22
	s_sub_i32 s5, s8, s5
	s_add_i32 s1, s0, 1
	s_sub_i32 s6, s5, s22
	s_cmp_ge_u32 s5, s22
	s_cselect_b32 s0, s1, s0
	s_cselect_b32 s5, s6, s5
	s_add_i32 s1, s0, 1
	s_cmp_ge_u32 s5, s22
	s_cselect_b32 s6, s1, s0
.LBB3_11:
	s_cmp_lg_u32 s10, s6
	s_mov_b64 s[8:9], -1
                                        ; implicit-def: $sgpr0_sgpr1
                                        ; implicit-def: $vgpr10
                                        ; implicit-def: $vgpr8
                                        ; implicit-def: $vgpr9
                                        ; implicit-def: $sgpr5
                                        ; implicit-def: $sgpr7
	s_cbranch_scc1 .LBB3_14
; %bb.12:
	s_andn2_b64 vcc, exec, s[8:9]
	s_cbranch_vccz .LBB3_17
.LBB3_13:
	s_andn2_b64 vcc, exec, s[0:1]
	s_cbranch_vccnz .LBB3_18
	s_branch .LBB3_22
.LBB3_14:
	s_add_i32 s0, s24, s22
	s_lshl_b32 s0, s0, 5
	s_add_i32 s0, s0, s15
	s_mov_b32 s1, s4
	s_lshl_b64 s[0:1], s[0:1], 3
	s_add_u32 s8, s18, s0
	s_mul_hi_u32 s0, s6, s12
	s_addc_u32 s9, s19, s1
	s_add_i32 s0, s0, s6
	s_lshr_b32 s5, s0, s13
	s_mul_i32 s0, s5, s14
	s_cmp_eq_u32 s0, s6
	s_cselect_b64 s[0:1], -1, 0
	s_cmp_lt_u32 s5, s11
	s_cselect_b64 s[26:27], -1, 0
	s_or_b64 s[26:27], s[26:27], s[0:1]
	s_mov_b64 s[0:1], -1
	s_and_b64 vcc, exec, s[26:27]
	s_mov_b32 s5, s24
	s_mov_b32 s7, s10
	s_cbranch_vccnz .LBB3_16
; %bb.15:
	s_add_i32 s5, s24, -1
	s_mov_b64 s[0:1], 0
	s_mov_b32 s7, s6
.LBB3_16:
	v_lshl_add_u32 v8, s24, 13, v0
	v_ashrrev_i32_e32 v9, 31, v8
	v_lshlrev_b64 v[8:9], 2, v[8:9]
	v_mov_b32_e32 v10, s21
	v_add_co_u32_e32 v8, vcc, s20, v8
	v_addc_co_u32_e32 v9, vcc, v10, v9, vcc
	global_load_dword v10, v[8:9], off
	s_load_dwordx2 s[8:9], s[8:9], 0x0
	v_max_f32_e32 v8, v7, v7
	s_waitcnt lgkmcnt(0)
	v_max_f32_e64 v9, s8, s8
	v_max_f32_e32 v8, v8, v9
	v_sub_f32_e32 v9, v7, v8
	v_sub_f32_e32 v11, s8, v8
	v_mul_f32_e32 v12, 0x3fb8aa3b, v9
	v_mul_f32_e32 v13, 0x3fb8aa3b, v11
	v_fma_f32 v14, v9, s2, -v12
	v_rndne_f32_e32 v15, v12
	v_fma_f32 v16, v11, s2, -v13
	v_rndne_f32_e32 v17, v13
	v_fmac_f32_e32 v14, 0x32a5705f, v9
	v_sub_f32_e32 v12, v12, v15
	v_fmac_f32_e32 v16, 0x32a5705f, v11
	v_sub_f32_e32 v13, v13, v17
	v_add_f32_e32 v12, v12, v14
	v_cvt_i32_f32_e32 v15, v15
	v_add_f32_e32 v13, v13, v16
	v_exp_f32_e32 v12, v12
	v_cvt_i32_f32_e32 v17, v17
	v_exp_f32_e32 v13, v13
	v_cmp_ngt_f32_e32 vcc, s16, v9
	v_ldexp_f32 v12, v12, v15
	v_cndmask_b32_e32 v12, 0, v12, vcc
	v_ldexp_f32 v13, v13, v17
	v_cmp_ngt_f32_e32 vcc, s16, v11
	v_cndmask_b32_e32 v13, 0, v13, vcc
	v_cmp_nlt_f32_e32 vcc, s17, v9
	v_cndmask_b32_e32 v12, v5, v12, vcc
	v_cmp_nlt_f32_e32 vcc, s17, v11
	v_cndmask_b32_e32 v13, v5, v13, vcc
	v_cmp_le_f32_e32 vcc, s23, v9
	v_cndmask_b32_e32 v12, 0, v12, vcc
	v_cmp_le_f32_e32 vcc, s23, v11
	v_cndmask_b32_e32 v11, 0, v13, vcc
	v_mul_f32_e32 v9, s9, v11
	v_fmac_f32_e32 v9, v6, v12
	s_waitcnt vmcnt(0)
	v_mul_f32_e32 v10, v10, v11
	v_fmac_f32_e32 v10, v3, v12
	s_cbranch_execnz .LBB3_13
.LBB3_17:
	s_add_i32 s5, s24, -1
	s_mov_b32 s7, s10
	v_mov_b32_e32 v9, v6
	v_mov_b32_e32 v8, v7
	s_waitcnt vmcnt(0)
	v_mov_b32_e32 v10, v3
	s_cbranch_execz .LBB3_22
.LBB3_18:
	s_mov_b32 s10, s7
	s_mov_b32 s24, s5
	v_mov_b32_e32 v6, v9
	v_mov_b32_e32 v7, v8
	s_waitcnt vmcnt(0)
	v_mov_b32_e32 v3, v10
	s_mul_hi_i32 s5, s24, s3
	s_cmp_lg_u64 s[4:5], 0
	s_mul_i32 s8, s24, s3
	s_cbranch_scc1 .LBB3_9
.LBB3_19:
                                        ; implicit-def: $sgpr6_sgpr7
	s_branch .LBB3_10
.LBB3_20:
                                        ; implicit-def: $sgpr10_sgpr11
	s_load_dwordx4 s[12:15], s[4:5], 0x44
	s_branch .LBB3_2
.LBB3_21:
                                        ; implicit-def: $sgpr18_sgpr19
	s_branch .LBB3_5
.LBB3_22:
	v_div_scale_f32 v0, s[0:1], v9, v9, v10
	s_waitcnt vmcnt(0)
	v_div_scale_f32 v3, vcc, v10, v9, v10
	v_rcp_f32_e32 v4, v0
	v_fma_f32 v5, -v0, v4, 1.0
	v_fmac_f32_e32 v4, v5, v4
	v_mul_f32_e32 v5, v3, v4
	v_fma_f32 v6, -v0, v5, v3
	v_fmac_f32_e32 v5, v6, v4
	v_fma_f32 v0, -v0, v5, v3
	v_div_fmas_f32 v0, v0, v4, v5
	v_div_fixup_f32 v0, v0, v9, v10
	global_store_dword v[1:2], v0, off
.LBB3_23:
	s_endpgm
	.section	.rodata,"a",@progbits
	.p2align	6, 0x0
	.amdhsa_kernel _ZL33flash_attn_stream_k_fixup_generalILi256ELi4ELi8EEvPfPK15HIP_vector_typeIfLj2EEiiiiS1_IjLj3EES5_S5_S5_
		.amdhsa_group_segment_fixed_size 0
		.amdhsa_private_segment_fixed_size 0
		.amdhsa_kernarg_size 336
		.amdhsa_user_sgpr_count 6
		.amdhsa_user_sgpr_private_segment_buffer 1
		.amdhsa_user_sgpr_dispatch_ptr 0
		.amdhsa_user_sgpr_queue_ptr 0
		.amdhsa_user_sgpr_kernarg_segment_ptr 1
		.amdhsa_user_sgpr_dispatch_id 0
		.amdhsa_user_sgpr_flat_scratch_init 0
		.amdhsa_user_sgpr_private_segment_size 0
		.amdhsa_uses_dynamic_stack 0
		.amdhsa_system_sgpr_private_segment_wavefront_offset 0
		.amdhsa_system_sgpr_workgroup_id_x 1
		.amdhsa_system_sgpr_workgroup_id_y 1
		.amdhsa_system_sgpr_workgroup_id_z 1
		.amdhsa_system_sgpr_workgroup_info 0
		.amdhsa_system_vgpr_workitem_id 0
		.amdhsa_next_free_vgpr 18
		.amdhsa_next_free_sgpr 36
		.amdhsa_reserve_vcc 1
		.amdhsa_reserve_flat_scratch 0
		.amdhsa_float_round_mode_32 0
		.amdhsa_float_round_mode_16_64 0
		.amdhsa_float_denorm_mode_32 3
		.amdhsa_float_denorm_mode_16_64 3
		.amdhsa_dx10_clamp 1
		.amdhsa_ieee_mode 1
		.amdhsa_fp16_overflow 0
		.amdhsa_exception_fp_ieee_invalid_op 0
		.amdhsa_exception_fp_denorm_src 0
		.amdhsa_exception_fp_ieee_div_zero 0
		.amdhsa_exception_fp_ieee_overflow 0
		.amdhsa_exception_fp_ieee_underflow 0
		.amdhsa_exception_fp_ieee_inexact 0
		.amdhsa_exception_int_div_zero 0
	.end_amdhsa_kernel
	.section	.text._ZL33flash_attn_stream_k_fixup_generalILi256ELi4ELi8EEvPfPK15HIP_vector_typeIfLj2EEiiiiS1_IjLj3EES5_S5_S5_,"axG",@progbits,_ZL33flash_attn_stream_k_fixup_generalILi256ELi4ELi8EEvPfPK15HIP_vector_typeIfLj2EEiiiiS1_IjLj3EES5_S5_S5_,comdat
.Lfunc_end3:
	.size	_ZL33flash_attn_stream_k_fixup_generalILi256ELi4ELi8EEvPfPK15HIP_vector_typeIfLj2EEiiiiS1_IjLj3EES5_S5_S5_, .Lfunc_end3-_ZL33flash_attn_stream_k_fixup_generalILi256ELi4ELi8EEvPfPK15HIP_vector_typeIfLj2EEiiiiS1_IjLj3EES5_S5_S5_
                                        ; -- End function
	.set _ZL33flash_attn_stream_k_fixup_generalILi256ELi4ELi8EEvPfPK15HIP_vector_typeIfLj2EEiiiiS1_IjLj3EES5_S5_S5_.num_vgpr, 18
	.set _ZL33flash_attn_stream_k_fixup_generalILi256ELi4ELi8EEvPfPK15HIP_vector_typeIfLj2EEiiiiS1_IjLj3EES5_S5_S5_.num_agpr, 0
	.set _ZL33flash_attn_stream_k_fixup_generalILi256ELi4ELi8EEvPfPK15HIP_vector_typeIfLj2EEiiiiS1_IjLj3EES5_S5_S5_.numbered_sgpr, 36
	.set _ZL33flash_attn_stream_k_fixup_generalILi256ELi4ELi8EEvPfPK15HIP_vector_typeIfLj2EEiiiiS1_IjLj3EES5_S5_S5_.num_named_barrier, 0
	.set _ZL33flash_attn_stream_k_fixup_generalILi256ELi4ELi8EEvPfPK15HIP_vector_typeIfLj2EEiiiiS1_IjLj3EES5_S5_S5_.private_seg_size, 0
	.set _ZL33flash_attn_stream_k_fixup_generalILi256ELi4ELi8EEvPfPK15HIP_vector_typeIfLj2EEiiiiS1_IjLj3EES5_S5_S5_.uses_vcc, 1
	.set _ZL33flash_attn_stream_k_fixup_generalILi256ELi4ELi8EEvPfPK15HIP_vector_typeIfLj2EEiiiiS1_IjLj3EES5_S5_S5_.uses_flat_scratch, 0
	.set _ZL33flash_attn_stream_k_fixup_generalILi256ELi4ELi8EEvPfPK15HIP_vector_typeIfLj2EEiiiiS1_IjLj3EES5_S5_S5_.has_dyn_sized_stack, 0
	.set _ZL33flash_attn_stream_k_fixup_generalILi256ELi4ELi8EEvPfPK15HIP_vector_typeIfLj2EEiiiiS1_IjLj3EES5_S5_S5_.has_recursion, 0
	.set _ZL33flash_attn_stream_k_fixup_generalILi256ELi4ELi8EEvPfPK15HIP_vector_typeIfLj2EEiiiiS1_IjLj3EES5_S5_S5_.has_indirect_call, 0
	.section	.AMDGPU.csdata,"",@progbits
; Kernel info:
; codeLenInByte = 2940
; TotalNumSgprs: 40
; NumVgprs: 18
; ScratchSize: 0
; MemoryBound: 0
; FloatMode: 240
; IeeeMode: 1
; LDSByteSize: 0 bytes/workgroup (compile time only)
; SGPRBlocks: 4
; VGPRBlocks: 4
; NumSGPRsForWavesPerEU: 40
; NumVGPRsForWavesPerEU: 18
; Occupancy: 10
; WaveLimiterHint : 0
; COMPUTE_PGM_RSRC2:SCRATCH_EN: 0
; COMPUTE_PGM_RSRC2:USER_SGPR: 6
; COMPUTE_PGM_RSRC2:TRAP_HANDLER: 0
; COMPUTE_PGM_RSRC2:TGID_X_EN: 1
; COMPUTE_PGM_RSRC2:TGID_Y_EN: 1
; COMPUTE_PGM_RSRC2:TGID_Z_EN: 1
; COMPUTE_PGM_RSRC2:TIDIG_COMP_CNT: 0
	.section	.text._ZL26flash_attn_combine_resultsILi256EEvPKfPK15HIP_vector_typeIfLj2EEPfi,"axG",@progbits,_ZL26flash_attn_combine_resultsILi256EEvPKfPK15HIP_vector_typeIfLj2EEPfi,comdat
	.globl	_ZL26flash_attn_combine_resultsILi256EEvPKfPK15HIP_vector_typeIfLj2EEPfi ; -- Begin function _ZL26flash_attn_combine_resultsILi256EEvPKfPK15HIP_vector_typeIfLj2EEPfi
	.p2align	8
	.type	_ZL26flash_attn_combine_resultsILi256EEvPKfPK15HIP_vector_typeIfLj2EEPfi,@function
_ZL26flash_attn_combine_resultsILi256EEvPKfPK15HIP_vector_typeIfLj2EEPfi: ; @_ZL26flash_attn_combine_resultsILi256EEvPKfPK15HIP_vector_typeIfLj2EEPfi
; %bb.0:
	s_load_dwordx2 s[12:13], s[4:5], 0x20
	s_load_dword s9, s[4:5], 0x18
	s_load_dwordx4 s[0:3], s[4:5], 0x0
	s_load_dwordx2 s[10:11], s[4:5], 0x10
	v_lshlrev_b32_e32 v4, 2, v0
	s_waitcnt lgkmcnt(0)
	s_mul_i32 s4, s12, s8
	s_add_i32 s4, s4, s6
	s_mul_i32 s8, s4, s13
	s_add_i32 s8, s8, s7
	s_lshl_b32 s12, s9, 1
	s_mul_i32 s4, s8, s9
	v_cmp_gt_i32_e32 vcc, s12, v0
	s_and_saveexec_b64 s[6:7], vcc
	s_cbranch_execz .LBB4_3
; %bb.1:
	s_ashr_i32 s5, s4, 31
	s_lshl_b64 s[14:15], s[4:5], 3
	s_add_u32 s2, s2, s14
	s_addc_u32 s3, s3, s15
	v_mov_b32_e32 v2, s3
	v_add_co_u32_e32 v1, vcc, s2, v4
	v_addc_co_u32_e32 v2, vcc, 0, v2, vcc
	v_add_u32_e32 v3, 0, v4
	s_mov_b64 s[2:3], 0
	v_mov_b32_e32 v5, v0
.LBB4_2:                                ; =>This Inner Loop Header: Depth=1
	global_load_dword v6, v[1:2], off
	v_add_co_u32_e32 v1, vcc, 0x400, v1
	v_add_u32_e32 v5, 0x100, v5
	v_addc_co_u32_e32 v2, vcc, 0, v2, vcc
	v_cmp_le_i32_e32 vcc, s12, v5
	s_or_b64 s[2:3], vcc, s[2:3]
	s_waitcnt vmcnt(0)
	ds_write_b32 v3, v6
	v_add_u32_e32 v3, 0x400, v3
	s_andn2_b64 exec, exec, s[2:3]
	s_cbranch_execnz .LBB4_2
.LBB4_3:
	s_or_b64 exec, exec, s[6:7]
	v_mov_b32_e32 v1, 0
	s_waitcnt lgkmcnt(0)
	s_barrier
	ds_read_b32 v5, v1
	s_cmp_lt_i32 s9, 2
	s_cbranch_scc1 .LBB4_11
; %bb.4:
	s_add_i32 s2, s9, -1
	s_add_i32 s3, s9, -2
	s_cmp_lt_u32 s3, 7
	s_cbranch_scc1 .LBB4_8
; %bb.5:
	s_mov_b32 s6, 0
	s_add_i32 s3, 0, 8
	s_and_b32 s5, s2, -8
.LBB4_6:                                ; =>This Inner Loop Header: Depth=1
	v_mov_b32_e32 v3, s3
	ds_read2_b32 v[1:2], v3 offset1:2
	ds_read2_b32 v[6:7], v3 offset0:4 offset1:6
	ds_read2_b32 v[8:9], v3 offset0:8 offset1:10
	;; [unrolled: 1-line block ×3, first 2 shown]
	s_mov_b32 s7, s6
	s_waitcnt lgkmcnt(3)
	v_max3_f32 v1, v5, v1, v2
	s_waitcnt lgkmcnt(2)
	v_max3_f32 v1, v1, v6, v7
	s_add_i32 s3, s3, 64
	s_add_i32 s6, s6, 8
	s_waitcnt lgkmcnt(1)
	v_max3_f32 v1, v1, v8, v9
	s_cmp_eq_u32 s5, s6
	s_waitcnt lgkmcnt(0)
	v_max3_f32 v5, v1, v10, v11
	s_cbranch_scc0 .LBB4_6
; %bb.7:
	s_add_i32 s3, s7, 9
	s_and_b32 s2, s2, 7
	s_cmp_eq_u32 s2, 0
	s_cbranch_scc0 .LBB4_9
	s_branch .LBB4_11
.LBB4_8:
	s_mov_b32 s3, 1
	s_and_b32 s2, s2, 7
	s_cmp_eq_u32 s2, 0
	s_cbranch_scc1 .LBB4_11
.LBB4_9:
	s_lshl_b32 s3, s3, 3
	s_add_i32 s3, s3, 0
.LBB4_10:                               ; =>This Inner Loop Header: Depth=1
	v_mov_b32_e32 v1, s3
	ds_read_b32 v1, v1
	s_waitcnt lgkmcnt(1)
	v_max_f32_e32 v2, v5, v5
	s_add_i32 s3, s3, 8
	s_add_i32 s2, s2, -1
	s_cmp_lg_u32 s2, 0
	s_waitcnt lgkmcnt(0)
	v_max_f32_e32 v1, v1, v1
	v_max_f32_e32 v5, v2, v1
	s_cbranch_scc1 .LBB4_10
.LBB4_11:
	s_cmp_lt_i32 s9, 1
	s_cbranch_scc1 .LBB4_16
; %bb.12:
	s_lshl_b32 s2, s4, 8
	s_ashr_i32 s3, s2, 31
	s_lshl_b64 s[2:3], s[2:3], 2
	s_add_u32 s0, s0, s2
	s_addc_u32 s1, s1, s3
	s_cmp_lt_u32 s9, 8
	s_cbranch_scc1 .LBB4_17
; %bb.13:
	s_and_b32 s2, s9, 0x7ffffff8
	v_or_b32_e32 v1, 0x700, v0
	s_mov_b32 s3, 0
	v_mov_b32_e32 v3, 0
	v_mov_b32_e32 v6, 0
	s_mov_b32 s4, 0x3fb8aa3b
	s_mov_b32 s5, 0xc2ce8ed0
	;; [unrolled: 1-line block ×3, first 2 shown]
	v_mov_b32_e32 v8, 0x7f800000
	v_mov_b32_e32 v9, s1
	s_mov_b32 s7, 0
	v_mov_b32_e32 v7, 0
.LBB4_14:                               ; =>This Inner Loop Header: Depth=1
	v_mov_b32_e32 v16, s3
	ds_read2_b64 v[10:13], v16 offset1:1
	s_add_i32 s7, s7, 8
	s_add_i32 s3, s3, 64
	s_cmp_eq_u32 s2, s7
	s_waitcnt lgkmcnt(0)
	v_sub_f32_e32 v2, v10, v5
	v_mul_f32_e32 v10, 0x3fb8aa3b, v2
	v_fma_f32 v14, v2, s4, -v10
	v_rndne_f32_e32 v15, v10
	v_fmac_f32_e32 v14, 0x32a5705f, v2
	v_sub_f32_e32 v10, v10, v15
	v_add_f32_e32 v10, v10, v14
	v_exp_f32_e32 v10, v10
	v_cvt_i32_f32_e32 v14, v15
	v_cmp_ngt_f32_e32 vcc, s5, v2
	v_ldexp_f32 v10, v10, v14
	v_cndmask_b32_e32 v10, 0, v10, vcc
	v_cmp_nlt_f32_e32 vcc, s6, v2
	v_add_u32_e32 v2, 0xfffff900, v1
	v_lshlrev_b64 v[14:15], 2, v[2:3]
	v_cndmask_b32_e32 v10, v8, v10, vcc
	v_add_co_u32_e32 v14, vcc, s0, v14
	v_addc_co_u32_e32 v15, vcc, v9, v15, vcc
	global_load_dword v2, v[14:15], off
	v_fmac_f32_e32 v7, v10, v11
	s_waitcnt vmcnt(0)
	v_fmac_f32_e32 v6, v2, v10
	v_sub_f32_e32 v2, v12, v5
	v_mul_f32_e32 v10, 0x3fb8aa3b, v2
	v_fma_f32 v11, v2, s4, -v10
	v_rndne_f32_e32 v12, v10
	v_fmac_f32_e32 v11, 0x32a5705f, v2
	v_sub_f32_e32 v10, v10, v12
	v_add_f32_e32 v10, v10, v11
	v_exp_f32_e32 v10, v10
	v_cvt_i32_f32_e32 v11, v12
	v_cmp_ngt_f32_e32 vcc, s5, v2
	v_ldexp_f32 v10, v10, v11
	v_cndmask_b32_e32 v10, 0, v10, vcc
	v_cmp_nlt_f32_e32 vcc, s6, v2
	v_add_u32_e32 v2, 0xfffffa00, v1
	v_cndmask_b32_e32 v12, v8, v10, vcc
	v_lshlrev_b64 v[10:11], 2, v[2:3]
	v_fmac_f32_e32 v7, v12, v13
	v_add_co_u32_e32 v10, vcc, s0, v10
	v_addc_co_u32_e32 v11, vcc, v9, v11, vcc
	global_load_dword v2, v[10:11], off
	s_waitcnt vmcnt(0)
	v_fmac_f32_e32 v6, v2, v12
	ds_read2_b64 v[10:13], v16 offset0:2 offset1:3
	s_waitcnt lgkmcnt(0)
	v_sub_f32_e32 v2, v10, v5
	v_mul_f32_e32 v10, 0x3fb8aa3b, v2
	v_fma_f32 v14, v2, s4, -v10
	v_rndne_f32_e32 v15, v10
	v_fmac_f32_e32 v14, 0x32a5705f, v2
	v_sub_f32_e32 v10, v10, v15
	v_add_f32_e32 v10, v10, v14
	v_exp_f32_e32 v10, v10
	v_cvt_i32_f32_e32 v14, v15
	v_cmp_ngt_f32_e32 vcc, s5, v2
	v_ldexp_f32 v10, v10, v14
	v_cndmask_b32_e32 v10, 0, v10, vcc
	v_cmp_nlt_f32_e32 vcc, s6, v2
	v_add_u32_e32 v2, 0xfffffb00, v1
	v_lshlrev_b64 v[14:15], 2, v[2:3]
	v_cndmask_b32_e32 v10, v8, v10, vcc
	v_add_co_u32_e32 v14, vcc, s0, v14
	v_addc_co_u32_e32 v15, vcc, v9, v15, vcc
	global_load_dword v2, v[14:15], off
	v_fmac_f32_e32 v7, v10, v11
	s_waitcnt vmcnt(0)
	v_fmac_f32_e32 v6, v2, v10
	v_sub_f32_e32 v2, v12, v5
	v_mul_f32_e32 v10, 0x3fb8aa3b, v2
	v_fma_f32 v11, v2, s4, -v10
	v_rndne_f32_e32 v12, v10
	v_fmac_f32_e32 v11, 0x32a5705f, v2
	v_sub_f32_e32 v10, v10, v12
	v_add_f32_e32 v10, v10, v11
	v_exp_f32_e32 v10, v10
	v_cvt_i32_f32_e32 v11, v12
	v_cmp_ngt_f32_e32 vcc, s5, v2
	v_ldexp_f32 v10, v10, v11
	v_cndmask_b32_e32 v10, 0, v10, vcc
	v_cmp_nlt_f32_e32 vcc, s6, v2
	v_add_u32_e32 v2, 0xfffffc00, v1
	v_cndmask_b32_e32 v12, v8, v10, vcc
	v_lshlrev_b64 v[10:11], 2, v[2:3]
	v_fmac_f32_e32 v7, v12, v13
	v_add_co_u32_e32 v10, vcc, s0, v10
	v_addc_co_u32_e32 v11, vcc, v9, v11, vcc
	global_load_dword v2, v[10:11], off
	s_waitcnt vmcnt(0)
	v_fmac_f32_e32 v6, v2, v12
	ds_read2_b64 v[10:13], v16 offset0:4 offset1:5
	;; [unrolled: 46-line block ×3, first 2 shown]
	s_waitcnt lgkmcnt(0)
	v_sub_f32_e32 v2, v10, v5
	v_mul_f32_e32 v10, 0x3fb8aa3b, v2
	v_fma_f32 v14, v2, s4, -v10
	v_rndne_f32_e32 v15, v10
	v_fmac_f32_e32 v14, 0x32a5705f, v2
	v_sub_f32_e32 v10, v10, v15
	v_add_f32_e32 v10, v10, v14
	v_exp_f32_e32 v10, v10
	v_cvt_i32_f32_e32 v14, v15
	v_cmp_ngt_f32_e32 vcc, s5, v2
	v_ldexp_f32 v10, v10, v14
	v_cndmask_b32_e32 v10, 0, v10, vcc
	v_cmp_nlt_f32_e32 vcc, s6, v2
	v_add_u32_e32 v2, 0xffffff00, v1
	v_lshlrev_b64 v[14:15], 2, v[2:3]
	v_cndmask_b32_e32 v10, v8, v10, vcc
	v_add_co_u32_e32 v14, vcc, s0, v14
	v_addc_co_u32_e32 v15, vcc, v9, v15, vcc
	global_load_dword v2, v[14:15], off
	v_fmac_f32_e32 v7, v10, v11
	s_waitcnt vmcnt(0)
	v_fmac_f32_e32 v6, v2, v10
	v_sub_f32_e32 v2, v12, v5
	v_mul_f32_e32 v10, 0x3fb8aa3b, v2
	v_fma_f32 v11, v2, s4, -v10
	v_rndne_f32_e32 v12, v10
	v_fmac_f32_e32 v11, 0x32a5705f, v2
	v_sub_f32_e32 v10, v10, v12
	v_add_f32_e32 v10, v10, v11
	v_exp_f32_e32 v10, v10
	v_cvt_i32_f32_e32 v11, v12
	v_cmp_ngt_f32_e32 vcc, s5, v2
	v_ldexp_f32 v10, v10, v11
	v_cndmask_b32_e32 v10, 0, v10, vcc
	v_cmp_nlt_f32_e32 vcc, s6, v2
	v_mov_b32_e32 v2, v3
	v_cndmask_b32_e32 v12, v8, v10, vcc
	v_lshlrev_b64 v[10:11], 2, v[1:2]
	v_fmac_f32_e32 v7, v12, v13
	v_add_co_u32_e32 v10, vcc, s0, v10
	v_addc_co_u32_e32 v11, vcc, v9, v11, vcc
	global_load_dword v2, v[10:11], off
	v_add_u32_e32 v1, 0x800, v1
	s_waitcnt vmcnt(0)
	v_fmac_f32_e32 v6, v2, v12
	s_cbranch_scc0 .LBB4_14
; %bb.15:
	s_and_b32 s3, s9, 7
	s_cmp_eq_u32 s3, 0
	s_cbranch_scc0 .LBB4_18
	s_branch .LBB4_20
.LBB4_16:
	v_mov_b32_e32 v0, 0x7fc00000
	s_branch .LBB4_21
.LBB4_17:
	s_mov_b32 s2, 0
	v_mov_b32_e32 v6, 0
	v_mov_b32_e32 v7, 0
	s_and_b32 s3, s9, 7
	s_cmp_eq_u32 s3, 0
	s_cbranch_scc1 .LBB4_20
.LBB4_18:
	v_lshl_or_b32 v0, s2, 8, v0
	s_lshl_b32 s2, s2, 3
	s_add_i32 s2, s2, 0
	s_mov_b32 s4, 0x3fb8aa3b
	s_mov_b32 s5, 0xc2ce8ed0
	s_mov_b32 s6, 0x42b17218
	v_mov_b32_e32 v2, 0x7f800000
	v_mov_b32_e32 v1, 0
	;; [unrolled: 1-line block ×3, first 2 shown]
.LBB4_19:                               ; =>This Inner Loop Header: Depth=1
	v_lshlrev_b64 v[8:9], 2, v[0:1]
	s_add_i32 s3, s3, -1
	v_add_co_u32_e32 v8, vcc, s0, v8
	v_addc_co_u32_e32 v9, vcc, v3, v9, vcc
	global_load_dword v10, v[8:9], off
	v_mov_b32_e32 v8, s2
	ds_read_b64 v[8:9], v8
	s_add_i32 s2, s2, 8
	v_add_u32_e32 v0, 0x100, v0
	s_cmp_lg_u32 s3, 0
	s_waitcnt lgkmcnt(0)
	v_sub_f32_e32 v8, v8, v5
	v_mul_f32_e32 v11, 0x3fb8aa3b, v8
	v_fma_f32 v12, v8, s4, -v11
	v_rndne_f32_e32 v13, v11
	v_fmac_f32_e32 v12, 0x32a5705f, v8
	v_sub_f32_e32 v11, v11, v13
	v_add_f32_e32 v11, v11, v12
	v_cvt_i32_f32_e32 v13, v13
	v_exp_f32_e32 v11, v11
	v_cmp_ngt_f32_e32 vcc, s5, v8
	v_ldexp_f32 v11, v11, v13
	v_cndmask_b32_e32 v11, 0, v11, vcc
	v_cmp_nlt_f32_e32 vcc, s6, v8
	v_cndmask_b32_e32 v8, v2, v11, vcc
	v_fmac_f32_e32 v7, v8, v9
	s_waitcnt vmcnt(0)
	v_fmac_f32_e32 v6, v10, v8
	s_cbranch_scc1 .LBB4_19
.LBB4_20:
	v_div_scale_f32 v0, s[0:1], v7, v7, v6
	v_div_scale_f32 v1, vcc, v6, v7, v6
	v_rcp_f32_e32 v2, v0
	v_fma_f32 v3, -v0, v2, 1.0
	v_fmac_f32_e32 v2, v3, v2
	v_mul_f32_e32 v3, v1, v2
	s_waitcnt lgkmcnt(0)
	v_fma_f32 v5, -v0, v3, v1
	v_fmac_f32_e32 v3, v5, v2
	v_fma_f32 v0, -v0, v3, v1
	v_div_fmas_f32 v0, v0, v2, v3
	v_div_fixup_f32 v0, v0, v7, v6
.LBB4_21:
	s_lshl_b32 s0, s8, 8
	s_ashr_i32 s1, s0, 31
	s_lshl_b64 s[0:1], s[0:1], 2
	s_add_u32 s0, s10, s0
	s_addc_u32 s1, s11, s1
	global_store_dword v4, v0, s[0:1]
	s_endpgm
	.section	.rodata,"a",@progbits
	.p2align	6, 0x0
	.amdhsa_kernel _ZL26flash_attn_combine_resultsILi256EEvPKfPK15HIP_vector_typeIfLj2EEPfi
		.amdhsa_group_segment_fixed_size 0
		.amdhsa_private_segment_fixed_size 0
		.amdhsa_kernarg_size 288
		.amdhsa_user_sgpr_count 6
		.amdhsa_user_sgpr_private_segment_buffer 1
		.amdhsa_user_sgpr_dispatch_ptr 0
		.amdhsa_user_sgpr_queue_ptr 0
		.amdhsa_user_sgpr_kernarg_segment_ptr 1
		.amdhsa_user_sgpr_dispatch_id 0
		.amdhsa_user_sgpr_flat_scratch_init 0
		.amdhsa_user_sgpr_private_segment_size 0
		.amdhsa_uses_dynamic_stack 0
		.amdhsa_system_sgpr_private_segment_wavefront_offset 0
		.amdhsa_system_sgpr_workgroup_id_x 1
		.amdhsa_system_sgpr_workgroup_id_y 1
		.amdhsa_system_sgpr_workgroup_id_z 1
		.amdhsa_system_sgpr_workgroup_info 0
		.amdhsa_system_vgpr_workitem_id 0
		.amdhsa_next_free_vgpr 17
		.amdhsa_next_free_sgpr 16
		.amdhsa_reserve_vcc 1
		.amdhsa_reserve_flat_scratch 0
		.amdhsa_float_round_mode_32 0
		.amdhsa_float_round_mode_16_64 0
		.amdhsa_float_denorm_mode_32 3
		.amdhsa_float_denorm_mode_16_64 3
		.amdhsa_dx10_clamp 1
		.amdhsa_ieee_mode 1
		.amdhsa_fp16_overflow 0
		.amdhsa_exception_fp_ieee_invalid_op 0
		.amdhsa_exception_fp_denorm_src 0
		.amdhsa_exception_fp_ieee_div_zero 0
		.amdhsa_exception_fp_ieee_overflow 0
		.amdhsa_exception_fp_ieee_underflow 0
		.amdhsa_exception_fp_ieee_inexact 0
		.amdhsa_exception_int_div_zero 0
	.end_amdhsa_kernel
	.section	.text._ZL26flash_attn_combine_resultsILi256EEvPKfPK15HIP_vector_typeIfLj2EEPfi,"axG",@progbits,_ZL26flash_attn_combine_resultsILi256EEvPKfPK15HIP_vector_typeIfLj2EEPfi,comdat
.Lfunc_end4:
	.size	_ZL26flash_attn_combine_resultsILi256EEvPKfPK15HIP_vector_typeIfLj2EEPfi, .Lfunc_end4-_ZL26flash_attn_combine_resultsILi256EEvPKfPK15HIP_vector_typeIfLj2EEPfi
                                        ; -- End function
	.set _ZL26flash_attn_combine_resultsILi256EEvPKfPK15HIP_vector_typeIfLj2EEPfi.num_vgpr, 17
	.set _ZL26flash_attn_combine_resultsILi256EEvPKfPK15HIP_vector_typeIfLj2EEPfi.num_agpr, 0
	.set _ZL26flash_attn_combine_resultsILi256EEvPKfPK15HIP_vector_typeIfLj2EEPfi.numbered_sgpr, 16
	.set _ZL26flash_attn_combine_resultsILi256EEvPKfPK15HIP_vector_typeIfLj2EEPfi.num_named_barrier, 0
	.set _ZL26flash_attn_combine_resultsILi256EEvPKfPK15HIP_vector_typeIfLj2EEPfi.private_seg_size, 0
	.set _ZL26flash_attn_combine_resultsILi256EEvPKfPK15HIP_vector_typeIfLj2EEPfi.uses_vcc, 1
	.set _ZL26flash_attn_combine_resultsILi256EEvPKfPK15HIP_vector_typeIfLj2EEPfi.uses_flat_scratch, 0
	.set _ZL26flash_attn_combine_resultsILi256EEvPKfPK15HIP_vector_typeIfLj2EEPfi.has_dyn_sized_stack, 0
	.set _ZL26flash_attn_combine_resultsILi256EEvPKfPK15HIP_vector_typeIfLj2EEPfi.has_recursion, 0
	.set _ZL26flash_attn_combine_resultsILi256EEvPKfPK15HIP_vector_typeIfLj2EEPfi.has_indirect_call, 0
	.section	.AMDGPU.csdata,"",@progbits
; Kernel info:
; codeLenInByte = 1908
; TotalNumSgprs: 20
; NumVgprs: 17
; ScratchSize: 0
; MemoryBound: 0
; FloatMode: 240
; IeeeMode: 1
; LDSByteSize: 0 bytes/workgroup (compile time only)
; SGPRBlocks: 2
; VGPRBlocks: 4
; NumSGPRsForWavesPerEU: 20
; NumVGPRsForWavesPerEU: 17
; Occupancy: 10
; WaveLimiterHint : 0
; COMPUTE_PGM_RSRC2:SCRATCH_EN: 0
; COMPUTE_PGM_RSRC2:USER_SGPR: 6
; COMPUTE_PGM_RSRC2:TRAP_HANDLER: 0
; COMPUTE_PGM_RSRC2:TGID_X_EN: 1
; COMPUTE_PGM_RSRC2:TGID_Y_EN: 1
; COMPUTE_PGM_RSRC2:TGID_Z_EN: 1
; COMPUTE_PGM_RSRC2:TIDIG_COMP_CNT: 0
	.section	.text._ZL15flash_attn_tileILi256ELi256ELi2ELi8ELb0EEvPKcS1_S1_S1_S1_PKiPfP15HIP_vector_typeIfLj2EEffffjfiS5_IjLj3EEiiiiiiiiiiiliiliiiiil,"axG",@progbits,_ZL15flash_attn_tileILi256ELi256ELi2ELi8ELb0EEvPKcS1_S1_S1_S1_PKiPfP15HIP_vector_typeIfLj2EEffffjfiS5_IjLj3EEiiiiiiiiiiiliiliiiiil,comdat
	.globl	_ZL15flash_attn_tileILi256ELi256ELi2ELi8ELb0EEvPKcS1_S1_S1_S1_PKiPfP15HIP_vector_typeIfLj2EEffffjfiS5_IjLj3EEiiiiiiiiiiiliiliiiiil ; -- Begin function _ZL15flash_attn_tileILi256ELi256ELi2ELi8ELb0EEvPKcS1_S1_S1_S1_PKiPfP15HIP_vector_typeIfLj2EEffffjfiS5_IjLj3EEiiiiiiiiiiiliiliiiiil
	.p2align	8
	.type	_ZL15flash_attn_tileILi256ELi256ELi2ELi8ELb0EEvPKcS1_S1_S1_S1_PKiPfP15HIP_vector_typeIfLj2EEffffjfiS5_IjLj3EEiiiiiiiiiiiliiliiiiil,@function
_ZL15flash_attn_tileILi256ELi256ELi2ELi8ELb0EEvPKcS1_S1_S1_S1_PKiPfP15HIP_vector_typeIfLj2EEffffjfiS5_IjLj3EEiiiiiiiiiiiliiliiiiil: ; @_ZL15flash_attn_tileILi256ELi256ELi2ELi8ELb0EEvPKcS1_S1_S1_S1_PKiPfP15HIP_vector_typeIfLj2EEffffjfiS5_IjLj3EEiiiiiiiiiiiliiliiiiil
; %bb.0:
	s_load_dwordx4 s[24:27], s[4:5], 0x5c
	s_load_dwordx2 s[28:29], s[4:5], 0x80
	s_mov_b64 s[30:31], 0
	s_waitcnt lgkmcnt(0)
	s_ashr_i32 s0, s27, 31
	s_lshr_b32 s0, s0, 29
	s_add_i32 s0, s27, s0
	s_ashr_i32 s0, s0, 3
	v_cvt_f32_u32_e32 v2, s0
	s_sub_i32 s1, 0, s0
	v_rcp_iflag_f32_e32 v2, v2
	v_mul_f32_e32 v2, 0x4f7ffffe, v2
	v_cvt_u32_f32_e32 v2, v2
	v_readfirstlane_b32 s2, v2
	s_mul_i32 s1, s1, s2
	s_mul_hi_u32 s1, s2, s1
	s_add_i32 s2, s2, s1
	s_mul_hi_u32 s1, s8, s2
	s_mul_i32 s2, s1, s0
	s_sub_i32 s2, s8, s2
	s_add_i32 s3, s1, 1
	s_sub_i32 s9, s2, s0
	s_cmp_ge_u32 s2, s0
	s_cselect_b32 s1, s3, s1
	s_cselect_b32 s2, s9, s2
	s_add_i32 s3, s1, 1
	s_cmp_ge_u32 s2, s0
	s_cselect_b32 s33, s3, s1
	s_abs_i32 s0, s29
	v_cvt_f32_u32_e32 v2, s0
	s_lshl_b32 s1, s8, 3
	s_mul_i32 s8, s33, s27
	s_xor_b32 s2, s27, s29
	v_rcp_iflag_f32_e32 v2, v2
	s_sub_i32 s9, 0, s0
	s_sub_i32 s29, s1, s8
	s_abs_i32 s3, s27
	v_mul_f32_e32 v2, 0x4f7ffffe, v2
	v_cvt_u32_f32_e32 v2, v2
	s_ashr_i32 s2, s2, 31
	v_readfirstlane_b32 s1, v2
	s_mul_i32 s9, s9, s1
	s_mul_hi_u32 s8, s1, s9
	s_add_i32 s1, s1, s8
	s_mul_hi_u32 s1, s3, s1
	s_mul_i32 s8, s1, s0
	s_sub_i32 s3, s3, s8
	s_add_i32 s9, s1, 1
	s_sub_i32 s8, s3, s0
	s_cmp_ge_u32 s3, s0
	s_cselect_b32 s1, s9, s1
	s_cselect_b32 s3, s8, s3
	s_add_i32 s8, s1, 1
	s_cmp_ge_u32 s3, s0
	s_cselect_b32 s0, s8, s1
	s_xor_b32 s0, s0, s2
	s_sub_i32 s35, s0, s2
	s_abs_i32 s34, s35
	v_cvt_f32_u32_e32 v2, s34
	s_load_dwordx16 s[8:23], s[4:5], 0x0
	s_load_dwordx2 s[0:1], s[4:5], 0xb8
	v_rcp_iflag_f32_e32 v2, v2
	s_waitcnt lgkmcnt(0)
	s_cmp_eq_u64 s[14:15], 0
	v_mul_f32_e32 v2, 0x4f7ffffe, v2
	v_cvt_u32_f32_e32 v2, v2
	v_readfirstlane_b32 s36, v2
	s_cbranch_scc1 .LBB5_2
; %bb.1:
	s_abs_i32 s0, s0
	v_cvt_f32_u32_e32 v2, s0
	s_sub_i32 s37, 0, s0
	s_abs_i32 s31, s33
	s_ashr_i32 s30, s33, 31
	v_rcp_iflag_f32_e32 v2, v2
	s_load_dwordx2 s[2:3], s[4:5], 0xc8
	v_mul_f32_e32 v2, 0x4f7ffffe, v2
	v_cvt_u32_f32_e32 v2, v2
	v_readfirstlane_b32 s38, v2
	s_mul_i32 s37, s37, s38
	s_mul_hi_u32 s37, s38, s37
	s_add_i32 s38, s38, s37
	s_mul_hi_u32 s37, s31, s38
	s_mul_i32 s37, s37, s0
	s_sub_i32 s31, s31, s37
	s_sub_i32 s37, s31, s0
	s_cmp_ge_u32 s31, s0
	s_cselect_b32 s31, s37, s31
	s_sub_i32 s37, s31, s0
	s_cmp_ge_u32 s31, s0
	s_cselect_b32 s0, s37, s31
	s_xor_b32 s0, s0, s30
	s_sub_i32 s0, s0, s30
	s_ashr_i32 s30, s0, 31
	s_waitcnt lgkmcnt(0)
	s_mul_hi_u32 s31, s2, s0
	s_mul_i32 s30, s2, s30
	s_mul_i32 s3, s3, s0
	s_add_i32 s30, s31, s30
	s_add_i32 s3, s30, s3
	s_mul_i32 s0, s2, s0
	s_add_u32 s30, s14, s0
	s_addc_u32 s31, s15, s3
.LBB5_2:
	v_lshrrev_b32_e32 v2, 2, v1
	s_load_dwordx4 s[40:43], s[4:5], 0x70
	v_lshl_add_u32 v22, s6, 1, v2
	v_mul_hi_u32 v2, s24, v22
	v_lshlrev_b32_e32 v10, 4, v0
	s_waitcnt lgkmcnt(0)
	s_mul_i32 s0, s33, s42
	v_add_u32_e32 v2, v22, v2
	s_ashr_i32 s3, s0, 31
	v_lshrrev_b32_e32 v2, s25, v2
	s_mul_i32 s2, s29, s41
	s_add_u32 s0, s8, s0
	v_mul_lo_u32 v2, v2, s26
	s_addc_u32 s3, s9, s3
	s_ashr_i32 s8, s2, 31
	s_add_u32 s0, s0, s2
	s_addc_u32 s14, s3, s8
	s_ashr_i32 s3, s41, 31
	s_mov_b32 s2, s41
	s_ashr_i32 s41, s40, 31
	v_sub_u32_e32 v2, v22, v2
	s_lshr_b64 s[8:9], s[40:41], 2
	v_mad_u64_u32 v[4:5], s[8:9], s8, v2, 0
	s_lshr_b32 s8, s41, 2
	v_mov_b32_e32 v8, s14
	v_mov_b32_e32 v3, v5
	v_mad_u64_u32 v[5:6], s[8:9], s8, v2, v[3:4]
	v_lshlrev_b32_e32 v3, 1, v1
	s_lshr_b64 s[8:9], s[2:3], 2
	v_and_b32_e32 v23, 6, v3
	v_mad_u64_u32 v[6:7], s[14:15], s8, v23, 0
	v_lshlrev_b64 v[4:5], 2, v[4:5]
	v_or_b32_e32 v21, 1, v3
	v_add_co_u32_e32 v9, vcc, s0, v4
	v_mov_b32_e32 v4, v7
	s_lshr_b32 s0, s3, 2
	v_addc_co_u32_e32 v8, vcc, v8, v5, vcc
	v_mad_u64_u32 v[4:5], s[2:3], s0, v23, v[4:5]
	v_and_b32_e32 v11, 7, v21
	v_mad_u64_u32 v[13:14], s[2:3], s8, v11, 0
	v_mov_b32_e32 v7, v4
	v_lshlrev_b64 v[4:5], 2, v[6:7]
	v_mov_b32_e32 v6, v14
	v_mad_u64_u32 v[14:15], s[2:3], s0, v11, v[6:7]
	v_add_co_u32_e32 v17, vcc, v9, v10
	v_addc_co_u32_e32 v18, vcc, 0, v8, vcc
	v_add_co_u32_e32 v15, vcc, v17, v4
	v_addc_co_u32_e32 v16, vcc, v18, v5, vcc
	v_lshlrev_b64 v[13:14], 2, v[13:14]
	global_load_dwordx4 v[5:8], v[15:16], off
	global_load_dwordx4 v[9:12], v[15:16], off offset:512
	v_add_co_u32_e32 v24, vcc, v17, v13
	v_addc_co_u32_e32 v25, vcc, v18, v14, vcc
	global_load_dwordx4 v[13:16], v[24:25], off
	global_load_dwordx4 v[17:20], v[24:25], off offset:512
	s_load_dword s0, s[4:5], 0x40
	v_lshlrev_b32_e32 v25, 3, v0
	v_lshlrev_b32_e32 v4, 10, v1
	v_add_u32_e32 v24, 0x2200, v25
	v_add_u32_e32 v26, v24, v4
	v_lshl_add_u32 v21, v21, 9, v24
	s_cmp_eq_u64 s[18:19], 0
	s_waitcnt vmcnt(3) lgkmcnt(0)
	v_fma_mixlo_f16 v5, s0, v5, 0
	v_fma_mixlo_f16 v6, s0, v6, 0
	;; [unrolled: 1-line block ×4, first 2 shown]
	s_waitcnt vmcnt(2)
	v_fma_mixlo_f16 v9, s0, v9, 0
	v_fma_mixlo_f16 v10, s0, v10, 0
	;; [unrolled: 1-line block ×4, first 2 shown]
	v_lshlrev_b32_e32 v6, 16, v6
	v_and_b32_e32 v5, 0xffff, v5
	v_lshlrev_b32_e32 v8, 16, v8
	v_and_b32_e32 v7, 0xffff, v7
	;; [unrolled: 2-line block ×4, first 2 shown]
	v_or_b32_e32 v5, v6, v5
	v_or3_b32 v6, v8, v7, 0
	v_or_b32_e32 v7, v10, v9
	s_waitcnt vmcnt(1)
	v_fma_mixlo_f16 v13, s0, v13, 0
	v_fma_mixlo_f16 v14, s0, v14, 0
	s_waitcnt vmcnt(0)
	v_fma_mixlo_f16 v17, s0, v17, 0
	v_fma_mixlo_f16 v18, s0, v18, 0
	v_or3_b32 v8, v12, v11, 0
	v_or3_b32 v5, 0, 0, v5
	;; [unrolled: 1-line block ×3, first 2 shown]
	v_fma_mixlo_f16 v15, s0, v15, 0
	v_fma_mixlo_f16 v16, s0, v16, 0
	v_lshlrev_b32_e32 v14, 16, v14
	v_and_b32_e32 v13, 0xffff, v13
	v_lshlrev_b32_e32 v18, 16, v18
	ds_write2_b64 v26, v[5:6], v[7:8] offset1:32
	v_and_b32_e32 v5, 0xffff, v17
	v_fma_mixlo_f16 v6, s0, v19, 0
	v_fma_mixlo_f16 v7, s0, v20, 0
	v_lshlrev_b32_e32 v16, 16, v16
	v_and_b32_e32 v15, 0xffff, v15
	v_or_b32_e32 v9, v14, v13
	v_or_b32_e32 v5, v18, v5
	v_lshlrev_b32_e32 v7, 16, v7
	v_and_b32_e32 v6, 0xffff, v6
	v_or3_b32 v10, v16, v15, 0
	v_or3_b32 v9, 0, 0, v9
	;; [unrolled: 1-line block ×4, first 2 shown]
	ds_write2_b64 v21, v[9:10], v[5:6] offset1:32
	s_waitcnt lgkmcnt(0)
	s_barrier
	s_cbranch_scc1 .LBB5_4
; %bb.3:
	s_load_dword s0, s[4:5], 0xd0
	s_mov_b32 s3, 0
	s_waitcnt lgkmcnt(0)
	s_mul_i32 s0, s0, s33
	s_add_i32 s2, s0, s6
	s_lshl_b64 s[2:3], s[2:3], 2
	s_add_u32 s2, s18, s2
	s_addc_u32 s3, s19, s3
	s_load_dword s28, s[2:3], 0x0
.LBB5_4:
	s_lshl_b32 s6, s7, 5
	v_lshlrev_b32_e32 v24, 2, v0
	s_waitcnt lgkmcnt(0)
	s_cmp_lt_i32 s6, s28
	v_mbcnt_lo_u32_b32 v10, -1, 0
	s_cbranch_scc1 .LBB5_7
; %bb.5:
	v_mbcnt_hi_u32_b32 v26, -1, v10
	v_and_b32_e32 v5, 0x60, v26
	v_add_u32_e32 v27, 32, v5
	v_xor_b32_e32 v32, 16, v26
	v_xor_b32_e32 v31, 8, v26
	;; [unrolled: 1-line block ×5, first 2 shown]
	s_cbranch_execz .LBB5_8
; %bb.6:
	v_mov_b32_e32 v52, 0
	v_mov_b32_e32 v18, 0
	v_mov_b32_e32 v15, 0xfeffffff
	v_mov_b32_e32 v14, 0xfeffffff
	v_mov_b32_e32 v19, 0
	v_mov_b32_e32 v55, 0
	v_mov_b32_e32 v53, 0
	v_mov_b32_e32 v54, 0
	v_mov_b32_e32 v49, 0
	v_mov_b32_e32 v51, 0
	v_mov_b32_e32 v50, 0
	v_mov_b32_e32 v43, 0
	s_branch .LBB5_10
.LBB5_7:
                                        ; implicit-def: $vgpr26
                                        ; implicit-def: $vgpr27
                                        ; implicit-def: $vgpr32
                                        ; implicit-def: $vgpr31
                                        ; implicit-def: $vgpr30
                                        ; implicit-def: $vgpr29
                                        ; implicit-def: $vgpr28
.LBB5_8:
	s_sub_i32 s0, 0, s34
	s_mul_i32 s0, s0, s36
	s_mul_hi_u32 s0, s36, s0
	s_add_i32 s0, s36, s0
	s_load_dwordx2 s[2:3], s[4:5], 0x8c
	s_load_dwordx4 s[36:39], s[4:5], 0x98
	s_ashr_i32 s24, s35, 31
	s_abs_i32 s18, s29
	s_ashr_i32 s19, s29, 31
	s_waitcnt lgkmcnt(0)
	s_ashr_i32 s15, s2, 2
	s_ashr_i32 s2, s33, 31
	s_mul_hi_u32 s25, s36, s33
	s_mul_i32 s35, s36, s2
	s_add_i32 s25, s25, s35
	s_mul_i32 s35, s37, s33
	s_ashr_i32 s14, s38, 2
	s_ashr_i32 s1, s1, 1
	s_add_i32 s25, s25, s35
	s_mul_i32 s35, s36, s33
	s_mul_hi_u32 s0, s18, s0
	s_add_u32 s10, s10, s35
	s_addc_u32 s11, s11, s25
	s_xor_b32 s19, s19, s24
	s_mul_i32 s24, s0, s34
	s_sub_i32 s18, s18, s24
	s_add_i32 s24, s0, 1
	s_sub_i32 s25, s18, s34
	s_cmp_ge_u32 s18, s34
	s_cselect_b32 s0, s24, s0
	s_cselect_b32 s18, s25, s18
	s_add_i32 s24, s0, 1
	s_cmp_ge_u32 s18, s34
	s_load_dwordx2 s[8:9], s[4:5], 0xa8
	s_cselect_b32 s0, s24, s0
	s_xor_b32 s0, s0, s19
	s_sub_i32 s0, s0, s19
	s_mul_i32 s3, s0, s3
	s_ashr_i32 s19, s3, 31
	s_add_u32 s18, s10, s3
	s_waitcnt lgkmcnt(0)
	s_mul_hi_u32 s3, s8, s33
	s_mul_i32 s2, s8, s2
	s_addc_u32 s19, s11, s19
	s_add_i32 s2, s3, s2
	s_mul_i32 s3, s9, s33
	s_add_i32 s2, s2, s3
	s_mul_i32 s3, s8, s33
	s_add_u32 s3, s12, s3
	s_mul_i32 s0, s0, s39
	s_addc_u32 s2, s13, s2
	s_ashr_i32 s8, s0, 31
	v_lshrrev_b32_e32 v5, 4, v0
	v_and_b32_e32 v9, 60, v24
	s_add_u32 s12, s3, s0
	v_add_u32_e32 v3, v5, v3
	v_lshlrev_b32_e32 v5, 2, v9
	s_movk_i32 s0, 0x110
	v_mul_lo_u32 v7, s15, v3
	v_mad_u32_u24 v33, v3, s0, v5
	v_mad_u64_u32 v[5:6], s[0:1], v2, s1, v[0:1]
	v_mul_lo_u32 v2, s14, v1
	v_lshl_add_u32 v11, s15, 4, v7
	v_mov_b32_e32 v3, 0x4200
	s_addc_u32 s13, s2, s8
	v_lshl_add_u32 v15, s14, 3, v2
	v_ashrrev_i32_e32 v8, 31, v7
	v_ashrrev_i32_e32 v12, 31, v11
	v_lshl_add_u32 v37, v1, 7, v3
	v_lshlrev_b32_e32 v38, 2, v24
	v_ashrrev_i32_e32 v3, 31, v2
	v_ashrrev_i32_e32 v16, 31, v15
	v_mbcnt_hi_u32_b32 v26, -1, v10
	v_lshl_add_u32 v39, v1, 9, v38
	s_add_u32 s10, s4, 0xd0
	v_lshlrev_b64 v[6:7], 2, v[7:8]
	v_lshlrev_b32_e32 v41, 2, v9
	v_lshlrev_b64 v[8:9], 2, v[11:12]
	v_and_b32_e32 v1, 0x60, v26
	v_lshlrev_b64 v[10:11], 2, v[2:3]
	v_lshlrev_b64 v[12:13], 2, v[15:16]
	v_mov_b32_e32 v43, 0
	v_add_u32_e32 v34, 0x1100, v33
	v_mul_u32_u24_e32 v35, 0x110, v0
	v_add_u32_e32 v36, 0x2200, v4
	v_add_u32_e32 v40, 0x1000, v39
	s_addc_u32 s11, s5, 0
	v_mov_b32_e32 v14, 0xfeffffff
	v_mov_b32_e32 v42, s31
	v_add_u32_e32 v27, 32, v1
	v_xor_b32_e32 v32, 16, v26
	v_xor_b32_e32 v31, 8, v26
	;; [unrolled: 1-line block ×5, first 2 shown]
	s_mov_b32 s24, 0x3fb8aa3b
	s_mov_b32 s25, 0xc2ce8ed0
	s_mov_b32 s31, 0x42b17218
	v_mov_b32_e32 v44, 0x7f800000
	s_mov_b32 s34, 0x10001
	v_add_u32_e32 v45, v37, v24
	v_add_u32_e32 v46, 0x800, v25
	;; [unrolled: 1-line block ×4, first 2 shown]
	v_mov_b32_e32 v50, 0
	v_mov_b32_e32 v51, 0
	;; [unrolled: 1-line block ×10, first 2 shown]
.LBB5_9:                                ; =>This Inner Loop Header: Depth=1
	s_mul_hi_i32 s1, s6, s15
	s_mul_i32 s0, s6, s15
	v_add_u32_e32 v1, s6, v5
	v_cmp_lt_i32_e32 vcc, v32, v27
	s_lshl_b64 s[0:1], s[0:1], 2
	v_ashrrev_i32_e32 v2, 31, v1
	v_cndmask_b32_e32 v3, v26, v32, vcc
	v_cmp_lt_i32_e32 vcc, v31, v27
	s_add_u32 s8, s18, s0
	v_lshlrev_b64 v[1:2], 1, v[1:2]
	v_cndmask_b32_e32 v4, v26, v31, vcc
	v_cmp_lt_i32_e32 vcc, v30, v27
	s_addc_u32 s0, s19, s1
	v_mov_b32_e32 v58, v14
	v_cndmask_b32_e32 v14, v26, v30, vcc
	v_cmp_lt_i32_e32 vcc, v29, v27
	v_lshlrev_b32_e32 v66, 2, v3
	v_lshlrev_b32_e32 v65, 2, v4
	v_mov_b32_e32 v3, s0
	v_mov_b32_e32 v4, s0
	v_add_co_u32_e64 v1, s[0:1], s30, v1
	v_mov_b32_e32 v57, v15
	v_cndmask_b32_e32 v15, v26, v29, vcc
	v_addc_co_u32_e64 v2, s[0:1], v42, v2, s[0:1]
	v_cmp_lt_i32_e32 vcc, v28, v27
	v_lshlrev_b32_e32 v63, 2, v15
	v_add_co_u32_e64 v15, s[0:1], s8, v6
	v_cndmask_b32_e32 v16, v26, v28, vcc
	v_lshlrev_b32_e32 v64, 2, v14
	v_add_co_u32_e32 v14, vcc, s8, v8
	v_addc_co_u32_e64 v3, s[0:1], v3, v7, s[0:1]
	v_addc_co_u32_e32 v4, vcc, v4, v9, vcc
	v_add_co_u32_e64 v81, s[0:1], v15, v41
	v_add_co_u32_e32 v14, vcc, v14, v41
	v_addc_co_u32_e64 v82, s[0:1], 0, v3, s[0:1]
	v_addc_co_u32_e32 v15, vcc, 0, v4, vcc
	global_load_dwordx4 v[69:72], v[81:82], off
	global_load_dwordx4 v[73:76], v[14:15], off
	s_mul_hi_i32 s3, s6, s14
	s_mul_i32 s2, s6, s14
	s_lshl_b64 s[2:3], s[2:3], 2
	s_add_u32 s2, s12, s2
	s_addc_u32 s3, s13, s3
	v_lshlrev_b32_e32 v62, 2, v16
	s_or_b32 s8, s6, 16
	v_mov_b32_e32 v3, s3
	v_add_co_u32_e32 v4, vcc, s2, v10
	v_mov_b32_e32 v16, s3
	v_add_co_u32_e64 v17, s[0:1], s2, v12
	s_mul_hi_i32 s3, s8, s14
	s_mul_i32 s2, s8, s14
	v_addc_co_u32_e32 v3, vcc, v3, v11, vcc
	v_addc_co_u32_e64 v16, vcc, v16, v13, s[0:1]
	v_add_co_u32_e64 v20, s[0:1], v4, v38
	s_lshl_b64 s[2:3], s[2:3], 2
	v_addc_co_u32_e64 v21, s[0:1], 0, v3, s[0:1]
	v_mov_b32_e32 v61, v18
	v_add_co_u32_e32 v18, vcc, v17, v38
	s_add_u32 s0, s12, s2
	v_mov_b32_e32 v56, v19
	v_addc_co_u32_e32 v19, vcc, 0, v16, vcc
	s_addc_u32 s1, s13, s3
	v_mov_b32_e32 v3, s1
	v_mov_b32_e32 v4, s1
	v_add_co_u32_e32 v16, vcc, s0, v12
	v_add_co_u32_e64 v17, s[0:1], s0, v10
	v_addc_co_u32_e64 v77, s[0:1], v3, v11, s[0:1]
	v_addc_co_u32_e32 v4, vcc, v4, v13, vcc
	v_add_co_u32_e32 v3, vcc, v16, v38
	v_add_co_u32_e64 v16, s[0:1], v17, v38
	v_addc_co_u32_e64 v17, s[0:1], 0, v77, s[0:1]
	s_waitcnt vmcnt(1)
	ds_write_b128 v33, v[69:72]
	s_waitcnt vmcnt(0)
	ds_write_b128 v34, v[73:76]
	s_waitcnt lgkmcnt(0)
	s_barrier
	ds_read_b128 v[69:72], v35
	ds_read_b128 v[73:76], v36
	ds_read_b128 v[77:80], v36 offset:512
	v_mov_b32_e32 v59, 0
	s_waitcnt lgkmcnt(1)
	;;#ASMSTART
	v_dot2_f32_f16 v59, v69, v73, v59
	;;#ASMEND
	;;#ASMSTART
	v_dot2_f32_f16 v59, v70, v74, v59
	;;#ASMEND
	v_mov_b32_e32 v60, 0
	;;#ASMSTART
	v_dot2_f32_f16 v59, v71, v75, v59
	;;#ASMEND
	;;#ASMSTART
	v_dot2_f32_f16 v59, v72, v76, v59
	;;#ASMEND
	s_waitcnt lgkmcnt(0)
	;;#ASMSTART
	v_dot2_f32_f16 v60, v69, v77, v60
	;;#ASMEND
	;;#ASMSTART
	v_dot2_f32_f16 v60, v70, v78, v60
	;;#ASMEND
	;;#ASMSTART
	v_dot2_f32_f16 v60, v71, v79, v60
	;;#ASMEND
	;;#ASMSTART
	v_dot2_f32_f16 v60, v72, v80, v60
	;;#ASMEND
	ds_read_b128 v[69:72], v35 offset:16
	ds_read_b128 v[73:76], v36 offset:16
	ds_read_b128 v[77:80], v36 offset:528
	s_waitcnt lgkmcnt(1)
	;;#ASMSTART
	v_dot2_f32_f16 v59, v69, v73, v59
	;;#ASMEND
	;;#ASMSTART
	v_dot2_f32_f16 v59, v70, v74, v59
	;;#ASMEND
	;;#ASMSTART
	v_dot2_f32_f16 v59, v71, v75, v59
	;;#ASMEND
	;;#ASMSTART
	v_dot2_f32_f16 v59, v72, v76, v59
	;;#ASMEND
	s_waitcnt lgkmcnt(0)
	;;#ASMSTART
	v_dot2_f32_f16 v60, v69, v77, v60
	;;#ASMEND
	;;#ASMSTART
	v_dot2_f32_f16 v60, v70, v78, v60
	;;#ASMEND
	;;#ASMSTART
	v_dot2_f32_f16 v60, v71, v79, v60
	;;#ASMEND
	;;#ASMSTART
	v_dot2_f32_f16 v60, v72, v80, v60
	;;#ASMEND
	ds_read_b128 v[69:72], v35 offset:32
	ds_read_b128 v[73:76], v36 offset:32
	ds_read_b128 v[77:80], v36 offset:544
	s_waitcnt lgkmcnt(1)
	;;#ASMSTART
	v_dot2_f32_f16 v59, v69, v73, v59
	;;#ASMEND
	;;#ASMSTART
	v_dot2_f32_f16 v59, v70, v74, v59
	;;#ASMEND
	;; [unrolled: 29-line block ×15, first 2 shown]
	;;#ASMSTART
	v_dot2_f32_f16 v59, v71, v75, v59
	;;#ASMEND
	;;#ASMSTART
	v_dot2_f32_f16 v59, v72, v76, v59
	;;#ASMEND
	s_waitcnt lgkmcnt(0)
	;;#ASMSTART
	v_dot2_f32_f16 v60, v69, v77, v60
	;;#ASMEND
	;;#ASMSTART
	v_dot2_f32_f16 v60, v70, v78, v60
	;;#ASMEND
	;; [unrolled: 3-line block ×4, first 2 shown]
	s_barrier
	global_load_dwordx4 v[69:72], v[81:82], off offset:256
	global_load_dwordx4 v[73:76], v[14:15], off offset:256
	v_max_f32_e32 v67, v58, v58
	v_max_f32_e32 v68, v57, v57
	v_addc_co_u32_e32 v4, vcc, 0, v4, vcc
	s_waitcnt vmcnt(1)
	ds_write_b128 v33, v[69:72]
	s_waitcnt vmcnt(0)
	ds_write_b128 v34, v[73:76]
	s_waitcnt lgkmcnt(0)
	s_barrier
	ds_read_b128 v[69:72], v35
	ds_read_b128 v[73:76], v36 offset:256
	ds_read_b128 v[77:80], v36 offset:768
	s_waitcnt lgkmcnt(1)
	;;#ASMSTART
	v_dot2_f32_f16 v59, v69, v73, v59
	;;#ASMEND
	;;#ASMSTART
	v_dot2_f32_f16 v59, v70, v74, v59
	;;#ASMEND
	;;#ASMSTART
	v_dot2_f32_f16 v59, v71, v75, v59
	;;#ASMEND
	;;#ASMSTART
	v_dot2_f32_f16 v59, v72, v76, v59
	;;#ASMEND
	s_waitcnt lgkmcnt(0)
	;;#ASMSTART
	v_dot2_f32_f16 v60, v69, v77, v60
	;;#ASMEND
	;;#ASMSTART
	v_dot2_f32_f16 v60, v70, v78, v60
	;;#ASMEND
	;;#ASMSTART
	v_dot2_f32_f16 v60, v71, v79, v60
	;;#ASMEND
	;;#ASMSTART
	v_dot2_f32_f16 v60, v72, v80, v60
	;;#ASMEND
	ds_read_b128 v[69:72], v35 offset:16
	ds_read_b128 v[73:76], v36 offset:272
	ds_read_b128 v[77:80], v36 offset:784
	s_waitcnt lgkmcnt(1)
	;;#ASMSTART
	v_dot2_f32_f16 v59, v69, v73, v59
	;;#ASMEND
	;;#ASMSTART
	v_dot2_f32_f16 v59, v70, v74, v59
	;;#ASMEND
	;;#ASMSTART
	v_dot2_f32_f16 v59, v71, v75, v59
	;;#ASMEND
	;;#ASMSTART
	v_dot2_f32_f16 v59, v72, v76, v59
	;;#ASMEND
	s_waitcnt lgkmcnt(0)
	;;#ASMSTART
	v_dot2_f32_f16 v60, v69, v77, v60
	;;#ASMEND
	;;#ASMSTART
	v_dot2_f32_f16 v60, v70, v78, v60
	;;#ASMEND
	;;#ASMSTART
	v_dot2_f32_f16 v60, v71, v79, v60
	;;#ASMEND
	;;#ASMSTART
	v_dot2_f32_f16 v60, v72, v80, v60
	;;#ASMEND
	ds_read_b128 v[69:72], v35 offset:32
	;; [unrolled: 29-line block ×15, first 2 shown]
	ds_read_b128 v[73:76], v36 offset:496
	ds_read_b128 v[77:80], v36 offset:1008
	s_waitcnt lgkmcnt(1)
	;;#ASMSTART
	v_dot2_f32_f16 v59, v69, v73, v59
	;;#ASMEND
	;;#ASMSTART
	v_dot2_f32_f16 v59, v70, v74, v59
	;;#ASMEND
	;; [unrolled: 3-line block ×4, first 2 shown]
	s_waitcnt lgkmcnt(0)
	;;#ASMSTART
	v_dot2_f32_f16 v60, v69, v77, v60
	;;#ASMEND
	;;#ASMSTART
	v_dot2_f32_f16 v60, v70, v78, v60
	;;#ASMEND
	;; [unrolled: 3-line block ×4, first 2 shown]
	global_load_ushort v1, v[1:2], off
	s_waitcnt vmcnt(0)
	s_barrier
	global_load_dwordx4 v[69:72], v[20:21], off
	global_load_dwordx4 v[73:76], v[18:19], off
	v_cvt_f32_f16_e32 v1, v1
	v_add_f32_e32 v2, v59, v1
	v_add_f32_e32 v1, v60, v1
	;; [unrolled: 1-line block ×4, first 2 shown]
	v_max_f32_e32 v14, v67, v14
	v_max_f32_e32 v15, v68, v15
	ds_bpermute_b32 v18, v66, v14
	ds_bpermute_b32 v19, v66, v15
	s_waitcnt lgkmcnt(1)
	v_max_f32_e32 v18, v18, v18
	s_waitcnt lgkmcnt(0)
	v_max_f32_e32 v19, v19, v19
	v_max_f32_e32 v14, v14, v18
	v_max_f32_e32 v15, v15, v19
	ds_bpermute_b32 v18, v65, v14
	ds_bpermute_b32 v19, v65, v15
	s_waitcnt lgkmcnt(1)
	v_max_f32_e32 v18, v18, v18
	s_waitcnt lgkmcnt(0)
	v_max_f32_e32 v19, v19, v19
	;; [unrolled: 8-line block ×5, first 2 shown]
	v_max_f32_e32 v14, v14, v18
	v_max_f32_e32 v15, v15, v19
	v_sub_f32_e32 v18, v58, v14
	v_sub_f32_e32 v2, v2, v14
	;; [unrolled: 1-line block ×4, first 2 shown]
	v_mul_f32_e32 v20, 0x3fb8aa3b, v18
	v_mul_f32_e32 v21, 0x3fb8aa3b, v2
	;; [unrolled: 1-line block ×4, first 2 shown]
	v_fma_f32 v59, v18, s24, -v20
	v_rndne_f32_e32 v60, v20
	v_fma_f32 v62, v2, s24, -v21
	v_rndne_f32_e32 v63, v21
	;; [unrolled: 2-line block ×4, first 2 shown]
	v_fmac_f32_e32 v59, 0x32a5705f, v18
	v_sub_f32_e32 v20, v20, v60
	v_fmac_f32_e32 v62, 0x32a5705f, v2
	v_sub_f32_e32 v21, v21, v63
	;; [unrolled: 2-line block ×4, first 2 shown]
	v_add_f32_e32 v20, v20, v59
	v_add_f32_e32 v21, v21, v62
	;; [unrolled: 1-line block ×4, first 2 shown]
	v_cvt_i32_f32_e32 v60, v60
	v_cvt_i32_f32_e32 v63, v63
	;; [unrolled: 1-line block ×4, first 2 shown]
	v_exp_f32_e32 v20, v20
	v_exp_f32_e32 v21, v21
	;; [unrolled: 1-line block ×4, first 2 shown]
	v_ldexp_f32 v20, v20, v60
	v_ldexp_f32 v21, v21, v63
	v_cmp_ngt_f32_e32 vcc, s25, v2
	v_ldexp_f32 v57, v57, v65
	v_cmp_ngt_f32_e64 s[0:1], s25, v19
	v_ldexp_f32 v58, v58, v67
	v_cmp_ngt_f32_e64 s[2:3], s25, v1
	v_cmp_ngt_f32_e64 s[8:9], s25, v18
	v_cndmask_b32_e64 v20, 0, v20, s[8:9]
	v_cndmask_b32_e32 v21, 0, v21, vcc
	v_cmp_nlt_f32_e32 vcc, s31, v2
	v_cndmask_b32_e64 v2, 0, v57, s[0:1]
	v_cndmask_b32_e64 v57, 0, v58, s[2:3]
	v_cmp_nlt_f32_e64 s[2:3], s31, v1
	v_cmp_nlt_f32_e64 s[8:9], s31, v18
	;; [unrolled: 1-line block ×3, first 2 shown]
	v_cndmask_b32_e64 v1, v44, v20, s[8:9]
	v_cndmask_b32_e32 v19, v44, v21, vcc
	v_cndmask_b32_e64 v18, v44, v57, s[2:3]
	v_cndmask_b32_e64 v2, v44, v2, s[0:1]
	v_cvt_f16_f32_e32 v20, v19
	v_fmac_f32_e32 v19, v56, v1
	v_cvt_f16_f32_e32 v1, v1
	v_cvt_f16_f32_e32 v21, v18
	;; [unrolled: 1-line block ×3, first 2 shown]
	v_fmac_f32_e32 v18, v61, v2
	v_mul_u32_u24_e32 v1, 0x10001, v1
	v_pack_b32_f16 v20, v20, v21
	v_mul_u32_u24_e32 v2, 0x10001, v56
	v_pk_mul_f16 v21, v55, v1
	v_pk_mul_f16 v77, v53, v1
	;; [unrolled: 1-line block ×3, first 2 shown]
	ds_write_b32 v45, v20
	s_waitcnt vmcnt(1)
	ds_write_b128 v39, v[69:72]
	s_waitcnt vmcnt(0)
	ds_write_b128 v40, v[73:76]
	s_waitcnt lgkmcnt(0)
	s_barrier
	ds_read2_b64 v[53:56], v25 offset1:32
	ds_read_b128 v[57:60], v37
	ds_read_b128 v[61:64], v37 offset:16
	ds_read_b128 v[65:68], v37 offset:32
	;; [unrolled: 1-line block ×3, first 2 shown]
	ds_read2_b64 v[73:76], v25 offset0:64 offset1:96
	v_pk_mul_f16 v51, v51, v2
	v_pk_mul_f16 v50, v50, v2
	;; [unrolled: 1-line block ×3, first 2 shown]
	s_waitcnt lgkmcnt(4)
	v_mul_u32_u24_sdwa v20, v57, s34 dst_sel:DWORD dst_unused:UNUSED_PAD src0_sel:WORD_0 src1_sel:DWORD
	v_mul_u32_u24_sdwa v57, v57, s34 dst_sel:DWORD dst_unused:UNUSED_PAD src0_sel:WORD_1 src1_sel:DWORD
	v_pk_mul_f16 v79, v53, v20
	v_pk_mul_f16 v81, v53, v57
	v_pk_fma_f16 v21, v54, v20, v21
	v_pk_fma_f16 v51, v54, v57, v51
	;; [unrolled: 1-line block ×6, first 2 shown]
	ds_read2_b64 v[53:56], v25 offset0:128 offset1:160
	v_pk_fma_f16 v1, v52, v1, v79
	ds_read2_b64 v[77:80], v25 offset0:192 offset1:224
	v_mul_u32_u24_sdwa v52, v58, s34 dst_sel:DWORD dst_unused:UNUSED_PAD src0_sel:WORD_0 src1_sel:DWORD
	v_pk_fma_f16 v2, v49, v2, v81
	v_mul_u32_u24_sdwa v49, v58, s34 dst_sel:DWORD dst_unused:UNUSED_PAD src0_sel:WORD_1 src1_sel:DWORD
	s_waitcnt lgkmcnt(2)
	v_pk_fma_f16 v21, v74, v52, v21
	v_pk_fma_f16 v74, v74, v49, v51
	;; [unrolled: 1-line block ×8, first 2 shown]
	ds_read2_b64 v[49:52], v46 offset1:32
	v_mul_u32_u24_sdwa v58, v59, s34 dst_sel:DWORD dst_unused:UNUSED_PAD src0_sel:WORD_0 src1_sel:DWORD
	v_mul_u32_u24_sdwa v73, v59, s34 dst_sel:DWORD dst_unused:UNUSED_PAD src0_sel:WORD_1 src1_sel:DWORD
	v_mul_u32_u24_sdwa v76, v60, s34 dst_sel:DWORD dst_unused:UNUSED_PAD src0_sel:WORD_0 src1_sel:DWORD
	v_mul_u32_u24_sdwa v81, v60, s34 dst_sel:DWORD dst_unused:UNUSED_PAD src0_sel:WORD_1 src1_sel:DWORD
	s_waitcnt lgkmcnt(2)
	v_pk_fma_f16 v21, v54, v58, v21
	v_pk_fma_f16 v82, v55, v58, v57
	;; [unrolled: 1-line block ×4, first 2 shown]
	ds_read2_b64 v[57:60], v46 offset0:64 offset1:96
	v_pk_fma_f16 v74, v54, v73, v74
	v_pk_fma_f16 v75, v55, v73, v75
	;; [unrolled: 1-line block ×4, first 2 shown]
	ds_read2_b64 v[53:56], v46 offset0:128 offset1:160
	s_waitcnt lgkmcnt(3)
	v_pk_fma_f16 v21, v78, v76, v21
	v_pk_fma_f16 v78, v78, v81, v74
	;; [unrolled: 1-line block ×8, first 2 shown]
	ds_read2_b64 v[73:76], v46 offset0:192 offset1:224
	v_mul_u32_u24_sdwa v77, v61, s34 dst_sel:DWORD dst_unused:UNUSED_PAD src0_sel:WORD_0 src1_sel:DWORD
	v_mul_u32_u24_sdwa v61, v61, s34 dst_sel:DWORD dst_unused:UNUSED_PAD src0_sel:WORD_1 src1_sel:DWORD
	s_waitcnt lgkmcnt(3)
	v_pk_fma_f16 v21, v50, v77, v21
	v_pk_fma_f16 v78, v50, v61, v78
	v_pk_fma_f16 v80, v51, v77, v82
	v_pk_fma_f16 v79, v51, v61, v79
	v_pk_fma_f16 v20, v52, v77, v20
	v_pk_fma_f16 v43, v52, v61, v43
	v_pk_fma_f16 v1, v49, v77, v1
	v_pk_fma_f16 v2, v49, v61, v2
	ds_read2_b64 v[49:52], v47 offset1:32
	v_mul_u32_u24_sdwa v61, v62, s34 dst_sel:DWORD dst_unused:UNUSED_PAD src0_sel:WORD_0 src1_sel:DWORD
	v_mul_u32_u24_sdwa v62, v62, s34 dst_sel:DWORD dst_unused:UNUSED_PAD src0_sel:WORD_1 src1_sel:DWORD
	s_waitcnt lgkmcnt(3)
	v_pk_fma_f16 v21, v58, v61, v21
	v_pk_fma_f16 v77, v58, v62, v78
	;; [unrolled: 1-line block ×8, first 2 shown]
	ds_read2_b64 v[57:60], v47 offset0:64 offset1:96
	v_mul_u32_u24_sdwa v61, v63, s34 dst_sel:DWORD dst_unused:UNUSED_PAD src0_sel:WORD_0 src1_sel:DWORD
	v_mul_u32_u24_sdwa v80, v63, s34 dst_sel:DWORD dst_unused:UNUSED_PAD src0_sel:WORD_1 src1_sel:DWORD
	v_mul_u32_u24_sdwa v81, v64, s34 dst_sel:DWORD dst_unused:UNUSED_PAD src0_sel:WORD_0 src1_sel:DWORD
	v_mul_u32_u24_sdwa v82, v64, s34 dst_sel:DWORD dst_unused:UNUSED_PAD src0_sel:WORD_1 src1_sel:DWORD
	s_waitcnt lgkmcnt(3)
	v_pk_fma_f16 v21, v54, v61, v21
	v_pk_fma_f16 v78, v55, v61, v78
	;; [unrolled: 1-line block ×4, first 2 shown]
	ds_read2_b64 v[61:64], v47 offset0:128 offset1:160
	v_pk_fma_f16 v77, v54, v80, v77
	v_pk_fma_f16 v79, v55, v80, v79
	;; [unrolled: 1-line block ×4, first 2 shown]
	s_waitcnt lgkmcnt(3)
	v_pk_fma_f16 v21, v74, v81, v21
	v_pk_fma_f16 v77, v74, v82, v77
	v_pk_fma_f16 v78, v75, v81, v78
	v_pk_fma_f16 v79, v75, v82, v79
	v_pk_fma_f16 v20, v76, v81, v20
	v_pk_fma_f16 v43, v76, v82, v43
	v_pk_fma_f16 v1, v73, v81, v1
	v_pk_fma_f16 v2, v73, v82, v2
	v_mul_u32_u24_sdwa v80, v65, s34 dst_sel:DWORD dst_unused:UNUSED_PAD src0_sel:WORD_0 src1_sel:DWORD
	v_mul_u32_u24_sdwa v65, v65, s34 dst_sel:DWORD dst_unused:UNUSED_PAD src0_sel:WORD_1 src1_sel:DWORD
	s_waitcnt lgkmcnt(2)
	v_pk_fma_f16 v21, v50, v80, v21
	v_pk_fma_f16 v77, v50, v65, v77
	v_pk_fma_f16 v78, v51, v80, v78
	v_pk_fma_f16 v79, v51, v65, v79
	v_pk_fma_f16 v20, v52, v80, v20
	v_pk_fma_f16 v43, v52, v65, v43
	v_pk_fma_f16 v1, v49, v80, v1
	v_pk_fma_f16 v2, v49, v65, v2
	v_mul_u32_u24_sdwa v65, v66, s34 dst_sel:DWORD dst_unused:UNUSED_PAD src0_sel:WORD_0 src1_sel:DWORD
	v_mul_u32_u24_sdwa v66, v66, s34 dst_sel:DWORD dst_unused:UNUSED_PAD src0_sel:WORD_1 src1_sel:DWORD
	;; [unrolled: 11-line block ×3, first 2 shown]
	ds_read2_b64 v[53:56], v47 offset0:192 offset1:224
	ds_read2_b64 v[73:76], v48 offset1:32
	ds_read2_b64 v[49:52], v48 offset0:64 offset1:96
	ds_read2_b64 v[57:60], v48 offset0:128 offset1:160
	s_waitcnt lgkmcnt(4)
	v_pk_fma_f16 v21, v62, v65, v21
	v_pk_fma_f16 v67, v62, v66, v77
	;; [unrolled: 1-line block ×8, first 2 shown]
	ds_read2_b64 v[61:64], v48 offset0:192 offset1:224
	s_waitcnt lgkmcnt(0)
	s_barrier
	global_load_dwordx4 v[77:80], v[16:17], off
	s_nop 0
	global_load_dwordx4 v[1:4], v[3:4], off
	v_mul_u32_u24_sdwa v16, v68, s34 dst_sel:DWORD dst_unused:UNUSED_PAD src0_sel:WORD_0 src1_sel:DWORD
	v_mul_u32_u24_sdwa v17, v68, s34 dst_sel:DWORD dst_unused:UNUSED_PAD src0_sel:WORD_1 src1_sel:DWORD
	v_mul_u32_u24_sdwa v68, v69, s34 dst_sel:DWORD dst_unused:UNUSED_PAD src0_sel:WORD_0 src1_sel:DWORD
	v_pk_fma_f16 v21, v54, v16, v21
	v_pk_fma_f16 v81, v55, v16, v81
	;; [unrolled: 1-line block ×4, first 2 shown]
	v_mul_u32_u24_sdwa v65, v69, s34 dst_sel:DWORD dst_unused:UNUSED_PAD src0_sel:WORD_1 src1_sel:DWORD
	v_pk_fma_f16 v54, v54, v17, v67
	v_pk_fma_f16 v55, v55, v17, v82
	;; [unrolled: 1-line block ×4, first 2 shown]
	v_mul_u32_u24_sdwa v53, v70, s34 dst_sel:DWORD dst_unused:UNUSED_PAD src0_sel:WORD_0 src1_sel:DWORD
	v_mul_u32_u24_sdwa v56, v70, s34 dst_sel:DWORD dst_unused:UNUSED_PAD src0_sel:WORD_1 src1_sel:DWORD
	v_mul_u32_u24_sdwa v66, v71, s34 dst_sel:DWORD dst_unused:UNUSED_PAD src0_sel:WORD_0 src1_sel:DWORD
	v_mul_u32_u24_sdwa v67, v71, s34 dst_sel:DWORD dst_unused:UNUSED_PAD src0_sel:WORD_1 src1_sel:DWORD
	v_pk_fma_f16 v21, v74, v68, v21
	v_pk_fma_f16 v54, v74, v65, v54
	;; [unrolled: 1-line block ×16, first 2 shown]
	v_mul_u32_u24_sdwa v69, v72, s34 dst_sel:DWORD dst_unused:UNUSED_PAD src0_sel:WORD_0 src1_sel:DWORD
	v_mul_u32_u24_sdwa v70, v72, s34 dst_sel:DWORD dst_unused:UNUSED_PAD src0_sel:WORD_1 src1_sel:DWORD
	v_pk_fma_f16 v21, v58, v66, v21
	v_pk_fma_f16 v49, v58, v67, v50
	;; [unrolled: 1-line block ×16, first 2 shown]
	s_waitcnt vmcnt(1)
	ds_write_b128 v39, v[77:80]
	s_waitcnt vmcnt(0)
	ds_write_b128 v40, v[1:4]
	s_waitcnt lgkmcnt(0)
	s_barrier
	ds_read2_b64 v[49:52], v25 offset1:32
	ds_read_b128 v[53:56], v37 offset:64
	ds_read_b128 v[57:60], v37 offset:80
	;; [unrolled: 1-line block ×4, first 2 shown]
	ds_read2_b64 v[65:68], v25 offset0:64 offset1:96
	ds_read2_b64 v[69:72], v25 offset0:128 offset1:160
	;; [unrolled: 1-line block ×3, first 2 shown]
	s_waitcnt lgkmcnt(6)
	v_mul_u32_u24_sdwa v77, v53, s34 dst_sel:DWORD dst_unused:UNUSED_PAD src0_sel:WORD_0 src1_sel:DWORD
	v_mul_u32_u24_sdwa v53, v53, s34 dst_sel:DWORD dst_unused:UNUSED_PAD src0_sel:WORD_1 src1_sel:DWORD
	v_pk_fma_f16 v16, v49, v77, v16
	v_pk_fma_f16 v17, v49, v53, v17
	;; [unrolled: 1-line block ×8, first 2 shown]
	ds_read2_b64 v[49:52], v46 offset1:32
	v_mul_u32_u24_sdwa v53, v54, s34 dst_sel:DWORD dst_unused:UNUSED_PAD src0_sel:WORD_0 src1_sel:DWORD
	v_mul_u32_u24_sdwa v54, v54, s34 dst_sel:DWORD dst_unused:UNUSED_PAD src0_sel:WORD_1 src1_sel:DWORD
	s_waitcnt lgkmcnt(3)
	v_pk_fma_f16 v16, v65, v53, v16
	v_pk_fma_f16 v17, v65, v54, v17
	;; [unrolled: 1-line block ×8, first 2 shown]
	ds_read2_b64 v[65:68], v46 offset0:64 offset1:96
	v_mul_u32_u24_sdwa v53, v55, s34 dst_sel:DWORD dst_unused:UNUSED_PAD src0_sel:WORD_0 src1_sel:DWORD
	v_mul_u32_u24_sdwa v80, v55, s34 dst_sel:DWORD dst_unused:UNUSED_PAD src0_sel:WORD_1 src1_sel:DWORD
	v_mul_u32_u24_sdwa v81, v56, s34 dst_sel:DWORD dst_unused:UNUSED_PAD src0_sel:WORD_0 src1_sel:DWORD
	v_mul_u32_u24_sdwa v82, v56, s34 dst_sel:DWORD dst_unused:UNUSED_PAD src0_sel:WORD_1 src1_sel:DWORD
	s_waitcnt lgkmcnt(3)
	v_pk_fma_f16 v16, v69, v53, v16
	v_pk_fma_f16 v21, v70, v53, v21
	;; [unrolled: 1-line block ×4, first 2 shown]
	ds_read2_b64 v[53:56], v46 offset0:128 offset1:160
	v_pk_fma_f16 v17, v69, v80, v17
	v_pk_fma_f16 v77, v70, v80, v77
	;; [unrolled: 1-line block ×4, first 2 shown]
	ds_read2_b64 v[69:72], v46 offset0:192 offset1:224
	s_waitcnt lgkmcnt(4)
	v_pk_fma_f16 v16, v73, v81, v16
	v_pk_fma_f16 v17, v73, v82, v17
	;; [unrolled: 1-line block ×8, first 2 shown]
	ds_read2_b64 v[73:76], v47 offset1:32
	v_mul_u32_u24_sdwa v80, v57, s34 dst_sel:DWORD dst_unused:UNUSED_PAD src0_sel:WORD_0 src1_sel:DWORD
	v_mul_u32_u24_sdwa v57, v57, s34 dst_sel:DWORD dst_unused:UNUSED_PAD src0_sel:WORD_1 src1_sel:DWORD
	s_waitcnt lgkmcnt(4)
	v_pk_fma_f16 v16, v49, v80, v16
	v_pk_fma_f16 v17, v49, v57, v17
	;; [unrolled: 1-line block ×8, first 2 shown]
	ds_read2_b64 v[49:52], v47 offset0:64 offset1:96
	v_mul_u32_u24_sdwa v57, v58, s34 dst_sel:DWORD dst_unused:UNUSED_PAD src0_sel:WORD_0 src1_sel:DWORD
	v_mul_u32_u24_sdwa v58, v58, s34 dst_sel:DWORD dst_unused:UNUSED_PAD src0_sel:WORD_1 src1_sel:DWORD
	s_waitcnt lgkmcnt(4)
	v_pk_fma_f16 v16, v65, v57, v16
	v_pk_fma_f16 v17, v65, v58, v17
	;; [unrolled: 1-line block ×8, first 2 shown]
	v_mul_u32_u24_sdwa v57, v59, s34 dst_sel:DWORD dst_unused:UNUSED_PAD src0_sel:WORD_0 src1_sel:DWORD
	v_mul_u32_u24_sdwa v80, v59, s34 dst_sel:DWORD dst_unused:UNUSED_PAD src0_sel:WORD_1 src1_sel:DWORD
	ds_read2_b64 v[65:68], v47 offset0:128 offset1:160
	v_mul_u32_u24_sdwa v81, v60, s34 dst_sel:DWORD dst_unused:UNUSED_PAD src0_sel:WORD_0 src1_sel:DWORD
	v_mul_u32_u24_sdwa v82, v60, s34 dst_sel:DWORD dst_unused:UNUSED_PAD src0_sel:WORD_1 src1_sel:DWORD
	s_waitcnt lgkmcnt(4)
	v_pk_fma_f16 v16, v53, v57, v16
	v_pk_fma_f16 v21, v54, v57, v21
	;; [unrolled: 1-line block ×8, first 2 shown]
	ds_read2_b64 v[57:60], v47 offset0:192 offset1:224
	v_mul_u32_u24_sdwa v80, v61, s34 dst_sel:DWORD dst_unused:UNUSED_PAD src0_sel:WORD_0 src1_sel:DWORD
	s_waitcnt lgkmcnt(4)
	v_pk_fma_f16 v16, v69, v81, v16
	v_pk_fma_f16 v21, v70, v81, v21
	;; [unrolled: 1-line block ×4, first 2 shown]
	v_mul_u32_u24_sdwa v81, v61, s34 dst_sel:DWORD dst_unused:UNUSED_PAD src0_sel:WORD_1 src1_sel:DWORD
	v_pk_fma_f16 v17, v69, v82, v17
	v_pk_fma_f16 v69, v70, v82, v77
	;; [unrolled: 1-line block ×4, first 2 shown]
	ds_read2_b64 v[53:56], v48 offset1:32
	v_mul_u32_u24_sdwa v77, v62, s34 dst_sel:DWORD dst_unused:UNUSED_PAD src0_sel:WORD_0 src1_sel:DWORD
	v_mul_u32_u24_sdwa v79, v62, s34 dst_sel:DWORD dst_unused:UNUSED_PAD src0_sel:WORD_1 src1_sel:DWORD
	s_waitcnt lgkmcnt(4)
	v_pk_fma_f16 v16, v73, v80, v16
	v_pk_fma_f16 v21, v74, v80, v21
	;; [unrolled: 1-line block ×8, first 2 shown]
	v_mul_u32_u24_sdwa v82, v63, s34 dst_sel:DWORD dst_unused:UNUSED_PAD src0_sel:WORD_0 src1_sel:DWORD
	v_mul_u32_u24_sdwa v83, v63, s34 dst_sel:DWORD dst_unused:UNUSED_PAD src0_sel:WORD_1 src1_sel:DWORD
	v_mul_u32_u24_sdwa v84, v64, s34 dst_sel:DWORD dst_unused:UNUSED_PAD src0_sel:WORD_0 src1_sel:DWORD
	v_mul_u32_u24_sdwa v85, v64, s34 dst_sel:DWORD dst_unused:UNUSED_PAD src0_sel:WORD_1 src1_sel:DWORD
	ds_read2_b64 v[61:64], v48 offset0:64 offset1:96
	ds_read2_b64 v[69:72], v48 offset0:128 offset1:160
	v_mul_u32_u24_sdwa v75, v1, s34 dst_sel:DWORD dst_unused:UNUSED_PAD src0_sel:WORD_0 src1_sel:DWORD
	s_waitcnt lgkmcnt(5)
	v_pk_fma_f16 v16, v49, v77, v16
	v_pk_fma_f16 v21, v50, v77, v21
	;; [unrolled: 1-line block ×4, first 2 shown]
	v_mul_u32_u24_sdwa v77, v1, s34 dst_sel:DWORD dst_unused:UNUSED_PAD src0_sel:WORD_1 src1_sel:DWORD
	v_pk_fma_f16 v17, v49, v79, v17
	v_pk_fma_f16 v49, v50, v79, v73
	;; [unrolled: 1-line block ×4, first 2 shown]
	v_mul_u32_u24_sdwa v51, v2, s34 dst_sel:DWORD dst_unused:UNUSED_PAD src0_sel:WORD_0 src1_sel:DWORD
	v_mul_u32_u24_sdwa v52, v2, s34 dst_sel:DWORD dst_unused:UNUSED_PAD src0_sel:WORD_1 src1_sel:DWORD
	v_mul_u32_u24_sdwa v73, v3, s34 dst_sel:DWORD dst_unused:UNUSED_PAD src0_sel:WORD_0 src1_sel:DWORD
	v_mul_u32_u24_sdwa v74, v3, s34 dst_sel:DWORD dst_unused:UNUSED_PAD src0_sel:WORD_1 src1_sel:DWORD
	;; [unrolled: 2-line block ×3, first 2 shown]
	ds_read2_b64 v[1:4], v48 offset0:192 offset1:224
	s_waitcnt lgkmcnt(0)
	s_barrier
	s_load_dword s0, s[10:11], 0x4
	v_pk_fma_f16 v16, v65, v82, v16
	v_pk_fma_f16 v21, v66, v82, v21
	;; [unrolled: 1-line block ×24, first 2 shown]
	s_waitcnt lgkmcnt(0)
	s_lshl_b32 s0, s0, 5
	v_pk_fma_f16 v16, v61, v51, v16
	v_pk_fma_f16 v17, v61, v52, v17
	;; [unrolled: 1-line block ×8, first 2 shown]
	s_add_i32 s6, s0, s6
	v_pk_fma_f16 v16, v69, v73, v16
	v_pk_fma_f16 v17, v69, v74, v17
	;; [unrolled: 1-line block ×8, first 2 shown]
	s_cmp_ge_i32 s6, s28
	v_pk_fma_f16 v52, v1, v78, v16
	v_pk_fma_f16 v49, v1, v79, v17
	;; [unrolled: 1-line block ×8, first 2 shown]
	s_cbranch_scc0 .LBB5_9
.LBB5_10:
	v_cmp_lt_i32_e32 vcc, v32, v27
	v_cndmask_b32_e32 v1, v26, v32, vcc
	v_lshlrev_b32_e32 v1, 2, v1
	ds_bpermute_b32 v2, v1, v19
	ds_bpermute_b32 v1, v1, v18
	v_cmp_lt_i32_e32 vcc, v31, v27
	v_cndmask_b32_e32 v3, v26, v31, vcc
	v_lshlrev_b32_e32 v3, 2, v3
	s_waitcnt lgkmcnt(1)
	v_add_f32_e32 v2, v19, v2
	s_waitcnt lgkmcnt(0)
	v_add_f32_e32 v1, v18, v1
	ds_bpermute_b32 v4, v3, v2
	ds_bpermute_b32 v3, v3, v1
	v_cmp_lt_i32_e32 vcc, v30, v27
	v_cndmask_b32_e32 v5, v26, v30, vcc
	v_lshlrev_b32_e32 v5, 2, v5
	s_waitcnt lgkmcnt(1)
	v_add_f32_e32 v2, v2, v4
	s_waitcnt lgkmcnt(0)
	v_add_f32_e32 v1, v1, v3
	;; [unrolled: 9-line block ×4, first 2 shown]
	ds_bpermute_b32 v4, v5, v2
	ds_bpermute_b32 v5, v5, v3
	s_cmp_lg_u64 s[16:17], 0
	s_cselect_b64 s[0:1], -1, 0
	s_cmp_eq_u32 s7, 0
	s_cselect_b64 s[2:3], -1, 0
	s_and_b64 s[0:1], s[2:3], s[0:1]
	s_waitcnt lgkmcnt(1)
	v_add_f32_e32 v1, v2, v4
	s_waitcnt lgkmcnt(0)
	v_add_f32_e32 v2, v3, v5
	s_and_b64 vcc, exec, s[0:1]
	s_cbranch_vccz .LBB5_13
; %bb.11:
	v_add_u32_e32 v3, s29, v23
	v_ashrrev_i32_e32 v4, 31, v3
	v_lshlrev_b64 v[3:4], 2, v[3:4]
	v_mov_b32_e32 v5, s17
	v_add_co_u32_e32 v3, vcc, s16, v3
	v_addc_co_u32_e32 v4, vcc, v5, v4, vcc
	global_load_dwordx2 v[3:4], v[3:4], off
	v_max_f32_e32 v5, v14, v14
	v_max_f32_e32 v6, v15, v15
	s_mov_b32 s0, 0x3fb8aa3b
	s_mov_b32 s1, 0xc2ce8ed0
	;; [unrolled: 1-line block ×3, first 2 shown]
	v_mov_b32_e32 v7, 0x7f800000
	s_waitcnt vmcnt(0)
	v_max_f32_e32 v8, v3, v3
	v_max_f32_e32 v9, v4, v4
	;; [unrolled: 1-line block ×4, first 2 shown]
	v_sub_f32_e32 v8, v14, v5
	v_sub_f32_e32 v9, v15, v6
	v_mov_b32_e32 v15, v6
	v_sub_f32_e32 v3, v3, v5
	v_mov_b32_e32 v14, v5
	v_mul_f32_e32 v5, 0x3fb8aa3b, v8
	v_sub_f32_e32 v4, v4, v6
	v_mul_f32_e32 v6, 0x3fb8aa3b, v3
	v_fma_f32 v12, v8, s0, -v5
	v_rndne_f32_e32 v13, v5
	v_mul_f32_e32 v10, 0x3fb8aa3b, v9
	v_fma_f32 v16, v3, s0, -v6
	v_rndne_f32_e32 v17, v6
	v_fmac_f32_e32 v12, 0x32a5705f, v8
	v_sub_f32_e32 v5, v5, v13
	v_mul_f32_e32 v11, 0x3fb8aa3b, v4
	v_fma_f32 v18, v9, s0, -v10
	v_rndne_f32_e32 v19, v10
	v_fmac_f32_e32 v16, 0x32a5705f, v3
	v_sub_f32_e32 v6, v6, v17
	v_add_f32_e32 v5, v5, v12
	v_fma_f32 v20, v4, s0, -v11
	v_rndne_f32_e32 v21, v11
	v_cvt_i32_f32_e32 v13, v13
	v_fmac_f32_e32 v18, 0x32a5705f, v9
	v_sub_f32_e32 v10, v10, v19
	v_add_f32_e32 v6, v6, v16
	v_exp_f32_e32 v5, v5
	v_cvt_i32_f32_e32 v17, v17
	v_fmac_f32_e32 v20, 0x32a5705f, v4
	v_sub_f32_e32 v11, v11, v21
	v_add_f32_e32 v10, v10, v18
	v_exp_f32_e32 v6, v6
	v_cvt_i32_f32_e32 v19, v19
	v_add_f32_e32 v11, v11, v20
	v_exp_f32_e32 v10, v10
	v_cvt_i32_f32_e32 v21, v21
	v_exp_f32_e32 v11, v11
	v_ldexp_f32 v5, v5, v13
	v_cmp_ngt_f32_e32 vcc, s1, v8
	v_ldexp_f32 v6, v6, v17
	v_cndmask_b32_e32 v5, 0, v5, vcc
	v_cmp_ngt_f32_e32 vcc, s1, v3
	v_ldexp_f32 v10, v10, v19
	v_cndmask_b32_e32 v6, 0, v6, vcc
	;; [unrolled: 3-line block ×3, first 2 shown]
	v_cmp_ngt_f32_e32 vcc, s1, v4
	v_cndmask_b32_e32 v11, 0, v11, vcc
	v_cmp_nlt_f32_e32 vcc, s2, v8
	v_cndmask_b32_e32 v5, v7, v5, vcc
	v_cmp_nlt_f32_e32 vcc, s2, v3
	;; [unrolled: 2-line block ×4, first 2 shown]
	v_cndmask_b32_e32 v4, v7, v11, vcc
	v_fmac_f32_e32 v3, v1, v5
	v_cvt_f16_f32_e32 v5, v5
	v_cvt_f16_f32_e32 v7, v6
	v_fmac_f32_e32 v4, v2, v6
	v_mov_b32_e32 v1, v3
	v_mul_u32_u24_e32 v2, 0x10001, v5
	v_mul_u32_u24_e32 v5, 0x10001, v7
	v_pk_mul_f16 v52, v52, v2
	v_pk_mul_f16 v55, v55, v2
	;; [unrolled: 1-line block ×8, first 2 shown]
	v_mov_b32_e32 v2, v4
	v_cmp_gt_i32_e32 vcc, s26, v22
	s_and_saveexec_b64 s[0:1], vcc
	s_cbranch_execnz .LBB5_14
.LBB5_12:
	s_endpgm
.LBB5_13:
	v_mov_b32_e32 v4, v2
	v_mov_b32_e32 v3, v1
	v_cmp_gt_i32_e32 vcc, s26, v22
	s_and_saveexec_b64 s[0:1], vcc
	s_cbranch_execz .LBB5_12
.LBB5_14:
	s_load_dword s6, s[4:5], 0xd4
	v_mov_b32_e32 v5, 1.0
	s_waitcnt lgkmcnt(0)
	s_cmp_lg_u32 s6, 1
	s_cselect_b64 s[0:1], -1, 0
	s_cmp_eq_u32 s6, 1
	s_cselect_b64 s[2:3], -1, 0
	s_and_b64 vcc, exec, s[0:1]
	s_cbranch_vccnz .LBB5_16
; %bb.15:
	v_div_scale_f32 v5, s[4:5], v1, v1, 1.0
	v_div_scale_f32 v6, vcc, 1.0, v1, 1.0
	v_rcp_f32_e32 v7, v5
	v_fma_f32 v8, -v5, v7, 1.0
	v_fmac_f32_e32 v7, v8, v7
	v_mul_f32_e32 v8, v6, v7
	v_fma_f32 v9, -v5, v8, v6
	v_fmac_f32_e32 v8, v9, v7
	v_fma_f32 v5, -v5, v8, v6
	v_div_fmas_f32 v5, v5, v7, v8
	v_div_fixup_f32 v5, v5, v1, 1.0
.LBB5_16:
	s_mul_i32 s33, s33, s26
	v_add_u32_e32 v1, s33, v22
	v_mul_lo_u32 v1, v1, s27
	v_cmp_eq_u32_e32 vcc, 0, v0
	v_cvt_f32_f16_sdwa v6, v55 dst_sel:DWORD dst_unused:UNUSED_PAD src0_sel:WORD_1
	v_cvt_f32_f16_e32 v11, v52
	v_add3_u32 v0, s29, v23, v1
	v_mul_lo_u32 v0, s6, v0
	v_cvt_f32_f16_e32 v7, v55
	v_cvt_f32_f16_sdwa v1, v52 dst_sel:DWORD dst_unused:UNUSED_PAD src0_sel:WORD_1
	v_mul_f32_e32 v9, v5, v6
	v_add_u32_e32 v0, s7, v0
	v_lshl_add_u32 v10, v0, 8, v24
	v_mul_f32_e32 v6, v5, v11
	v_mov_b32_e32 v11, 0
	v_lshlrev_b64 v[12:13], 2, v[10:11]
	s_and_b64 s[0:1], vcc, s[0:1]
	v_mul_f32_e32 v8, v5, v7
	v_mul_f32_e32 v7, v5, v1
	v_mov_b32_e32 v1, s21
	v_add_co_u32_e32 v12, vcc, s20, v12
	v_addc_co_u32_e32 v13, vcc, v1, v13, vcc
	global_store_dwordx4 v[12:13], v[6:9], off
	v_cvt_f32_f16_sdwa v1, v54 dst_sel:DWORD dst_unused:UNUSED_PAD src0_sel:WORD_1
	v_cvt_f32_f16_e32 v6, v54
	v_cvt_f32_f16_sdwa v9, v53 dst_sel:DWORD dst_unused:UNUSED_PAD src0_sel:WORD_1
	v_cvt_f32_f16_e32 v12, v53
	v_add_u32_e32 v10, 0x80, v10
	v_mul_f32_e32 v7, v5, v6
	v_mul_f32_e32 v6, v5, v9
	v_lshlrev_b64 v[9:10], 2, v[10:11]
	v_mul_f32_e32 v8, v5, v1
	v_mov_b32_e32 v1, s21
	v_add_co_u32_e32 v9, vcc, s20, v9
	v_mul_f32_e32 v5, v5, v12
	v_addc_co_u32_e32 v10, vcc, v1, v10, vcc
	global_store_dwordx4 v[9:10], v[5:8], off
	s_and_saveexec_b64 s[4:5], s[0:1]
	s_cbranch_execz .LBB5_18
; %bb.17:
	v_ashrrev_i32_e32 v1, 31, v0
	v_lshlrev_b64 v[5:6], 3, v[0:1]
	v_mov_b32_e32 v1, s23
	v_add_co_u32_e32 v5, vcc, s22, v5
	v_addc_co_u32_e32 v6, vcc, v1, v6, vcc
	v_mov_b32_e32 v7, v14
	v_mov_b32_e32 v8, v3
	global_store_dwordx2 v[5:6], v[7:8], off
.LBB5_18:
	s_or_b64 exec, exec, s[4:5]
	s_andn2_b64 vcc, exec, s[2:3]
	v_mov_b32_e32 v1, 1.0
	s_cbranch_vccnz .LBB5_20
; %bb.19:
	v_div_scale_f32 v1, s[2:3], v2, v2, 1.0
	v_div_scale_f32 v3, vcc, 1.0, v2, 1.0
	v_rcp_f32_e32 v5, v1
	v_fma_f32 v6, -v1, v5, 1.0
	v_fmac_f32_e32 v5, v6, v5
	v_mul_f32_e32 v6, v3, v5
	v_fma_f32 v7, -v1, v6, v3
	v_fmac_f32_e32 v6, v7, v5
	v_fma_f32 v1, -v1, v6, v3
	v_div_fmas_f32 v1, v1, v5, v6
	v_div_fixup_f32 v1, v1, v2, 1.0
.LBB5_20:
	v_cvt_f32_f16_sdwa v3, v51 dst_sel:DWORD dst_unused:UNUSED_PAD src0_sel:WORD_1
	v_cvt_f32_f16_e32 v5, v51
	v_cvt_f32_f16_e32 v9, v49
	v_add_u32_e32 v0, s6, v0
	v_lshl_add_u32 v2, v0, 8, v24
	v_cvt_f32_f16_sdwa v6, v49 dst_sel:DWORD dst_unused:UNUSED_PAD src0_sel:WORD_1
	v_mul_f32_e32 v8, v1, v3
	v_mov_b32_e32 v3, 0
	v_mul_f32_e32 v7, v1, v5
	v_mul_f32_e32 v5, v1, v9
	v_lshlrev_b64 v[9:10], 2, v[2:3]
	v_mov_b32_e32 v11, s21
	v_add_co_u32_e32 v9, vcc, s20, v9
	v_mul_f32_e32 v6, v1, v6
	v_addc_co_u32_e32 v10, vcc, v11, v10, vcc
	global_store_dwordx4 v[9:10], v[5:8], off
	v_cvt_f32_f16_sdwa v9, v50 dst_sel:DWORD dst_unused:UNUSED_PAD src0_sel:WORD_1
	v_cvt_f32_f16_sdwa v5, v43 dst_sel:DWORD dst_unused:UNUSED_PAD src0_sel:WORD_1
	v_cvt_f32_f16_e32 v6, v43
	v_cvt_f32_f16_e32 v10, v50
	v_add_u32_e32 v2, 0x80, v2
	v_mul_f32_e32 v8, v1, v5
	v_mul_f32_e32 v7, v1, v6
	;; [unrolled: 1-line block ×4, first 2 shown]
	v_lshlrev_b64 v[1:2], 2, v[2:3]
	v_mov_b32_e32 v3, s21
	v_add_co_u32_e32 v1, vcc, s20, v1
	v_addc_co_u32_e32 v2, vcc, v3, v2, vcc
	global_store_dwordx4 v[1:2], v[5:8], off
	s_and_b64 exec, exec, s[0:1]
	s_cbranch_execz .LBB5_12
; %bb.21:
	v_ashrrev_i32_e32 v1, 31, v0
	v_lshlrev_b64 v[0:1], 3, v[0:1]
	v_mov_b32_e32 v2, s23
	v_add_co_u32_e32 v0, vcc, s22, v0
	v_addc_co_u32_e32 v1, vcc, v2, v1, vcc
	v_mov_b32_e32 v3, v15
	global_store_dwordx2 v[0:1], v[3:4], off
	s_endpgm
	.section	.rodata,"a",@progbits
	.p2align	6, 0x0
	.amdhsa_kernel _ZL15flash_attn_tileILi256ELi256ELi2ELi8ELb0EEvPKcS1_S1_S1_S1_PKiPfP15HIP_vector_typeIfLj2EEffffjfiS5_IjLj3EEiiiiiiiiiiiliiliiiiil
		.amdhsa_group_segment_fixed_size 17920
		.amdhsa_private_segment_fixed_size 0
		.amdhsa_kernarg_size 464
		.amdhsa_user_sgpr_count 6
		.amdhsa_user_sgpr_private_segment_buffer 1
		.amdhsa_user_sgpr_dispatch_ptr 0
		.amdhsa_user_sgpr_queue_ptr 0
		.amdhsa_user_sgpr_kernarg_segment_ptr 1
		.amdhsa_user_sgpr_dispatch_id 0
		.amdhsa_user_sgpr_flat_scratch_init 0
		.amdhsa_user_sgpr_private_segment_size 0
		.amdhsa_uses_dynamic_stack 0
		.amdhsa_system_sgpr_private_segment_wavefront_offset 0
		.amdhsa_system_sgpr_workgroup_id_x 1
		.amdhsa_system_sgpr_workgroup_id_y 1
		.amdhsa_system_sgpr_workgroup_id_z 1
		.amdhsa_system_sgpr_workgroup_info 0
		.amdhsa_system_vgpr_workitem_id 1
		.amdhsa_next_free_vgpr 86
		.amdhsa_next_free_sgpr 98
		.amdhsa_reserve_vcc 1
		.amdhsa_reserve_flat_scratch 0
		.amdhsa_float_round_mode_32 0
		.amdhsa_float_round_mode_16_64 0
		.amdhsa_float_denorm_mode_32 3
		.amdhsa_float_denorm_mode_16_64 3
		.amdhsa_dx10_clamp 1
		.amdhsa_ieee_mode 1
		.amdhsa_fp16_overflow 0
		.amdhsa_exception_fp_ieee_invalid_op 0
		.amdhsa_exception_fp_denorm_src 0
		.amdhsa_exception_fp_ieee_div_zero 0
		.amdhsa_exception_fp_ieee_overflow 0
		.amdhsa_exception_fp_ieee_underflow 0
		.amdhsa_exception_fp_ieee_inexact 0
		.amdhsa_exception_int_div_zero 0
	.end_amdhsa_kernel
	.section	.text._ZL15flash_attn_tileILi256ELi256ELi2ELi8ELb0EEvPKcS1_S1_S1_S1_PKiPfP15HIP_vector_typeIfLj2EEffffjfiS5_IjLj3EEiiiiiiiiiiiliiliiiiil,"axG",@progbits,_ZL15flash_attn_tileILi256ELi256ELi2ELi8ELb0EEvPKcS1_S1_S1_S1_PKiPfP15HIP_vector_typeIfLj2EEffffjfiS5_IjLj3EEiiiiiiiiiiiliiliiiiil,comdat
.Lfunc_end5:
	.size	_ZL15flash_attn_tileILi256ELi256ELi2ELi8ELb0EEvPKcS1_S1_S1_S1_PKiPfP15HIP_vector_typeIfLj2EEffffjfiS5_IjLj3EEiiiiiiiiiiiliiliiiiil, .Lfunc_end5-_ZL15flash_attn_tileILi256ELi256ELi2ELi8ELb0EEvPKcS1_S1_S1_S1_PKiPfP15HIP_vector_typeIfLj2EEffffjfiS5_IjLj3EEiiiiiiiiiiiliiliiiiil
                                        ; -- End function
	.set _ZL15flash_attn_tileILi256ELi256ELi2ELi8ELb0EEvPKcS1_S1_S1_S1_PKiPfP15HIP_vector_typeIfLj2EEffffjfiS5_IjLj3EEiiiiiiiiiiiliiliiiiil.num_vgpr, 86
	.set _ZL15flash_attn_tileILi256ELi256ELi2ELi8ELb0EEvPKcS1_S1_S1_S1_PKiPfP15HIP_vector_typeIfLj2EEffffjfiS5_IjLj3EEiiiiiiiiiiiliiliiiiil.num_agpr, 0
	.set _ZL15flash_attn_tileILi256ELi256ELi2ELi8ELb0EEvPKcS1_S1_S1_S1_PKiPfP15HIP_vector_typeIfLj2EEffffjfiS5_IjLj3EEiiiiiiiiiiiliiliiiiil.numbered_sgpr, 44
	.set _ZL15flash_attn_tileILi256ELi256ELi2ELi8ELb0EEvPKcS1_S1_S1_S1_PKiPfP15HIP_vector_typeIfLj2EEffffjfiS5_IjLj3EEiiiiiiiiiiiliiliiiiil.num_named_barrier, 0
	.set _ZL15flash_attn_tileILi256ELi256ELi2ELi8ELb0EEvPKcS1_S1_S1_S1_PKiPfP15HIP_vector_typeIfLj2EEffffjfiS5_IjLj3EEiiiiiiiiiiiliiliiiiil.private_seg_size, 0
	.set _ZL15flash_attn_tileILi256ELi256ELi2ELi8ELb0EEvPKcS1_S1_S1_S1_PKiPfP15HIP_vector_typeIfLj2EEffffjfiS5_IjLj3EEiiiiiiiiiiiliiliiiiil.uses_vcc, 1
	.set _ZL15flash_attn_tileILi256ELi256ELi2ELi8ELb0EEvPKcS1_S1_S1_S1_PKiPfP15HIP_vector_typeIfLj2EEffffjfiS5_IjLj3EEiiiiiiiiiiiliiliiiiil.uses_flat_scratch, 0
	.set _ZL15flash_attn_tileILi256ELi256ELi2ELi8ELb0EEvPKcS1_S1_S1_S1_PKiPfP15HIP_vector_typeIfLj2EEffffjfiS5_IjLj3EEiiiiiiiiiiiliiliiiiil.has_dyn_sized_stack, 0
	.set _ZL15flash_attn_tileILi256ELi256ELi2ELi8ELb0EEvPKcS1_S1_S1_S1_PKiPfP15HIP_vector_typeIfLj2EEffffjfiS5_IjLj3EEiiiiiiiiiiiliiliiiiil.has_recursion, 0
	.set _ZL15flash_attn_tileILi256ELi256ELi2ELi8ELb0EEvPKcS1_S1_S1_S1_PKiPfP15HIP_vector_typeIfLj2EEffffjfiS5_IjLj3EEiiiiiiiiiiiliiliiiiil.has_indirect_call, 0
	.section	.AMDGPU.csdata,"",@progbits
; Kernel info:
; codeLenInByte = 10664
; TotalNumSgprs: 48
; NumVgprs: 86
; ScratchSize: 0
; MemoryBound: 0
; FloatMode: 240
; IeeeMode: 1
; LDSByteSize: 17920 bytes/workgroup (compile time only)
; SGPRBlocks: 12
; VGPRBlocks: 21
; NumSGPRsForWavesPerEU: 102
; NumVGPRsForWavesPerEU: 86
; Occupancy: 2
; WaveLimiterHint : 1
; COMPUTE_PGM_RSRC2:SCRATCH_EN: 0
; COMPUTE_PGM_RSRC2:USER_SGPR: 6
; COMPUTE_PGM_RSRC2:TRAP_HANDLER: 0
; COMPUTE_PGM_RSRC2:TGID_X_EN: 1
; COMPUTE_PGM_RSRC2:TGID_Y_EN: 1
; COMPUTE_PGM_RSRC2:TGID_Z_EN: 1
; COMPUTE_PGM_RSRC2:TIDIG_COMP_CNT: 1
	.section	.text._ZL25flash_attn_mask_to_KV_maxILi2EEvPK7__half2Piiii,"axG",@progbits,_ZL25flash_attn_mask_to_KV_maxILi2EEvPK7__half2Piiii,comdat
	.globl	_ZL25flash_attn_mask_to_KV_maxILi2EEvPK7__half2Piiii ; -- Begin function _ZL25flash_attn_mask_to_KV_maxILi2EEvPK7__half2Piiii
	.p2align	8
	.type	_ZL25flash_attn_mask_to_KV_maxILi2EEvPK7__half2Piiii,@function
_ZL25flash_attn_mask_to_KV_maxILi2EEvPK7__half2Piiii: ; @_ZL25flash_attn_mask_to_KV_maxILi2EEvPK7__half2Piiii
; %bb.0:
	s_load_dwordx4 s[8:11], s[4:5], 0x0
	v_cmp_gt_u32_e32 vcc, 32, v0
	s_and_saveexec_b64 s[0:1], vcc
; %bb.1:
	v_lshlrev_b32_e32 v1, 2, v0
	v_mov_b32_e32 v2, 1
	ds_write_b32 v1, v2
; %bb.2:
	s_or_b64 exec, exec, s[0:1]
	s_load_dwordx4 s[12:15], s[4:5], 0x10
	s_waitcnt lgkmcnt(0)
	s_load_dword s15, s[4:5], 0x20
	v_and_b32_e32 v1, 31, v0
	v_lshlrev_b32_e32 v4, 2, v1
                                        ; kill: killed $sgpr4_sgpr5
	v_lshrrev_b32_e32 v3, 3, v0
	s_mul_i32 s1, s6, s13
	s_mul_i32 s0, s14, s7
	s_lshl_b32 s1, s1, 1
	s_add_i32 s0, s0, s1
	s_ashr_i32 s1, s0, 31
	s_lshl_b64 s[0:1], s[0:1], 2
	s_add_u32 s14, s8, s0
	s_addc_u32 s16, s9, s1
	v_cmp_eq_u32_e64 s[0:1], 0, v1
	v_mbcnt_lo_u32_b32 v1, -1, 0
	v_mbcnt_hi_u32_b32 v5, -1, v1
	v_and_b32_e32 v1, 0x60, v5
	s_lshl_b32 s12, s12, 8
	s_mov_b64 s[4:5], 0
	v_mov_b32_e32 v2, 0
	s_movk_i32 s17, 0x204
	v_add_u32_e32 v6, 32, v1
	v_xor_b32_e32 v7, 16, v5
	v_xor_b32_e32 v8, 8, v5
	;; [unrolled: 1-line block ×5, first 2 shown]
	s_waitcnt lgkmcnt(0)
	s_barrier
                                        ; implicit-def: $sgpr2_sgpr3
	s_branch .LBB6_5
.LBB6_3:                                ;   in Loop: Header=BB6_5 Depth=1
	s_or_b64 exec, exec, s[8:9]
	s_waitcnt lgkmcnt(0)
	s_barrier
	ds_read_b32 v16, v4
	s_waitcnt lgkmcnt(0)
	s_barrier
	ds_bpermute_b32 v1, v1, v16
	v_cmp_ne_u32_e32 vcc, 0, v16
	s_waitcnt lgkmcnt(0)
	v_cmp_ne_u32_e64 s[2:3], 0, v1
	s_and_b64 s[2:3], vcc, s[2:3]
	v_cndmask_b32_e64 v1, 0, 1, s[2:3]
	ds_bpermute_b32 v1, v12, v1
	s_waitcnt lgkmcnt(0)
	v_cmp_ne_u32_e32 vcc, 0, v1
	s_and_b64 s[2:3], vcc, s[2:3]
	v_cndmask_b32_e64 v1, 0, 1, s[2:3]
	ds_bpermute_b32 v1, v13, v1
	s_waitcnt lgkmcnt(0)
	v_cmp_ne_u32_e32 vcc, 0, v1
	s_and_b64 s[2:3], vcc, s[2:3]
	v_cndmask_b32_e64 v1, 0, 1, s[2:3]
	ds_bpermute_b32 v1, v14, v1
	s_waitcnt lgkmcnt(0)
	v_cmp_ne_u32_e32 vcc, 0, v1
	s_and_b64 s[2:3], vcc, s[2:3]
	v_cndmask_b32_e64 v1, 0, 1, s[2:3]
	ds_bpermute_b32 v1, v15, v1
	s_xor_b64 s[2:3], s[2:3], -1
	s_waitcnt lgkmcnt(0)
	v_cmp_eq_u32_e32 vcc, 0, v1
	s_or_b64 s[2:3], vcc, s[2:3]
.LBB6_4:                                ;   in Loop: Header=BB6_5 Depth=1
	s_and_b64 s[8:9], exec, s[2:3]
	s_or_b64 s[4:5], s[8:9], s[4:5]
	v_mov_b32_e32 v1, s12
	s_mov_b32 s12, s18
	s_andn2_b64 exec, exec, s[4:5]
	s_cbranch_execz .LBB6_12
.LBB6_5:                                ; =>This Inner Loop Header: Depth=1
	s_add_i32 s18, s12, 0xffffff00
	s_or_b64 s[2:3], s[2:3], exec
	s_cmp_lt_i32 s18, 0
	s_cbranch_scc1 .LBB6_4
; %bb.6:                                ;   in Loop: Header=BB6_5 Depth=1
	s_lshr_b32 s2, s18, 1
	v_add_u32_e32 v1, s2, v0
	v_lshlrev_b64 v[12:13], 2, v[1:2]
	v_mov_b32_e32 v14, s16
	v_add_co_u32_e32 v12, vcc, s14, v12
	v_addc_co_u32_e32 v13, vcc, v14, v13, vcc
	global_load_dword v12, v[12:13], off
	s_waitcnt vmcnt(0)
	v_cmp_class_f16_e64 s[2:3], v12, s17
	v_cmp_class_f16_sdwa s[8:9], v12, s17 src0_sel:WORD_1 src1_sel:DWORD
	s_and_b64 s[8:9], s[2:3], s[8:9]
	v_mov_b32_e32 v12, 0
	s_and_saveexec_b64 s[2:3], s[8:9]
	s_cbranch_execz .LBB6_10
; %bb.7:                                ;   in Loop: Header=BB6_5 Depth=1
	v_add_u32_e32 v12, s13, v1
	v_ashrrev_i32_e32 v13, 31, v12
	v_lshlrev_b64 v[12:13], 2, v[12:13]
	v_mov_b32_e32 v1, s16
	v_add_co_u32_e32 v12, vcc, s14, v12
	v_addc_co_u32_e32 v13, vcc, v1, v13, vcc
	global_load_dword v1, v[12:13], off
	v_mov_b32_e32 v12, 0
	s_waitcnt vmcnt(0)
	v_cmp_class_f16_e64 s[20:21], v1, s17
	s_and_saveexec_b64 s[8:9], s[20:21]
; %bb.8:                                ;   in Loop: Header=BB6_5 Depth=1
	v_cmp_class_f16_sdwa s[20:21], v1, s17 src0_sel:WORD_1 src1_sel:DWORD
	v_cndmask_b32_e64 v12, 0, 1, s[20:21]
; %bb.9:                                ;   in Loop: Header=BB6_5 Depth=1
	s_or_b64 exec, exec, s[8:9]
.LBB6_10:                               ;   in Loop: Header=BB6_5 Depth=1
	s_or_b64 exec, exec, s[2:3]
	v_cmp_lt_i32_e32 vcc, v7, v6
	v_cndmask_b32_e32 v1, v5, v7, vcc
	v_lshlrev_b32_e32 v1, 2, v1
	ds_bpermute_b32 v13, v1, v12
	v_cmp_ne_u32_e32 vcc, 0, v12
	s_waitcnt lgkmcnt(0)
	v_cmp_ne_u32_e64 s[2:3], 0, v13
	s_and_b64 s[2:3], vcc, s[2:3]
	v_cmp_lt_i32_e32 vcc, v8, v6
	v_cndmask_b32_e32 v12, v5, v8, vcc
	v_cndmask_b32_e64 v13, 0, 1, s[2:3]
	v_lshlrev_b32_e32 v12, 2, v12
	ds_bpermute_b32 v13, v12, v13
	s_waitcnt lgkmcnt(0)
	v_cmp_ne_u32_e32 vcc, 0, v13
	s_and_b64 s[2:3], vcc, s[2:3]
	v_cmp_lt_i32_e32 vcc, v9, v6
	v_cndmask_b32_e32 v13, v5, v9, vcc
	v_cndmask_b32_e64 v14, 0, 1, s[2:3]
	v_lshlrev_b32_e32 v13, 2, v13
	ds_bpermute_b32 v14, v13, v14
	s_waitcnt lgkmcnt(0)
	v_cmp_ne_u32_e32 vcc, 0, v14
	;; [unrolled: 8-line block ×3, first 2 shown]
	s_and_b64 s[2:3], vcc, s[2:3]
	v_cmp_lt_i32_e32 vcc, v11, v6
	v_cndmask_b32_e32 v15, v5, v11, vcc
	v_cndmask_b32_e64 v16, 0, 1, s[2:3]
	v_lshlrev_b32_e32 v15, 2, v15
	ds_bpermute_b32 v16, v15, v16
	s_and_saveexec_b64 s[8:9], s[0:1]
	s_cbranch_execz .LBB6_3
; %bb.11:                               ;   in Loop: Header=BB6_5 Depth=1
	s_waitcnt lgkmcnt(0)
	v_cmp_ne_u32_e32 vcc, 0, v16
	s_and_b64 s[2:3], vcc, s[2:3]
	v_cndmask_b32_e64 v16, 0, 1, s[2:3]
	ds_write_b32 v3, v16
	s_branch .LBB6_3
.LBB6_12:
	s_or_b64 exec, exec, s[4:5]
	v_cmp_eq_u32_e32 vcc, 0, v0
	s_and_saveexec_b64 s[0:1], vcc
	s_cbranch_execz .LBB6_14
; %bb.13:
	s_mul_i32 s0, s15, s7
	s_add_i32 s0, s0, s6
	s_ashr_i32 s1, s0, 31
	s_lshl_b64 s[0:1], s[0:1], 2
	s_add_u32 s0, s10, s0
	s_addc_u32 s1, s11, s1
	v_mov_b32_e32 v0, 0
	global_store_dword v0, v1, s[0:1]
.LBB6_14:
	s_endpgm
	.section	.rodata,"a",@progbits
	.p2align	6, 0x0
	.amdhsa_kernel _ZL25flash_attn_mask_to_KV_maxILi2EEvPK7__half2Piiii
		.amdhsa_group_segment_fixed_size 128
		.amdhsa_private_segment_fixed_size 0
		.amdhsa_kernarg_size 288
		.amdhsa_user_sgpr_count 6
		.amdhsa_user_sgpr_private_segment_buffer 1
		.amdhsa_user_sgpr_dispatch_ptr 0
		.amdhsa_user_sgpr_queue_ptr 0
		.amdhsa_user_sgpr_kernarg_segment_ptr 1
		.amdhsa_user_sgpr_dispatch_id 0
		.amdhsa_user_sgpr_flat_scratch_init 0
		.amdhsa_user_sgpr_private_segment_size 0
		.amdhsa_uses_dynamic_stack 0
		.amdhsa_system_sgpr_private_segment_wavefront_offset 0
		.amdhsa_system_sgpr_workgroup_id_x 1
		.amdhsa_system_sgpr_workgroup_id_y 1
		.amdhsa_system_sgpr_workgroup_id_z 0
		.amdhsa_system_sgpr_workgroup_info 0
		.amdhsa_system_vgpr_workitem_id 0
		.amdhsa_next_free_vgpr 17
		.amdhsa_next_free_sgpr 22
		.amdhsa_reserve_vcc 1
		.amdhsa_reserve_flat_scratch 0
		.amdhsa_float_round_mode_32 0
		.amdhsa_float_round_mode_16_64 0
		.amdhsa_float_denorm_mode_32 3
		.amdhsa_float_denorm_mode_16_64 3
		.amdhsa_dx10_clamp 1
		.amdhsa_ieee_mode 1
		.amdhsa_fp16_overflow 0
		.amdhsa_exception_fp_ieee_invalid_op 0
		.amdhsa_exception_fp_denorm_src 0
		.amdhsa_exception_fp_ieee_div_zero 0
		.amdhsa_exception_fp_ieee_overflow 0
		.amdhsa_exception_fp_ieee_underflow 0
		.amdhsa_exception_fp_ieee_inexact 0
		.amdhsa_exception_int_div_zero 0
	.end_amdhsa_kernel
	.section	.text._ZL25flash_attn_mask_to_KV_maxILi2EEvPK7__half2Piiii,"axG",@progbits,_ZL25flash_attn_mask_to_KV_maxILi2EEvPK7__half2Piiii,comdat
.Lfunc_end6:
	.size	_ZL25flash_attn_mask_to_KV_maxILi2EEvPK7__half2Piiii, .Lfunc_end6-_ZL25flash_attn_mask_to_KV_maxILi2EEvPK7__half2Piiii
                                        ; -- End function
	.set _ZL25flash_attn_mask_to_KV_maxILi2EEvPK7__half2Piiii.num_vgpr, 17
	.set _ZL25flash_attn_mask_to_KV_maxILi2EEvPK7__half2Piiii.num_agpr, 0
	.set _ZL25flash_attn_mask_to_KV_maxILi2EEvPK7__half2Piiii.numbered_sgpr, 22
	.set _ZL25flash_attn_mask_to_KV_maxILi2EEvPK7__half2Piiii.num_named_barrier, 0
	.set _ZL25flash_attn_mask_to_KV_maxILi2EEvPK7__half2Piiii.private_seg_size, 0
	.set _ZL25flash_attn_mask_to_KV_maxILi2EEvPK7__half2Piiii.uses_vcc, 1
	.set _ZL25flash_attn_mask_to_KV_maxILi2EEvPK7__half2Piiii.uses_flat_scratch, 0
	.set _ZL25flash_attn_mask_to_KV_maxILi2EEvPK7__half2Piiii.has_dyn_sized_stack, 0
	.set _ZL25flash_attn_mask_to_KV_maxILi2EEvPK7__half2Piiii.has_recursion, 0
	.set _ZL25flash_attn_mask_to_KV_maxILi2EEvPK7__half2Piiii.has_indirect_call, 0
	.section	.AMDGPU.csdata,"",@progbits
; Kernel info:
; codeLenInByte = 836
; TotalNumSgprs: 26
; NumVgprs: 17
; ScratchSize: 0
; MemoryBound: 0
; FloatMode: 240
; IeeeMode: 1
; LDSByteSize: 128 bytes/workgroup (compile time only)
; SGPRBlocks: 3
; VGPRBlocks: 4
; NumSGPRsForWavesPerEU: 26
; NumVGPRsForWavesPerEU: 17
; Occupancy: 10
; WaveLimiterHint : 0
; COMPUTE_PGM_RSRC2:SCRATCH_EN: 0
; COMPUTE_PGM_RSRC2:USER_SGPR: 6
; COMPUTE_PGM_RSRC2:TRAP_HANDLER: 0
; COMPUTE_PGM_RSRC2:TGID_X_EN: 1
; COMPUTE_PGM_RSRC2:TGID_Y_EN: 1
; COMPUTE_PGM_RSRC2:TGID_Z_EN: 0
; COMPUTE_PGM_RSRC2:TIDIG_COMP_CNT: 0
	.section	.text._ZL33flash_attn_stream_k_fixup_uniformILi256ELi2ELi8EEvPfPK15HIP_vector_typeIfLj2EEiiiiiiS1_IjLj3EES5_S5_,"axG",@progbits,_ZL33flash_attn_stream_k_fixup_uniformILi256ELi2ELi8EEvPfPK15HIP_vector_typeIfLj2EEiiiiiiS1_IjLj3EES5_S5_,comdat
	.globl	_ZL33flash_attn_stream_k_fixup_uniformILi256ELi2ELi8EEvPfPK15HIP_vector_typeIfLj2EEiiiiiiS1_IjLj3EES5_S5_ ; -- Begin function _ZL33flash_attn_stream_k_fixup_uniformILi256ELi2ELi8EEvPfPK15HIP_vector_typeIfLj2EEiiiiiiS1_IjLj3EES5_S5_
	.p2align	8
	.type	_ZL33flash_attn_stream_k_fixup_uniformILi256ELi2ELi8EEvPfPK15HIP_vector_typeIfLj2EEiiiiiiS1_IjLj3EES5_S5_,@function
_ZL33flash_attn_stream_k_fixup_uniformILi256ELi2ELi8EEvPfPK15HIP_vector_typeIfLj2EEiiiiiiS1_IjLj3EES5_S5_: ; @_ZL33flash_attn_stream_k_fixup_uniformILi256ELi2ELi8EEvPfPK15HIP_vector_typeIfLj2EEiiiiiiS1_IjLj3EES5_S5_
; %bb.0:
	s_load_dwordx8 s[12:19], s[4:5], 0x1c
	s_load_dwordx2 s[10:11], s[4:5], 0x10
	s_load_dwordx4 s[0:3], s[4:5], 0x3c
	s_waitcnt lgkmcnt(0)
	s_mul_hi_u32 s9, s15, s6
	s_add_i32 s9, s6, s9
	s_lshr_b32 s9, s9, s16
	s_mul_i32 s15, s9, s17
	s_sub_i32 s15, s6, s15
	s_mul_hi_u32 s16, s15, s18
	s_add_i32 s16, s15, s16
	s_lshr_b32 s16, s16, s19
	s_mul_i32 s0, s16, s0
	s_sub_i32 s0, s15, s0
	;; [unrolled: 5-line block ×3, first 2 shown]
	s_lshl_b32 s0, s17, 1
	s_lshl_b32 s15, s1, 3
	s_add_i32 s0, s0, s7
	s_cmp_lt_i32 s0, s10
	s_cselect_b64 s[0:1], -1, 0
	s_add_i32 s2, s15, s8
	s_cmp_lt_i32 s2, s13
	s_cselect_b64 s[2:3], -1, 0
	s_and_b64 s[0:1], s[0:1], s[2:3]
	s_andn2_b64 vcc, exec, s[0:1]
	s_cbranch_vccnz .LBB7_6
; %bb.1:
	s_load_dwordx4 s[0:3], s[4:5], 0x0
	s_mul_i32 s4, s9, s10
	s_add_i32 s4, s4, s7
	s_mul_i32 s4, s4, s11
	s_mul_i32 s16, s16, s13
	s_add_i32 s4, s4, s8
	s_add_i32 s4, s4, s16
	s_mul_i32 s5, s11, s17
	s_add_i32 s4, s4, s15
	s_lshl_b32 s5, s5, 9
	s_lshl_b32 s4, s4, 8
	s_add_i32 s5, s5, s4
	v_or_b32_e32 v1, s5, v0
	v_ashrrev_i32_e32 v2, 31, v1
	v_lshlrev_b64 v[1:2], 2, v[1:2]
	s_waitcnt lgkmcnt(0)
	v_mov_b32_e32 v3, s1
	v_add_co_u32_e32 v1, vcc, s0, v1
	v_addc_co_u32_e32 v2, vcc, v3, v2, vcc
	global_load_dword v8, v[1:2], off
	s_mul_i32 s9, s14, s6
	s_lshl_b32 s4, s7, 3
	s_add_i32 s11, s9, s14
	s_add_i32 s0, s4, s8
	s_lshl_b32 s1, s11, 4
	s_add_i32 s0, s0, s1
	s_add_i32 s0, s0, -16
	s_ashr_i32 s1, s0, 31
	s_lshl_b64 s[0:1], s[0:1], 3
	s_add_u32 s0, s2, s0
	s_addc_u32 s1, s3, s1
	s_load_dword s5, s[0:1], 0x4
	s_add_i32 s10, s11, -2
	s_cmp_lt_i32 s10, s9
	s_cbranch_scc1 .LBB7_4
; %bb.2:
	s_lshl_b32 s16, s12, 6
	s_ashr_i32 s17, s16, 31
	s_lshl_b64 s[16:17], s[16:17], 2
	s_add_u32 s10, s2, s16
	s_addc_u32 s13, s3, s17
	s_add_i32 s6, s6, 1
	s_load_dword s0, s[0:1], 0x0
	s_mul_i32 s1, s14, s6
	s_lshl_b32 s7, s7, 11
	s_lshl_b32 s14, s8, 8
	;; [unrolled: 1-line block ×3, first 2 shown]
	s_add_i32 s7, s14, s7
	s_lshl_b32 s1, s1, 4
	s_add_i32 s7, s7, s6
	s_add_i32 s1, s8, s1
	s_lshl_b32 s6, s12, 4
	s_add_i32 s1, s1, s6
	v_or_b32_e32 v0, s7, v0
	s_add_i32 s1, s1, s4
	s_add_i32 s11, s11, -1
	v_add_u32_e32 v3, 0xffffe000, v0
	s_sub_i32 s4, s1, 32
	s_waitcnt lgkmcnt(0)
	v_mov_b32_e32 v7, s5
	v_mov_b32_e32 v6, s0
	;; [unrolled: 1-line block ×3, first 2 shown]
	s_mov_b32 s6, 0x3fb8aa3b
	s_mov_b32 s7, 0xc2ce8ed0
	;; [unrolled: 1-line block ×3, first 2 shown]
	v_mov_b32_e32 v5, 0x7f800000
	s_mov_b32 s12, 0xc1a00000
.LBB7_3:                                ; =>This Inner Loop Header: Depth=1
	v_ashrrev_i32_e32 v4, 31, v3
	v_lshlrev_b64 v[9:10], 2, v[3:4]
	s_ashr_i32 s5, s4, 31
	v_add_co_u32_e32 v9, vcc, s10, v9
	v_addc_co_u32_e32 v10, vcc, v0, v10, vcc
	global_load_dword v4, v[9:10], off
	s_lshl_b64 s[0:1], s[4:5], 3
	s_add_u32 s0, s2, s0
	s_addc_u32 s1, s3, s1
	s_load_dwordx2 s[14:15], s[0:1], 0x0
	s_waitcnt vmcnt(1)
	v_mov_b32_e32 v9, v8
	v_max_f32_e32 v8, v6, v6
	v_mov_b32_e32 v10, v7
	s_add_i32 s11, s11, -1
	s_waitcnt lgkmcnt(0)
	v_max_f32_e64 v7, s14, s14
	v_max_f32_e32 v7, v8, v7
	v_sub_f32_e32 v11, s14, v7
	v_sub_f32_e32 v8, v6, v7
	v_mul_f32_e32 v12, 0x3fb8aa3b, v11
	v_mov_b32_e32 v6, v7
	v_mul_f32_e32 v7, 0x3fb8aa3b, v8
	v_fma_f32 v15, v11, s6, -v12
	v_rndne_f32_e32 v16, v12
	v_fma_f32 v13, v8, s6, -v7
	v_rndne_f32_e32 v14, v7
	v_fmac_f32_e32 v15, 0x32a5705f, v11
	v_sub_f32_e32 v12, v12, v16
	v_fmac_f32_e32 v13, 0x32a5705f, v8
	v_sub_f32_e32 v7, v7, v14
	v_add_f32_e32 v12, v12, v15
	v_cvt_i32_f32_e32 v16, v16
	v_add_f32_e32 v7, v7, v13
	v_exp_f32_e32 v12, v12
	v_cvt_i32_f32_e32 v14, v14
	v_exp_f32_e32 v7, v7
	v_cmp_ngt_f32_e32 vcc, s7, v11
	v_ldexp_f32 v12, v12, v16
	v_cmp_ngt_f32_e64 s[0:1], s7, v8
	v_ldexp_f32 v7, v7, v14
	v_cndmask_b32_e32 v12, 0, v12, vcc
	v_cmp_nlt_f32_e32 vcc, s8, v11
	v_cndmask_b32_e64 v7, 0, v7, s[0:1]
	v_cmp_nlt_f32_e64 s[0:1], s8, v8
	v_cndmask_b32_e32 v12, v5, v12, vcc
	v_cmp_le_f32_e32 vcc, s12, v11
	v_cndmask_b32_e64 v7, v5, v7, s[0:1]
	v_cmp_le_f32_e64 s[0:1], s12, v8
	v_cndmask_b32_e32 v8, 0, v12, vcc
	s_add_i32 s4, s4, -16
	v_cndmask_b32_e64 v11, 0, v7, s[0:1]
	v_mul_f32_e32 v7, s15, v8
	v_add_u32_e32 v3, 0xfffff000, v3
	s_cmp_le_i32 s11, s9
	v_fmac_f32_e32 v7, v10, v11
	s_waitcnt vmcnt(0)
	v_mul_f32_e32 v8, v4, v8
	v_fmac_f32_e32 v8, v9, v11
	s_cbranch_scc0 .LBB7_3
	s_branch .LBB7_5
.LBB7_4:
	s_waitcnt lgkmcnt(0)
	v_mov_b32_e32 v7, s5
.LBB7_5:
	s_waitcnt vmcnt(0)
	v_div_scale_f32 v0, s[0:1], v7, v7, v8
	v_div_scale_f32 v3, vcc, v8, v7, v8
	v_rcp_f32_e32 v4, v0
	v_fma_f32 v5, -v0, v4, 1.0
	v_fmac_f32_e32 v4, v5, v4
	v_mul_f32_e32 v5, v3, v4
	v_fma_f32 v6, -v0, v5, v3
	v_fmac_f32_e32 v5, v6, v4
	v_fma_f32 v0, -v0, v5, v3
	v_div_fmas_f32 v0, v0, v4, v5
	v_div_fixup_f32 v0, v0, v7, v8
	global_store_dword v[1:2], v0, off
.LBB7_6:
	s_endpgm
	.section	.rodata,"a",@progbits
	.p2align	6, 0x0
	.amdhsa_kernel _ZL33flash_attn_stream_k_fixup_uniformILi256ELi2ELi8EEvPfPK15HIP_vector_typeIfLj2EEiiiiiiS1_IjLj3EES5_S5_
		.amdhsa_group_segment_fixed_size 0
		.amdhsa_private_segment_fixed_size 0
		.amdhsa_kernarg_size 76
		.amdhsa_user_sgpr_count 6
		.amdhsa_user_sgpr_private_segment_buffer 1
		.amdhsa_user_sgpr_dispatch_ptr 0
		.amdhsa_user_sgpr_queue_ptr 0
		.amdhsa_user_sgpr_kernarg_segment_ptr 1
		.amdhsa_user_sgpr_dispatch_id 0
		.amdhsa_user_sgpr_flat_scratch_init 0
		.amdhsa_user_sgpr_private_segment_size 0
		.amdhsa_uses_dynamic_stack 0
		.amdhsa_system_sgpr_private_segment_wavefront_offset 0
		.amdhsa_system_sgpr_workgroup_id_x 1
		.amdhsa_system_sgpr_workgroup_id_y 1
		.amdhsa_system_sgpr_workgroup_id_z 1
		.amdhsa_system_sgpr_workgroup_info 0
		.amdhsa_system_vgpr_workitem_id 0
		.amdhsa_next_free_vgpr 17
		.amdhsa_next_free_sgpr 20
		.amdhsa_reserve_vcc 1
		.amdhsa_reserve_flat_scratch 0
		.amdhsa_float_round_mode_32 0
		.amdhsa_float_round_mode_16_64 0
		.amdhsa_float_denorm_mode_32 3
		.amdhsa_float_denorm_mode_16_64 3
		.amdhsa_dx10_clamp 1
		.amdhsa_ieee_mode 1
		.amdhsa_fp16_overflow 0
		.amdhsa_exception_fp_ieee_invalid_op 0
		.amdhsa_exception_fp_denorm_src 0
		.amdhsa_exception_fp_ieee_div_zero 0
		.amdhsa_exception_fp_ieee_overflow 0
		.amdhsa_exception_fp_ieee_underflow 0
		.amdhsa_exception_fp_ieee_inexact 0
		.amdhsa_exception_int_div_zero 0
	.end_amdhsa_kernel
	.section	.text._ZL33flash_attn_stream_k_fixup_uniformILi256ELi2ELi8EEvPfPK15HIP_vector_typeIfLj2EEiiiiiiS1_IjLj3EES5_S5_,"axG",@progbits,_ZL33flash_attn_stream_k_fixup_uniformILi256ELi2ELi8EEvPfPK15HIP_vector_typeIfLj2EEiiiiiiS1_IjLj3EES5_S5_,comdat
.Lfunc_end7:
	.size	_ZL33flash_attn_stream_k_fixup_uniformILi256ELi2ELi8EEvPfPK15HIP_vector_typeIfLj2EEiiiiiiS1_IjLj3EES5_S5_, .Lfunc_end7-_ZL33flash_attn_stream_k_fixup_uniformILi256ELi2ELi8EEvPfPK15HIP_vector_typeIfLj2EEiiiiiiS1_IjLj3EES5_S5_
                                        ; -- End function
	.set _ZL33flash_attn_stream_k_fixup_uniformILi256ELi2ELi8EEvPfPK15HIP_vector_typeIfLj2EEiiiiiiS1_IjLj3EES5_S5_.num_vgpr, 17
	.set _ZL33flash_attn_stream_k_fixup_uniformILi256ELi2ELi8EEvPfPK15HIP_vector_typeIfLj2EEiiiiiiS1_IjLj3EES5_S5_.num_agpr, 0
	.set _ZL33flash_attn_stream_k_fixup_uniformILi256ELi2ELi8EEvPfPK15HIP_vector_typeIfLj2EEiiiiiiS1_IjLj3EES5_S5_.numbered_sgpr, 20
	.set _ZL33flash_attn_stream_k_fixup_uniformILi256ELi2ELi8EEvPfPK15HIP_vector_typeIfLj2EEiiiiiiS1_IjLj3EES5_S5_.num_named_barrier, 0
	.set _ZL33flash_attn_stream_k_fixup_uniformILi256ELi2ELi8EEvPfPK15HIP_vector_typeIfLj2EEiiiiiiS1_IjLj3EES5_S5_.private_seg_size, 0
	.set _ZL33flash_attn_stream_k_fixup_uniformILi256ELi2ELi8EEvPfPK15HIP_vector_typeIfLj2EEiiiiiiS1_IjLj3EES5_S5_.uses_vcc, 1
	.set _ZL33flash_attn_stream_k_fixup_uniformILi256ELi2ELi8EEvPfPK15HIP_vector_typeIfLj2EEiiiiiiS1_IjLj3EES5_S5_.uses_flat_scratch, 0
	.set _ZL33flash_attn_stream_k_fixup_uniformILi256ELi2ELi8EEvPfPK15HIP_vector_typeIfLj2EEiiiiiiS1_IjLj3EES5_S5_.has_dyn_sized_stack, 0
	.set _ZL33flash_attn_stream_k_fixup_uniformILi256ELi2ELi8EEvPfPK15HIP_vector_typeIfLj2EEiiiiiiS1_IjLj3EES5_S5_.has_recursion, 0
	.set _ZL33flash_attn_stream_k_fixup_uniformILi256ELi2ELi8EEvPfPK15HIP_vector_typeIfLj2EEiiiiiiS1_IjLj3EES5_S5_.has_indirect_call, 0
	.section	.AMDGPU.csdata,"",@progbits
; Kernel info:
; codeLenInByte = 856
; TotalNumSgprs: 24
; NumVgprs: 17
; ScratchSize: 0
; MemoryBound: 0
; FloatMode: 240
; IeeeMode: 1
; LDSByteSize: 0 bytes/workgroup (compile time only)
; SGPRBlocks: 2
; VGPRBlocks: 4
; NumSGPRsForWavesPerEU: 24
; NumVGPRsForWavesPerEU: 17
; Occupancy: 10
; WaveLimiterHint : 0
; COMPUTE_PGM_RSRC2:SCRATCH_EN: 0
; COMPUTE_PGM_RSRC2:USER_SGPR: 6
; COMPUTE_PGM_RSRC2:TRAP_HANDLER: 0
; COMPUTE_PGM_RSRC2:TGID_X_EN: 1
; COMPUTE_PGM_RSRC2:TGID_Y_EN: 1
; COMPUTE_PGM_RSRC2:TGID_Z_EN: 1
; COMPUTE_PGM_RSRC2:TIDIG_COMP_CNT: 0
	.section	.text._ZL33flash_attn_stream_k_fixup_generalILi256ELi2ELi8EEvPfPK15HIP_vector_typeIfLj2EEiiiiS1_IjLj3EES5_S5_S5_,"axG",@progbits,_ZL33flash_attn_stream_k_fixup_generalILi256ELi2ELi8EEvPfPK15HIP_vector_typeIfLj2EEiiiiS1_IjLj3EES5_S5_S5_,comdat
	.globl	_ZL33flash_attn_stream_k_fixup_generalILi256ELi2ELi8EEvPfPK15HIP_vector_typeIfLj2EEiiiiS1_IjLj3EES5_S5_S5_ ; -- Begin function _ZL33flash_attn_stream_k_fixup_generalILi256ELi2ELi8EEvPfPK15HIP_vector_typeIfLj2EEiiiiS1_IjLj3EES5_S5_S5_
	.p2align	8
	.type	_ZL33flash_attn_stream_k_fixup_generalILi256ELi2ELi8EEvPfPK15HIP_vector_typeIfLj2EEiiiiS1_IjLj3EES5_S5_S5_,@function
_ZL33flash_attn_stream_k_fixup_generalILi256ELi2ELi8EEvPfPK15HIP_vector_typeIfLj2EEiiiiS1_IjLj3EES5_S5_S5_: ; @_ZL33flash_attn_stream_k_fixup_generalILi256ELi2ELi8EEvPfPK15HIP_vector_typeIfLj2EEiiiiS1_IjLj3EES5_S5_S5_
; %bb.0:
	s_load_dwordx4 s[0:3], s[4:5], 0x10
	s_load_dword s22, s[4:5], 0x50
	s_mov_b32 s12, 0
	s_waitcnt lgkmcnt(0)
	s_mul_hi_i32 s13, s3, s6
	s_cmp_lg_u64 s[12:13], 0
	s_mul_i32 s9, s3, s6
	s_cbranch_scc0 .LBB8_20
; %bb.1:
	s_add_u32 s10, s22, 0
	s_addc_u32 s11, 0, 0
	s_xor_b64 s[10:11], s[10:11], 0
	v_cvt_f32_u32_e32 v1, s10
	v_cvt_f32_u32_e32 v2, s11
	s_sub_u32 s12, 0, s10
	s_subb_u32 s18, 0, s11
	v_madmk_f32 v1, v2, 0x4f800000, v1
	v_rcp_f32_e32 v1, v1
	v_mul_f32_e32 v1, 0x5f7ffffc, v1
	v_mul_f32_e32 v2, 0x2f800000, v1
	v_trunc_f32_e32 v2, v2
	v_madmk_f32 v1, v2, 0xcf800000, v1
	v_cvt_u32_f32_e32 v2, v2
	v_cvt_u32_f32_e32 v1, v1
	v_readfirstlane_b32 s19, v2
	v_readfirstlane_b32 s14, v1
	s_mul_i32 s15, s12, s19
	s_mul_hi_u32 s21, s12, s14
	s_mul_i32 s20, s18, s14
	s_add_i32 s15, s21, s15
	s_add_i32 s15, s15, s20
	s_mul_i32 s23, s12, s14
	s_mul_i32 s21, s14, s15
	s_mul_hi_u32 s24, s14, s23
	s_mul_hi_u32 s20, s14, s15
	s_add_u32 s21, s24, s21
	s_addc_u32 s20, 0, s20
	s_mul_hi_u32 s25, s19, s23
	s_mul_i32 s23, s19, s23
	s_add_u32 s21, s21, s23
	s_mul_hi_u32 s24, s19, s15
	s_addc_u32 s20, s20, s25
	s_addc_u32 s21, s24, 0
	s_mul_i32 s15, s19, s15
	s_add_u32 s15, s20, s15
	s_addc_u32 s20, 0, s21
	s_add_u32 s21, s14, s15
	s_cselect_b64 s[14:15], -1, 0
	s_cmp_lg_u64 s[14:15], 0
	s_addc_u32 s19, s19, s20
	s_mul_i32 s14, s12, s19
	s_mul_hi_u32 s15, s12, s21
	s_add_i32 s14, s15, s14
	s_mul_i32 s18, s18, s21
	s_add_i32 s14, s14, s18
	s_mul_i32 s12, s12, s21
	s_mul_hi_u32 s18, s19, s12
	s_mul_i32 s20, s19, s12
	s_mul_i32 s24, s21, s14
	s_mul_hi_u32 s12, s21, s12
	s_mul_hi_u32 s23, s21, s14
	s_add_u32 s12, s12, s24
	s_addc_u32 s23, 0, s23
	s_add_u32 s12, s12, s20
	s_mul_hi_u32 s15, s19, s14
	s_addc_u32 s12, s23, s18
	s_addc_u32 s15, s15, 0
	s_mul_i32 s14, s19, s14
	s_add_u32 s12, s12, s14
	s_addc_u32 s18, 0, s15
	s_add_u32 s20, s21, s12
	s_cselect_b64 s[14:15], -1, 0
	s_cmp_lg_u64 s[14:15], 0
	s_addc_u32 s18, s19, s18
	s_ashr_i32 s14, s13, 31
	s_add_u32 s12, s9, s14
	s_mov_b32 s15, s14
	s_addc_u32 s13, s13, s14
	s_xor_b64 s[12:13], s[12:13], s[14:15]
	s_mul_i32 s21, s12, s18
	s_mul_hi_u32 s23, s12, s20
	s_mul_hi_u32 s19, s12, s18
	s_add_u32 s21, s23, s21
	s_addc_u32 s19, 0, s19
	s_mul_hi_u32 s24, s13, s20
	s_mul_i32 s20, s13, s20
	s_add_u32 s20, s21, s20
	s_mul_hi_u32 s23, s13, s18
	s_addc_u32 s19, s19, s24
	s_addc_u32 s20, s23, 0
	s_mul_i32 s18, s13, s18
	s_add_u32 s23, s19, s18
	s_addc_u32 s24, 0, s20
	s_mul_i32 s18, s10, s24
	s_mul_hi_u32 s19, s10, s23
	s_add_i32 s18, s19, s18
	s_mul_i32 s19, s11, s23
	s_add_i32 s25, s18, s19
	s_sub_i32 s20, s13, s25
	s_mul_i32 s18, s10, s23
	s_sub_u32 s12, s12, s18
	s_cselect_b64 s[18:19], -1, 0
	s_cmp_lg_u64 s[18:19], 0
	s_subb_u32 s26, s20, s11
	s_sub_u32 s27, s12, s10
	s_cselect_b64 s[20:21], -1, 0
	s_cmp_lg_u64 s[20:21], 0
	s_subb_u32 s20, s26, 0
	s_cmp_ge_u32 s20, s11
	s_cselect_b32 s21, -1, 0
	s_cmp_ge_u32 s27, s10
	s_cselect_b32 s26, -1, 0
	s_cmp_eq_u32 s20, s11
	s_cselect_b32 s20, s26, s21
	s_add_u32 s21, s23, 1
	s_addc_u32 s26, s24, 0
	s_add_u32 s27, s23, 2
	s_addc_u32 s28, s24, 0
	s_cmp_lg_u32 s20, 0
	s_cselect_b32 s20, s27, s21
	s_cselect_b32 s21, s28, s26
	s_cmp_lg_u64 s[18:19], 0
	s_subb_u32 s13, s13, s25
	s_cmp_ge_u32 s13, s11
	s_cselect_b32 s18, -1, 0
	s_cmp_ge_u32 s12, s10
	s_cselect_b32 s10, -1, 0
	s_cmp_eq_u32 s13, s11
	s_cselect_b32 s10, s10, s18
	s_cmp_lg_u32 s10, 0
	s_cselect_b32 s11, s21, s24
	s_cselect_b32 s10, s20, s23
	s_xor_b64 s[12:13], s[14:15], 0
	s_xor_b64 s[10:11], s[10:11], s[12:13]
	s_sub_u32 s10, s10, s12
	s_load_dwordx4 s[12:15], s[4:5], 0x44
	s_cbranch_execnz .LBB8_3
.LBB8_2:
	v_cvt_f32_u32_e32 v1, s22
	s_sub_i32 s10, 0, s22
	v_rcp_iflag_f32_e32 v1, v1
	v_mul_f32_e32 v1, 0x4f7ffffe, v1
	v_cvt_u32_f32_e32 v1, v1
	v_readfirstlane_b32 s11, v1
	s_mul_i32 s10, s10, s11
	s_mul_hi_u32 s10, s11, s10
	s_add_i32 s11, s11, s10
	s_mul_hi_u32 s10, s9, s11
	s_waitcnt lgkmcnt(0)
	s_mul_i32 s15, s10, s22
	s_sub_i32 s9, s9, s15
	s_add_i32 s11, s10, 1
	s_sub_i32 s15, s9, s22
	s_cmp_ge_u32 s9, s22
	s_cselect_b32 s10, s11, s10
	s_cselect_b32 s9, s15, s9
	s_add_i32 s11, s10, 1
	s_cmp_ge_u32 s9, s22
	s_cselect_b32 s10, s11, s10
.LBB8_3:
	s_add_i32 s9, s6, 1
	s_mul_hi_i32 s21, s3, s9
	s_mov_b32 s20, 0
	s_cmp_lg_u64 s[20:21], 0
	s_mul_i32 s9, s3, s9
	s_cbranch_scc0 .LBB8_21
; %bb.4:
	s_add_u32 s16, s22, 0
	s_addc_u32 s17, 0, 0
	s_xor_b64 s[18:19], s[16:17], 0
	v_cvt_f32_u32_e32 v1, s18
	v_cvt_f32_u32_e32 v2, s19
	s_sub_u32 s11, 0, s18
	s_waitcnt lgkmcnt(0)
	s_subb_u32 s15, 0, s19
	v_madmk_f32 v1, v2, 0x4f800000, v1
	v_rcp_f32_e32 v1, v1
	v_mul_f32_e32 v1, 0x5f7ffffc, v1
	v_mul_f32_e32 v2, 0x2f800000, v1
	v_trunc_f32_e32 v2, v2
	v_madmk_f32 v1, v2, 0xcf800000, v1
	v_cvt_u32_f32_e32 v2, v2
	v_cvt_u32_f32_e32 v1, v1
	v_readfirstlane_b32 s20, v2
	v_readfirstlane_b32 s23, v1
	s_mul_i32 s24, s11, s20
	s_mul_hi_u32 s26, s11, s23
	s_mul_i32 s25, s15, s23
	s_add_i32 s24, s26, s24
	s_add_i32 s24, s24, s25
	s_mul_i32 s27, s11, s23
	s_mul_i32 s26, s23, s24
	s_mul_hi_u32 s28, s23, s27
	s_mul_hi_u32 s25, s23, s24
	s_add_u32 s26, s28, s26
	s_addc_u32 s25, 0, s25
	s_mul_hi_u32 s29, s20, s27
	s_mul_i32 s27, s20, s27
	s_add_u32 s26, s26, s27
	s_mul_hi_u32 s28, s20, s24
	s_addc_u32 s25, s25, s29
	s_addc_u32 s26, s28, 0
	s_mul_i32 s24, s20, s24
	s_add_u32 s24, s25, s24
	s_addc_u32 s26, 0, s26
	s_add_u32 s23, s23, s24
	s_cselect_b64 s[24:25], -1, 0
	s_cmp_lg_u64 s[24:25], 0
	s_addc_u32 s20, s20, s26
	s_mul_i32 s24, s11, s20
	s_mul_hi_u32 s25, s11, s23
	s_add_i32 s24, s25, s24
	s_mul_i32 s15, s15, s23
	s_add_i32 s24, s24, s15
	s_mul_i32 s11, s11, s23
	s_mul_hi_u32 s25, s20, s11
	s_mul_i32 s26, s20, s11
	s_mul_i32 s28, s23, s24
	s_mul_hi_u32 s11, s23, s11
	s_mul_hi_u32 s27, s23, s24
	s_add_u32 s11, s11, s28
	s_addc_u32 s27, 0, s27
	s_add_u32 s11, s11, s26
	s_mul_hi_u32 s15, s20, s24
	s_addc_u32 s11, s27, s25
	s_addc_u32 s15, s15, 0
	s_mul_i32 s24, s20, s24
	s_add_u32 s11, s11, s24
	s_addc_u32 s15, 0, s15
	s_add_u32 s11, s23, s11
	s_cselect_b64 s[24:25], -1, 0
	s_cmp_lg_u64 s[24:25], 0
	s_addc_u32 s15, s20, s15
	s_ashr_i32 s24, s21, 31
	s_add_u32 s20, s9, s24
	s_mov_b32 s25, s24
	s_addc_u32 s21, s21, s24
	s_xor_b64 s[20:21], s[20:21], s[24:25]
	s_mul_i32 s26, s20, s15
	s_mul_hi_u32 s27, s20, s11
	s_mul_hi_u32 s23, s20, s15
	s_add_u32 s26, s27, s26
	s_addc_u32 s23, 0, s23
	s_mul_hi_u32 s28, s21, s11
	s_mul_i32 s11, s21, s11
	s_add_u32 s11, s26, s11
	s_mul_hi_u32 s27, s21, s15
	s_addc_u32 s11, s23, s28
	s_addc_u32 s23, s27, 0
	s_mul_i32 s15, s21, s15
	s_add_u32 s11, s11, s15
	s_addc_u32 s15, 0, s23
	s_mul_i32 s23, s18, s15
	s_mul_hi_u32 s26, s18, s11
	s_add_i32 s23, s26, s23
	s_mul_i32 s26, s19, s11
	s_add_i32 s23, s23, s26
	s_sub_i32 s28, s21, s23
	s_mul_i32 s26, s18, s11
	s_sub_u32 s20, s20, s26
	s_cselect_b64 s[26:27], -1, 0
	s_cmp_lg_u64 s[26:27], 0
	s_subb_u32 s30, s28, s19
	s_sub_u32 s31, s20, s18
	s_cselect_b64 s[28:29], -1, 0
	s_cmp_lg_u64 s[28:29], 0
	s_subb_u32 s28, s30, 0
	s_cmp_ge_u32 s28, s19
	s_cselect_b32 s29, -1, 0
	s_cmp_ge_u32 s31, s18
	s_cselect_b32 s30, -1, 0
	s_cmp_eq_u32 s28, s19
	s_cselect_b32 s28, s30, s29
	s_add_u32 s29, s11, 1
	s_addc_u32 s30, s15, 0
	s_add_u32 s31, s11, 2
	s_addc_u32 s33, s15, 0
	s_cmp_lg_u32 s28, 0
	s_cselect_b32 s28, s31, s29
	s_cselect_b32 s29, s33, s30
	s_cmp_lg_u64 s[26:27], 0
	s_subb_u32 s21, s21, s23
	s_cmp_ge_u32 s21, s19
	s_cselect_b32 s23, -1, 0
	s_cmp_ge_u32 s20, s18
	s_cselect_b32 s18, -1, 0
	s_cmp_eq_u32 s21, s19
	s_cselect_b32 s18, s18, s23
	s_cmp_lg_u32 s18, 0
	s_cselect_b32 s19, s29, s15
	s_cselect_b32 s18, s28, s11
	s_xor_b64 s[20:21], s[24:25], 0
	s_xor_b64 s[18:19], s[18:19], s[20:21]
	s_sub_u32 s18, s18, s20
	s_cbranch_execnz .LBB8_6
.LBB8_5:
	v_cvt_f32_u32_e32 v1, s22
	s_sub_i32 s11, 0, s22
	v_rcp_iflag_f32_e32 v1, v1
	v_mul_f32_e32 v1, 0x4f7ffffe, v1
	v_cvt_u32_f32_e32 v1, v1
	s_waitcnt lgkmcnt(0)
	v_readfirstlane_b32 s15, v1
	s_mul_i32 s11, s11, s15
	s_mul_hi_u32 s11, s15, s11
	s_add_i32 s15, s15, s11
	s_mul_hi_u32 s11, s9, s15
	s_mul_i32 s16, s11, s22
	s_sub_i32 s9, s9, s16
	s_add_i32 s15, s11, 1
	s_sub_i32 s16, s9, s22
	s_cmp_ge_u32 s9, s22
	s_cselect_b32 s11, s15, s11
	s_cselect_b32 s9, s16, s9
	s_add_i32 s15, s11, 1
	s_cmp_ge_u32 s9, s22
	s_cselect_b32 s18, s15, s11
.LBB8_6:
	s_cmp_eq_u32 s10, s18
	s_waitcnt lgkmcnt(0)
	s_mul_hi_u32 s9, s10, s12
	s_cselect_b64 s[16:17], -1, 0
	s_add_i32 s9, s9, s10
	s_lshr_b32 s11, s9, s13
	s_mul_i32 s9, s11, s14
	s_cmp_eq_u32 s9, s10
	s_mul_hi_u32 s9, s18, s12
	s_cselect_b64 s[20:21], -1, 0
	s_add_i32 s9, s9, s18
	s_lshr_b32 s9, s9, s13
	s_cmp_eq_u32 s11, s9
	s_mul_i32 s9, s9, s14
	s_cselect_b64 s[24:25], -1, 0
	s_cmp_lg_u32 s9, s18
	s_cselect_b64 s[18:19], -1, 0
	s_and_b64 s[18:19], s[24:25], s[18:19]
	s_or_b64 s[16:17], s[16:17], s[20:21]
	s_or_b64 s[16:17], s[16:17], s[18:19]
	s_and_b64 vcc, exec, s[16:17]
	s_cbranch_vccnz .LBB8_23
; %bb.7:
	s_load_dwordx8 s[24:31], s[4:5], 0x20
	s_load_dword s15, s[4:5], 0x40
	s_waitcnt lgkmcnt(0)
	s_mul_hi_u32 s9, s10, s24
	s_add_i32 s9, s9, s10
	s_lshr_b32 s9, s9, s25
	s_mul_i32 s16, s9, s26
	s_sub_i32 s16, s10, s16
	s_mul_hi_u32 s17, s16, s27
	s_add_i32 s17, s16, s17
	s_lshr_b32 s23, s17, s28
	s_mul_i32 s17, s23, s29
	s_sub_i32 s16, s16, s17
	;; [unrolled: 5-line block ×3, first 2 shown]
	s_mul_hi_u32 s16, s15, s12
	s_add_i32 s15, s15, s16
	s_lshr_b32 s25, s15, s13
	s_lshl_b32 s15, s25, 1
	s_lshl_b32 s24, s17, 3
	s_add_i32 s15, s15, s7
	s_cmp_lt_i32 s15, s0
	s_cselect_b64 s[16:17], -1, 0
	s_add_i32 s15, s24, s8
	s_cmp_lt_i32 s15, s2
	s_cselect_b64 s[18:19], -1, 0
	s_and_b64 s[16:17], s[16:17], s[18:19]
	s_andn2_b64 vcc, exec, s[16:17]
	s_cbranch_vccnz .LBB8_23
; %bb.8:
	s_load_dwordx4 s[16:19], s[4:5], 0x0
	s_mov_b32 s4, 0
	s_lshl_b32 s15, s7, 3
	s_lshl_b32 s20, s22, 6
	s_mov_b32 s21, s4
	s_add_i32 s15, s15, s8
	s_lshl_b64 s[20:21], s[20:21], 2
	s_waitcnt lgkmcnt(0)
	s_add_u32 s20, s18, s20
	s_mul_i32 s0, s9, s0
	s_addc_u32 s21, s19, s21
	s_add_i32 s0, s0, s7
	s_mul_i32 s0, s0, s1
	s_mul_i32 s23, s23, s2
	s_add_i32 s0, s0, s8
	s_add_i32 s0, s0, s23
	s_mul_i32 s2, s1, s25
	s_add_i32 s0, s0, s24
	s_lshl_b32 s2, s2, 9
	s_lshl_b32 s0, s0, 8
	s_add_i32 s2, s2, s0
	v_or_b32_e32 v1, s2, v0
	v_ashrrev_i32_e32 v2, 31, v1
	v_lshlrev_b64 v[1:2], 2, v[1:2]
	v_mov_b32_e32 v3, s17
	v_add_co_u32_e32 v1, vcc, s16, v1
	v_addc_co_u32_e32 v2, vcc, v3, v2, vcc
	global_load_dword v3, v[1:2], off
	v_cvt_f32_u32_e32 v4, s22
	s_lshl_b32 s0, s6, 4
	s_add_i32 s0, s15, s0
	s_ashr_i32 s1, s0, 31
	s_lshl_b64 s[0:1], s[0:1], 3
	v_rcp_iflag_f32_e32 v4, v4
	s_add_u32 s0, s18, s0
	s_addc_u32 s1, s19, s1
	s_load_dwordx2 s[0:1], s[0:1], 0x0
	v_mul_f32_e32 v4, 0x4f7ffffe, v4
	v_cvt_u32_f32_e32 v4, v4
	s_add_i32 s24, s6, -1
	v_lshl_or_b32 v0, s15, 8, v0
	s_waitcnt lgkmcnt(0)
	v_mov_b32_e32 v6, s1
	v_mov_b32_e32 v7, s0
	s_mov_b32 s2, 0x3fb8aa3b
	s_mov_b32 s16, 0xc2ce8ed0
	s_mov_b32 s17, 0x42b17218
	s_mov_b32 s23, 0xc1a00000
	v_mov_b32_e32 v5, 0x7f800000
	s_mul_hi_i32 s5, s24, s3
	s_cmp_lg_u64 s[4:5], 0
	s_mul_i32 s8, s24, s3
	s_cbranch_scc0 .LBB8_19
.LBB8_9:
	s_add_u32 s0, s22, 0
	s_addc_u32 s1, 0, 0
	s_xor_b64 s[0:1], s[0:1], 0
	v_cvt_f32_u32_e32 v8, s0
	v_cvt_f32_u32_e32 v9, s1
	s_sub_u32 s9, 0, s0
	s_subb_u32 s25, 0, s1
	v_mac_f32_e32 v8, 0x4f800000, v9
	v_rcp_f32_e32 v8, v8
	v_mul_f32_e32 v8, 0x5f7ffffc, v8
	v_mul_f32_e32 v9, 0x2f800000, v8
	v_trunc_f32_e32 v9, v9
	v_mac_f32_e32 v8, 0xcf800000, v9
	v_cvt_u32_f32_e32 v9, v9
	v_cvt_u32_f32_e32 v8, v8
	v_readfirstlane_b32 s26, v9
	v_readfirstlane_b32 s6, v8
	s_mul_i32 s7, s9, s26
	s_mul_hi_u32 s28, s9, s6
	s_mul_i32 s27, s25, s6
	s_add_i32 s7, s28, s7
	s_mul_i32 s29, s9, s6
	s_add_i32 s7, s7, s27
	s_mul_i32 s28, s6, s7
	s_mul_hi_u32 s30, s6, s29
	s_mul_hi_u32 s27, s6, s7
	s_add_u32 s28, s30, s28
	s_addc_u32 s27, 0, s27
	s_mul_hi_u32 s31, s26, s29
	s_mul_i32 s29, s26, s29
	s_add_u32 s28, s28, s29
	s_mul_hi_u32 s30, s26, s7
	s_addc_u32 s27, s27, s31
	s_addc_u32 s28, s30, 0
	s_mul_i32 s7, s26, s7
	s_add_u32 s7, s27, s7
	s_addc_u32 s27, 0, s28
	s_add_u32 s28, s6, s7
	s_cselect_b64 s[6:7], -1, 0
	s_cmp_lg_u64 s[6:7], 0
	s_addc_u32 s26, s26, s27
	s_mul_i32 s6, s9, s26
	s_mul_hi_u32 s7, s9, s28
	s_add_i32 s6, s7, s6
	s_mul_i32 s25, s25, s28
	s_add_i32 s6, s6, s25
	s_mul_i32 s9, s9, s28
	s_mul_hi_u32 s25, s26, s9
	s_mul_i32 s27, s26, s9
	s_mul_i32 s30, s28, s6
	s_mul_hi_u32 s9, s28, s9
	s_mul_hi_u32 s29, s28, s6
	s_add_u32 s9, s9, s30
	s_addc_u32 s29, 0, s29
	s_add_u32 s9, s9, s27
	s_mul_hi_u32 s7, s26, s6
	s_addc_u32 s9, s29, s25
	s_addc_u32 s7, s7, 0
	s_mul_i32 s6, s26, s6
	s_add_u32 s6, s9, s6
	s_addc_u32 s9, 0, s7
	s_add_u32 s25, s28, s6
	s_cselect_b64 s[6:7], -1, 0
	s_cmp_lg_u64 s[6:7], 0
	s_addc_u32 s9, s26, s9
	s_ashr_i32 s6, s5, 31
	s_add_u32 s26, s8, s6
	s_mov_b32 s7, s6
	s_addc_u32 s27, s5, s6
	s_xor_b64 s[26:27], s[26:27], s[6:7]
	s_mul_i32 s28, s26, s9
	s_mul_hi_u32 s29, s26, s25
	s_mul_hi_u32 s5, s26, s9
	s_add_u32 s28, s29, s28
	s_addc_u32 s5, 0, s5
	s_mul_hi_u32 s30, s27, s25
	s_mul_i32 s25, s27, s25
	s_add_u32 s25, s28, s25
	s_mul_hi_u32 s29, s27, s9
	s_addc_u32 s5, s5, s30
	s_addc_u32 s25, s29, 0
	s_mul_i32 s9, s27, s9
	s_add_u32 s5, s5, s9
	s_addc_u32 s9, 0, s25
	s_mul_i32 s25, s0, s9
	s_mul_hi_u32 s28, s0, s5
	s_add_i32 s25, s28, s25
	s_mul_i32 s28, s1, s5
	s_add_i32 s25, s25, s28
	s_sub_i32 s30, s27, s25
	s_mul_i32 s28, s0, s5
	s_sub_u32 s26, s26, s28
	s_cselect_b64 s[28:29], -1, 0
	s_cmp_lg_u64 s[28:29], 0
	s_subb_u32 s33, s30, s1
	s_sub_u32 s34, s26, s0
	s_cselect_b64 s[30:31], -1, 0
	s_cmp_lg_u64 s[30:31], 0
	s_subb_u32 s30, s33, 0
	s_cmp_ge_u32 s30, s1
	s_cselect_b32 s31, -1, 0
	s_cmp_ge_u32 s34, s0
	s_cselect_b32 s33, -1, 0
	s_cmp_eq_u32 s30, s1
	s_cselect_b32 s30, s33, s31
	s_add_u32 s31, s5, 1
	s_addc_u32 s33, s9, 0
	s_add_u32 s34, s5, 2
	s_addc_u32 s35, s9, 0
	s_cmp_lg_u32 s30, 0
	s_cselect_b32 s30, s34, s31
	s_cselect_b32 s31, s35, s33
	s_cmp_lg_u64 s[28:29], 0
	s_subb_u32 s25, s27, s25
	s_cmp_ge_u32 s25, s1
	s_cselect_b32 s27, -1, 0
	s_cmp_ge_u32 s26, s0
	s_cselect_b32 s0, -1, 0
	s_cmp_eq_u32 s25, s1
	s_cselect_b32 s0, s0, s27
	s_cmp_lg_u32 s0, 0
	s_cselect_b32 s1, s31, s9
	s_cselect_b32 s0, s30, s5
	s_xor_b64 s[6:7], s[6:7], 0
	s_xor_b64 s[0:1], s[0:1], s[6:7]
	s_sub_u32 s6, s0, s6
	s_cbranch_execnz .LBB8_11
.LBB8_10:
	s_sub_i32 s0, 0, s22
	v_readfirstlane_b32 s1, v4
	s_mul_i32 s0, s0, s1
	s_mul_hi_u32 s0, s1, s0
	s_add_i32 s1, s1, s0
	s_mul_hi_u32 s0, s8, s1
	s_mul_i32 s5, s0, s22
	s_sub_i32 s5, s8, s5
	s_add_i32 s1, s0, 1
	s_sub_i32 s6, s5, s22
	s_cmp_ge_u32 s5, s22
	s_cselect_b32 s0, s1, s0
	s_cselect_b32 s5, s6, s5
	s_add_i32 s1, s0, 1
	s_cmp_ge_u32 s5, s22
	s_cselect_b32 s6, s1, s0
.LBB8_11:
	s_cmp_lg_u32 s10, s6
	s_mov_b64 s[8:9], -1
                                        ; implicit-def: $sgpr0_sgpr1
                                        ; implicit-def: $vgpr10
                                        ; implicit-def: $vgpr8
                                        ; implicit-def: $vgpr9
                                        ; implicit-def: $sgpr5
                                        ; implicit-def: $sgpr7
	s_cbranch_scc1 .LBB8_14
; %bb.12:
	s_andn2_b64 vcc, exec, s[8:9]
	s_cbranch_vccz .LBB8_17
.LBB8_13:
	s_andn2_b64 vcc, exec, s[0:1]
	s_cbranch_vccnz .LBB8_18
	s_branch .LBB8_22
.LBB8_14:
	s_add_i32 s0, s24, s22
	s_lshl_b32 s0, s0, 4
	s_add_i32 s0, s0, s15
	s_mov_b32 s1, s4
	s_lshl_b64 s[0:1], s[0:1], 3
	s_add_u32 s8, s18, s0
	s_mul_hi_u32 s0, s6, s12
	s_addc_u32 s9, s19, s1
	s_add_i32 s0, s0, s6
	s_lshr_b32 s5, s0, s13
	s_mul_i32 s0, s5, s14
	s_cmp_eq_u32 s0, s6
	s_cselect_b64 s[0:1], -1, 0
	s_cmp_lt_u32 s5, s11
	s_cselect_b64 s[26:27], -1, 0
	s_or_b64 s[26:27], s[26:27], s[0:1]
	s_mov_b64 s[0:1], -1
	s_and_b64 vcc, exec, s[26:27]
	s_mov_b32 s5, s24
	s_mov_b32 s7, s10
	s_cbranch_vccnz .LBB8_16
; %bb.15:
	s_add_i32 s5, s24, -1
	s_mov_b64 s[0:1], 0
	s_mov_b32 s7, s6
.LBB8_16:
	v_lshl_add_u32 v8, s24, 12, v0
	v_ashrrev_i32_e32 v9, 31, v8
	v_lshlrev_b64 v[8:9], 2, v[8:9]
	v_mov_b32_e32 v10, s21
	v_add_co_u32_e32 v8, vcc, s20, v8
	v_addc_co_u32_e32 v9, vcc, v10, v9, vcc
	global_load_dword v10, v[8:9], off
	s_load_dwordx2 s[8:9], s[8:9], 0x0
	v_max_f32_e32 v8, v7, v7
	s_waitcnt lgkmcnt(0)
	v_max_f32_e64 v9, s8, s8
	v_max_f32_e32 v8, v8, v9
	v_sub_f32_e32 v9, v7, v8
	v_sub_f32_e32 v11, s8, v8
	v_mul_f32_e32 v12, 0x3fb8aa3b, v9
	v_mul_f32_e32 v13, 0x3fb8aa3b, v11
	v_fma_f32 v14, v9, s2, -v12
	v_rndne_f32_e32 v15, v12
	v_fma_f32 v16, v11, s2, -v13
	v_rndne_f32_e32 v17, v13
	v_fmac_f32_e32 v14, 0x32a5705f, v9
	v_sub_f32_e32 v12, v12, v15
	v_fmac_f32_e32 v16, 0x32a5705f, v11
	v_sub_f32_e32 v13, v13, v17
	v_add_f32_e32 v12, v12, v14
	v_cvt_i32_f32_e32 v15, v15
	v_add_f32_e32 v13, v13, v16
	v_exp_f32_e32 v12, v12
	v_cvt_i32_f32_e32 v17, v17
	v_exp_f32_e32 v13, v13
	v_cmp_ngt_f32_e32 vcc, s16, v9
	v_ldexp_f32 v12, v12, v15
	v_cndmask_b32_e32 v12, 0, v12, vcc
	v_ldexp_f32 v13, v13, v17
	v_cmp_ngt_f32_e32 vcc, s16, v11
	v_cndmask_b32_e32 v13, 0, v13, vcc
	v_cmp_nlt_f32_e32 vcc, s17, v9
	v_cndmask_b32_e32 v12, v5, v12, vcc
	v_cmp_nlt_f32_e32 vcc, s17, v11
	v_cndmask_b32_e32 v13, v5, v13, vcc
	v_cmp_le_f32_e32 vcc, s23, v9
	v_cndmask_b32_e32 v12, 0, v12, vcc
	v_cmp_le_f32_e32 vcc, s23, v11
	v_cndmask_b32_e32 v11, 0, v13, vcc
	v_mul_f32_e32 v9, s9, v11
	v_fmac_f32_e32 v9, v6, v12
	s_waitcnt vmcnt(0)
	v_mul_f32_e32 v10, v10, v11
	v_fmac_f32_e32 v10, v3, v12
	s_cbranch_execnz .LBB8_13
.LBB8_17:
	s_add_i32 s5, s24, -1
	s_mov_b32 s7, s10
	v_mov_b32_e32 v9, v6
	v_mov_b32_e32 v8, v7
	s_waitcnt vmcnt(0)
	v_mov_b32_e32 v10, v3
	s_cbranch_execz .LBB8_22
.LBB8_18:
	s_mov_b32 s10, s7
	s_mov_b32 s24, s5
	v_mov_b32_e32 v6, v9
	v_mov_b32_e32 v7, v8
	s_waitcnt vmcnt(0)
	v_mov_b32_e32 v3, v10
	s_mul_hi_i32 s5, s24, s3
	s_cmp_lg_u64 s[4:5], 0
	s_mul_i32 s8, s24, s3
	s_cbranch_scc1 .LBB8_9
.LBB8_19:
                                        ; implicit-def: $sgpr6_sgpr7
	s_branch .LBB8_10
.LBB8_20:
                                        ; implicit-def: $sgpr10_sgpr11
	s_load_dwordx4 s[12:15], s[4:5], 0x44
	s_branch .LBB8_2
.LBB8_21:
                                        ; implicit-def: $sgpr18_sgpr19
	s_branch .LBB8_5
.LBB8_22:
	v_div_scale_f32 v0, s[0:1], v9, v9, v10
	s_waitcnt vmcnt(0)
	v_div_scale_f32 v3, vcc, v10, v9, v10
	v_rcp_f32_e32 v4, v0
	v_fma_f32 v5, -v0, v4, 1.0
	v_fmac_f32_e32 v4, v5, v4
	v_mul_f32_e32 v5, v3, v4
	v_fma_f32 v6, -v0, v5, v3
	v_fmac_f32_e32 v5, v6, v4
	v_fma_f32 v0, -v0, v5, v3
	v_div_fmas_f32 v0, v0, v4, v5
	v_div_fixup_f32 v0, v0, v9, v10
	global_store_dword v[1:2], v0, off
.LBB8_23:
	s_endpgm
	.section	.rodata,"a",@progbits
	.p2align	6, 0x0
	.amdhsa_kernel _ZL33flash_attn_stream_k_fixup_generalILi256ELi2ELi8EEvPfPK15HIP_vector_typeIfLj2EEiiiiS1_IjLj3EES5_S5_S5_
		.amdhsa_group_segment_fixed_size 0
		.amdhsa_private_segment_fixed_size 0
		.amdhsa_kernarg_size 336
		.amdhsa_user_sgpr_count 6
		.amdhsa_user_sgpr_private_segment_buffer 1
		.amdhsa_user_sgpr_dispatch_ptr 0
		.amdhsa_user_sgpr_queue_ptr 0
		.amdhsa_user_sgpr_kernarg_segment_ptr 1
		.amdhsa_user_sgpr_dispatch_id 0
		.amdhsa_user_sgpr_flat_scratch_init 0
		.amdhsa_user_sgpr_private_segment_size 0
		.amdhsa_uses_dynamic_stack 0
		.amdhsa_system_sgpr_private_segment_wavefront_offset 0
		.amdhsa_system_sgpr_workgroup_id_x 1
		.amdhsa_system_sgpr_workgroup_id_y 1
		.amdhsa_system_sgpr_workgroup_id_z 1
		.amdhsa_system_sgpr_workgroup_info 0
		.amdhsa_system_vgpr_workitem_id 0
		.amdhsa_next_free_vgpr 18
		.amdhsa_next_free_sgpr 36
		.amdhsa_reserve_vcc 1
		.amdhsa_reserve_flat_scratch 0
		.amdhsa_float_round_mode_32 0
		.amdhsa_float_round_mode_16_64 0
		.amdhsa_float_denorm_mode_32 3
		.amdhsa_float_denorm_mode_16_64 3
		.amdhsa_dx10_clamp 1
		.amdhsa_ieee_mode 1
		.amdhsa_fp16_overflow 0
		.amdhsa_exception_fp_ieee_invalid_op 0
		.amdhsa_exception_fp_denorm_src 0
		.amdhsa_exception_fp_ieee_div_zero 0
		.amdhsa_exception_fp_ieee_overflow 0
		.amdhsa_exception_fp_ieee_underflow 0
		.amdhsa_exception_fp_ieee_inexact 0
		.amdhsa_exception_int_div_zero 0
	.end_amdhsa_kernel
	.section	.text._ZL33flash_attn_stream_k_fixup_generalILi256ELi2ELi8EEvPfPK15HIP_vector_typeIfLj2EEiiiiS1_IjLj3EES5_S5_S5_,"axG",@progbits,_ZL33flash_attn_stream_k_fixup_generalILi256ELi2ELi8EEvPfPK15HIP_vector_typeIfLj2EEiiiiS1_IjLj3EES5_S5_S5_,comdat
.Lfunc_end8:
	.size	_ZL33flash_attn_stream_k_fixup_generalILi256ELi2ELi8EEvPfPK15HIP_vector_typeIfLj2EEiiiiS1_IjLj3EES5_S5_S5_, .Lfunc_end8-_ZL33flash_attn_stream_k_fixup_generalILi256ELi2ELi8EEvPfPK15HIP_vector_typeIfLj2EEiiiiS1_IjLj3EES5_S5_S5_
                                        ; -- End function
	.set _ZL33flash_attn_stream_k_fixup_generalILi256ELi2ELi8EEvPfPK15HIP_vector_typeIfLj2EEiiiiS1_IjLj3EES5_S5_S5_.num_vgpr, 18
	.set _ZL33flash_attn_stream_k_fixup_generalILi256ELi2ELi8EEvPfPK15HIP_vector_typeIfLj2EEiiiiS1_IjLj3EES5_S5_S5_.num_agpr, 0
	.set _ZL33flash_attn_stream_k_fixup_generalILi256ELi2ELi8EEvPfPK15HIP_vector_typeIfLj2EEiiiiS1_IjLj3EES5_S5_S5_.numbered_sgpr, 36
	.set _ZL33flash_attn_stream_k_fixup_generalILi256ELi2ELi8EEvPfPK15HIP_vector_typeIfLj2EEiiiiS1_IjLj3EES5_S5_S5_.num_named_barrier, 0
	.set _ZL33flash_attn_stream_k_fixup_generalILi256ELi2ELi8EEvPfPK15HIP_vector_typeIfLj2EEiiiiS1_IjLj3EES5_S5_S5_.private_seg_size, 0
	.set _ZL33flash_attn_stream_k_fixup_generalILi256ELi2ELi8EEvPfPK15HIP_vector_typeIfLj2EEiiiiS1_IjLj3EES5_S5_S5_.uses_vcc, 1
	.set _ZL33flash_attn_stream_k_fixup_generalILi256ELi2ELi8EEvPfPK15HIP_vector_typeIfLj2EEiiiiS1_IjLj3EES5_S5_S5_.uses_flat_scratch, 0
	.set _ZL33flash_attn_stream_k_fixup_generalILi256ELi2ELi8EEvPfPK15HIP_vector_typeIfLj2EEiiiiS1_IjLj3EES5_S5_S5_.has_dyn_sized_stack, 0
	.set _ZL33flash_attn_stream_k_fixup_generalILi256ELi2ELi8EEvPfPK15HIP_vector_typeIfLj2EEiiiiS1_IjLj3EES5_S5_S5_.has_recursion, 0
	.set _ZL33flash_attn_stream_k_fixup_generalILi256ELi2ELi8EEvPfPK15HIP_vector_typeIfLj2EEiiiiS1_IjLj3EES5_S5_S5_.has_indirect_call, 0
	.section	.AMDGPU.csdata,"",@progbits
; Kernel info:
; codeLenInByte = 2940
; TotalNumSgprs: 40
; NumVgprs: 18
; ScratchSize: 0
; MemoryBound: 0
; FloatMode: 240
; IeeeMode: 1
; LDSByteSize: 0 bytes/workgroup (compile time only)
; SGPRBlocks: 4
; VGPRBlocks: 4
; NumSGPRsForWavesPerEU: 40
; NumVGPRsForWavesPerEU: 18
; Occupancy: 10
; WaveLimiterHint : 0
; COMPUTE_PGM_RSRC2:SCRATCH_EN: 0
; COMPUTE_PGM_RSRC2:USER_SGPR: 6
; COMPUTE_PGM_RSRC2:TRAP_HANDLER: 0
; COMPUTE_PGM_RSRC2:TGID_X_EN: 1
; COMPUTE_PGM_RSRC2:TGID_Y_EN: 1
; COMPUTE_PGM_RSRC2:TGID_Z_EN: 1
; COMPUTE_PGM_RSRC2:TIDIG_COMP_CNT: 0
	.section	.text._ZL15flash_attn_tileILi256ELi256ELi1ELi8ELb0EEvPKcS1_S1_S1_S1_PKiPfP15HIP_vector_typeIfLj2EEffffjfiS5_IjLj3EEiiiiiiiiiiiliiliiiiil,"axG",@progbits,_ZL15flash_attn_tileILi256ELi256ELi1ELi8ELb0EEvPKcS1_S1_S1_S1_PKiPfP15HIP_vector_typeIfLj2EEffffjfiS5_IjLj3EEiiiiiiiiiiiliiliiiiil,comdat
	.globl	_ZL15flash_attn_tileILi256ELi256ELi1ELi8ELb0EEvPKcS1_S1_S1_S1_PKiPfP15HIP_vector_typeIfLj2EEffffjfiS5_IjLj3EEiiiiiiiiiiiliiliiiiil ; -- Begin function _ZL15flash_attn_tileILi256ELi256ELi1ELi8ELb0EEvPKcS1_S1_S1_S1_PKiPfP15HIP_vector_typeIfLj2EEffffjfiS5_IjLj3EEiiiiiiiiiiiliiliiiiil
	.p2align	8
	.type	_ZL15flash_attn_tileILi256ELi256ELi1ELi8ELb0EEvPKcS1_S1_S1_S1_PKiPfP15HIP_vector_typeIfLj2EEffffjfiS5_IjLj3EEiiiiiiiiiiiliiliiiiil,@function
_ZL15flash_attn_tileILi256ELi256ELi1ELi8ELb0EEvPKcS1_S1_S1_S1_PKiPfP15HIP_vector_typeIfLj2EEffffjfiS5_IjLj3EEiiiiiiiiiiiliiliiiiil: ; @_ZL15flash_attn_tileILi256ELi256ELi1ELi8ELb0EEvPKcS1_S1_S1_S1_PKiPfP15HIP_vector_typeIfLj2EEffffjfiS5_IjLj3EEiiiiiiiiiiiliiliiiiil
; %bb.0:
	s_load_dwordx4 s[24:27], s[4:5], 0x5c
	s_load_dwordx2 s[28:29], s[4:5], 0x80
	s_load_dwordx2 s[34:35], s[4:5], 0xb8
	s_mov_b64 s[30:31], 0
	s_waitcnt lgkmcnt(0)
	s_ashr_i32 s0, s27, 31
	s_lshr_b32 s0, s0, 29
	s_add_i32 s0, s27, s0
	s_ashr_i32 s0, s0, 3
	v_cvt_f32_u32_e32 v2, s0
	s_sub_i32 s1, 0, s0
	v_rcp_iflag_f32_e32 v2, v2
	v_mul_f32_e32 v2, 0x4f7ffffe, v2
	v_cvt_u32_f32_e32 v2, v2
	v_readfirstlane_b32 s2, v2
	s_mul_i32 s1, s1, s2
	s_mul_hi_u32 s1, s2, s1
	s_add_i32 s2, s2, s1
	s_mul_hi_u32 s1, s8, s2
	s_mul_i32 s2, s1, s0
	s_sub_i32 s2, s8, s2
	s_add_i32 s3, s1, 1
	s_sub_i32 s9, s2, s0
	s_cmp_ge_u32 s2, s0
	s_cselect_b32 s1, s3, s1
	s_cselect_b32 s2, s9, s2
	s_add_i32 s3, s1, 1
	s_cmp_ge_u32 s2, s0
	s_cselect_b32 s33, s3, s1
	s_abs_i32 s0, s29
	v_cvt_f32_u32_e32 v2, s0
	s_lshl_b32 s1, s8, 3
	s_mul_i32 s8, s33, s27
	s_xor_b32 s2, s27, s29
	v_rcp_iflag_f32_e32 v2, v2
	s_sub_i32 s9, 0, s0
	s_sub_i32 s29, s1, s8
	s_abs_i32 s3, s27
	v_mul_f32_e32 v2, 0x4f7ffffe, v2
	v_cvt_u32_f32_e32 v2, v2
	s_ashr_i32 s2, s2, 31
	v_readfirstlane_b32 s1, v2
	s_mul_i32 s9, s9, s1
	s_mul_hi_u32 s8, s1, s9
	s_add_i32 s1, s1, s8
	s_mul_hi_u32 s1, s3, s1
	s_mul_i32 s8, s1, s0
	s_sub_i32 s3, s3, s8
	s_add_i32 s9, s1, 1
	s_sub_i32 s8, s3, s0
	s_cmp_ge_u32 s3, s0
	s_cselect_b32 s1, s9, s1
	s_cselect_b32 s3, s8, s3
	s_add_i32 s8, s1, 1
	s_cmp_ge_u32 s3, s0
	s_cselect_b32 s0, s8, s1
	s_xor_b32 s0, s0, s2
	s_sub_i32 s37, s0, s2
	s_abs_i32 s36, s37
	v_cvt_f32_u32_e32 v2, s36
	s_load_dwordx16 s[8:23], s[4:5], 0x0
	v_rcp_iflag_f32_e32 v2, v2
	s_waitcnt lgkmcnt(0)
	s_cmp_eq_u64 s[14:15], 0
	v_mul_f32_e32 v2, 0x4f7ffffe, v2
	v_cvt_u32_f32_e32 v2, v2
	v_readfirstlane_b32 s38, v2
	s_cbranch_scc1 .LBB9_2
; %bb.1:
	s_abs_i32 s2, s34
	v_cvt_f32_u32_e32 v2, s2
	s_sub_i32 s31, 0, s2
	s_abs_i32 s30, s33
	s_ashr_i32 s3, s33, 31
	v_rcp_iflag_f32_e32 v2, v2
	s_load_dwordx2 s[0:1], s[4:5], 0xc8
	v_mul_f32_e32 v2, 0x4f7ffffe, v2
	v_cvt_u32_f32_e32 v2, v2
	v_readfirstlane_b32 s34, v2
	s_mul_i32 s31, s31, s34
	s_mul_hi_u32 s31, s34, s31
	s_add_i32 s34, s34, s31
	s_mul_hi_u32 s31, s30, s34
	s_mul_i32 s31, s31, s2
	s_sub_i32 s30, s30, s31
	s_sub_i32 s31, s30, s2
	s_cmp_ge_u32 s30, s2
	s_cselect_b32 s30, s31, s30
	s_sub_i32 s31, s30, s2
	s_cmp_ge_u32 s30, s2
	s_cselect_b32 s2, s31, s30
	s_xor_b32 s2, s2, s3
	s_sub_i32 s2, s2, s3
	s_ashr_i32 s3, s2, 31
	s_waitcnt lgkmcnt(0)
	s_mul_hi_u32 s30, s0, s2
	s_mul_i32 s3, s0, s3
	s_mul_i32 s1, s1, s2
	s_add_i32 s3, s30, s3
	s_add_i32 s3, s3, s1
	s_mul_i32 s0, s0, s2
	s_add_u32 s30, s14, s0
	s_addc_u32 s31, s15, s3
.LBB9_2:
	s_load_dwordx4 s[0:3], s[4:5], 0x70
	v_lshrrev_b32_e32 v2, 3, v1
	v_add_u32_e32 v44, s6, v2
	v_mul_hi_u32 v2, s24, v44
	v_and_b32_e32 v46, 7, v1
	s_waitcnt lgkmcnt(0)
	s_mul_i32 s2, s33, s2
	s_ashr_i32 s14, s2, 31
	s_mul_i32 s3, s29, s1
	s_add_u32 s2, s8, s2
	v_add_u32_e32 v2, v44, v2
	s_addc_u32 s8, s9, s14
	s_ashr_i32 s9, s3, 31
	v_lshrrev_b32_e32 v2, s25, v2
	s_add_u32 s14, s2, s3
	v_mul_lo_u32 v2, v2, s26
	s_addc_u32 s15, s8, s9
	s_ashr_i32 s3, s1, 31
	s_mov_b32 s2, s1
	s_lshr_b64 s[8:9], s[2:3], 2
	v_mad_u64_u32 v[3:4], s[8:9], s8, v46, 0
	s_ashr_i32 s1, s0, 31
	v_sub_u32_e32 v2, v44, v2
	s_lshr_b64 s[8:9], s[0:1], 2
	v_mad_u64_u32 v[5:6], s[8:9], s8, v2, 0
	s_lshr_b32 s0, s3, 2
	v_lshlrev_b32_e32 v47, 3, v0
	v_mad_u64_u32 v[7:8], s[2:3], s0, v46, v[4:5]
	v_mov_b32_e32 v4, v6
	s_lshr_b32 s0, s1, 2
	v_mad_u64_u32 v[8:9], s[0:1], s0, v2, v[4:5]
	v_mov_b32_e32 v4, v7
	v_lshlrev_b64 v[3:4], 2, v[3:4]
	v_mov_b32_e32 v6, v8
	v_mov_b32_e32 v7, s15
	v_add_co_u32_e32 v8, vcc, s14, v3
	v_addc_co_u32_e32 v7, vcc, v7, v4, vcc
	v_lshlrev_b64 v[3:4], 2, v[5:6]
	v_lshlrev_b32_e32 v5, 4, v0
	v_add_co_u32_e32 v3, vcc, v8, v3
	v_addc_co_u32_e32 v4, vcc, v7, v4, vcc
	v_add_co_u32_e32 v12, vcc, v3, v5
	v_addc_co_u32_e32 v13, vcc, 0, v4, vcc
	global_load_dwordx4 v[4:7], v[12:13], off
	global_load_dwordx4 v[8:11], v[12:13], off offset:512
	s_load_dword s0, s[4:5], 0x40
	v_lshlrev_b32_e32 v3, 9, v1
	v_add_u32_e32 v48, 0x4400, v3
	v_add_u32_e32 v12, v48, v47
	s_cmp_eq_u64 s[18:19], 0
	s_waitcnt vmcnt(1) lgkmcnt(0)
	v_fma_mixlo_f16 v4, s0, v4, 0
	v_fma_mixlo_f16 v5, s0, v5, 0
	;; [unrolled: 1-line block ×4, first 2 shown]
	s_waitcnt vmcnt(0)
	v_fma_mixlo_f16 v8, s0, v8, 0
	v_fma_mixlo_f16 v9, s0, v9, 0
	;; [unrolled: 1-line block ×4, first 2 shown]
	v_lshlrev_b32_e32 v5, 16, v5
	v_and_b32_e32 v4, 0xffff, v4
	v_lshlrev_b32_e32 v7, 16, v7
	v_and_b32_e32 v6, 0xffff, v6
	;; [unrolled: 2-line block ×4, first 2 shown]
	v_or_b32_e32 v4, v5, v4
	v_or3_b32 v5, v7, v6, 0
	v_or_b32_e32 v6, v9, v8
	v_or3_b32 v7, v11, v10, 0
	v_or3_b32 v4, 0, 0, v4
	;; [unrolled: 1-line block ×3, first 2 shown]
	ds_write2_b64 v12, v[4:5], v[6:7] offset1:32
	s_waitcnt lgkmcnt(0)
	s_barrier
	s_cbranch_scc1 .LBB9_4
; %bb.3:
	s_load_dword s0, s[4:5], 0xd0
	s_mov_b32 s1, 0
	s_waitcnt lgkmcnt(0)
	s_mul_i32 s0, s0, s33
	s_add_i32 s0, s0, s6
	s_lshl_b64 s[0:1], s[0:1], 2
	s_add_u32 s0, s18, s0
	s_addc_u32 s1, s19, s1
	s_load_dword s28, s[0:1], 0x0
.LBB9_4:
	s_lshl_b32 s6, s7, 6
	v_lshlrev_b32_e32 v17, 2, v0
	s_waitcnt lgkmcnt(0)
	s_cmp_lt_i32 s6, s28
	v_mbcnt_lo_u32_b32 v4, -1, 0
	s_cbranch_scc1 .LBB9_7
; %bb.5:
	v_mbcnt_hi_u32_b32 v49, -1, v4
	v_and_b32_e32 v5, 0x60, v49
	v_add_u32_e32 v50, 32, v5
	v_xor_b32_e32 v55, 16, v49
	v_xor_b32_e32 v54, 8, v49
	;; [unrolled: 1-line block ×5, first 2 shown]
	s_cbranch_execz .LBB9_8
; %bb.6:
	v_mov_b32_e32 v80, 0
	v_mov_b32_e32 v31, 0
	v_mov_b32_e32 v30, 0xfeffffff
	v_mov_b32_e32 v81, 0
	v_mov_b32_e32 v79, 0
	v_mov_b32_e32 v78, 0
	s_branch .LBB9_11
.LBB9_7:
                                        ; implicit-def: $vgpr49
                                        ; implicit-def: $vgpr50
                                        ; implicit-def: $vgpr55
                                        ; implicit-def: $vgpr54
                                        ; implicit-def: $vgpr53
                                        ; implicit-def: $vgpr51
                                        ; implicit-def: $vgpr52
.LBB9_8:
	s_sub_i32 s0, 0, s36
	s_mul_i32 s0, s0, s38
	s_mul_hi_u32 s0, s38, s0
	s_add_i32 s38, s38, s0
	s_load_dwordx2 s[8:9], s[4:5], 0x8c
	s_load_dwordx4 s[0:3], s[4:5], 0x98
	s_abs_i32 s18, s29
	s_mul_hi_u32 s19, s18, s38
	s_ashr_i32 s34, s29, 31
	s_waitcnt lgkmcnt(0)
	s_ashr_i32 s15, s8, 2
	s_ashr_i32 s8, s33, 31
	;; [unrolled: 1-line block ×4, first 2 shown]
	s_mul_hi_u32 s35, s0, s33
	s_mul_i32 s38, s0, s8
	s_add_i32 s35, s35, s38
	s_mul_i32 s1, s1, s33
	s_ashr_i32 s37, s37, 31
	s_add_i32 s35, s35, s1
	s_mul_i32 s0, s0, s33
	s_add_u32 s0, s10, s0
	s_addc_u32 s1, s11, s35
	s_mul_i32 s11, s19, s36
	s_sub_i32 s11, s18, s11
	s_xor_b32 s10, s34, s37
	s_add_i32 s18, s19, 1
	s_sub_i32 s34, s11, s36
	s_cmp_ge_u32 s11, s36
	s_cselect_b32 s18, s18, s19
	s_cselect_b32 s11, s34, s11
	s_add_i32 s19, s18, 1
	s_cmp_ge_u32 s11, s36
	s_cselect_b32 s11, s19, s18
	s_load_dwordx2 s[24:25], s[4:5], 0xa8
	s_xor_b32 s11, s11, s10
	s_sub_i32 s10, s11, s10
	s_mul_i32 s9, s10, s9
	s_ashr_i32 s11, s9, 31
	s_add_u32 s18, s0, s9
	s_addc_u32 s19, s1, s11
	s_waitcnt lgkmcnt(0)
	s_mul_hi_u32 s0, s24, s33
	s_mul_i32 s1, s24, s8
	s_add_i32 s0, s0, s1
	s_mul_i32 s1, s25, s33
	s_add_i32 s0, s0, s1
	s_mul_i32 s1, s24, s33
	v_lshrrev_b32_e32 v5, 4, v0
	s_add_u32 s1, s12, s1
	s_mul_i32 s10, s10, s3
	v_lshl_add_u32 v6, v1, 1, v5
	s_addc_u32 s0, s13, s0
	s_ashr_i32 s3, s10, 31
	v_mul_lo_u32 v5, s15, v6
	s_add_u32 s12, s1, s10
	v_and_b32_e32 v16, 60, v17
	s_addc_u32 s13, s0, s3
	v_lshlrev_b32_e32 v7, 2, v16
	s_movk_i32 s0, 0x110
	v_mad_u32_u24 v56, v6, s0, v7
	s_lshl_b32 s0, s15, 4
	v_add_u32_e32 v7, s0, v5
	v_add_u32_e32 v9, s0, v7
	;; [unrolled: 1-line block ×3, first 2 shown]
	v_mad_u64_u32 v[13:14], s[0:1], v2, s2, v[0:1]
	v_mov_b32_e32 v2, 0x5400
	v_lshl_add_u32 v61, v1, 7, v2
	v_mul_lo_u32 v2, s14, v1
	s_lshl_b32 s0, s14, 3
	v_lshlrev_b32_e32 v63, 2, v17
	v_ashrrev_i32_e32 v6, 31, v5
	v_add_u32_e32 v24, s0, v2
	v_add_u32_e32 v26, s0, v24
	;; [unrolled: 1-line block ×3, first 2 shown]
	v_ashrrev_i32_e32 v8, 31, v7
	v_ashrrev_i32_e32 v10, 31, v9
	;; [unrolled: 1-line block ×3, first 2 shown]
	v_add_u32_e32 v64, v3, v63
	v_ashrrev_i32_e32 v3, 31, v2
	v_lshl_add_u32 v1, v1, 9, v63
	v_ashrrev_i32_e32 v25, 31, v24
	v_ashrrev_i32_e32 v27, 31, v26
	v_ashrrev_i32_e32 v29, 31, v28
	v_mbcnt_hi_u32_b32 v49, -1, v4
	v_add_u32_e32 v65, 0x1000, v1
	v_add_u32_e32 v66, 0x2000, v1
	;; [unrolled: 1-line block ×3, first 2 shown]
	s_add_u32 s10, s4, 0xd0
	v_lshlrev_b64 v[14:15], 2, v[5:6]
	v_lshlrev_b32_e32 v68, 2, v16
	v_lshlrev_b64 v[16:17], 2, v[7:8]
	v_lshlrev_b64 v[18:19], 2, v[9:10]
	;; [unrolled: 1-line block ×3, first 2 shown]
	v_and_b32_e32 v1, 0x60, v49
	v_lshlrev_b64 v[22:23], 2, v[2:3]
	v_lshlrev_b64 v[24:25], 2, v[24:25]
	;; [unrolled: 1-line block ×4, first 2 shown]
	v_mov_b32_e32 v78, 0
	v_add_u32_e32 v57, 0x1100, v56
	v_add_u32_e32 v58, 0x2200, v56
	;; [unrolled: 1-line block ×3, first 2 shown]
	v_mul_u32_u24_e32 v60, 0x110, v0
	v_lshl_add_u32 v62, v0, 1, v61
	s_addc_u32 s11, s5, 0
	v_mov_b32_e32 v30, 0xfeffffff
	v_add_u32_e32 v50, 32, v1
	v_xor_b32_e32 v55, 16, v49
	v_xor_b32_e32 v54, 8, v49
	;; [unrolled: 1-line block ×5, first 2 shown]
	v_mov_b32_e32 v69, s31
	s_mov_b32 s24, 0x3fb8aa3b
	s_mov_b32 s25, 0xc2ce8ed0
	;; [unrolled: 1-line block ×3, first 2 shown]
	v_mov_b32_e32 v70, 0x7f800000
	s_mov_b32 s34, 0x10001
	v_add_u32_e32 v71, 0x800, v47
	v_add_u32_e32 v72, 0x1000, v47
	;; [unrolled: 1-line block ×7, first 2 shown]
	v_mov_b32_e32 v79, 0
	v_mov_b32_e32 v81, 0
	;; [unrolled: 1-line block ×4, first 2 shown]
.LBB9_9:                                ; =>This Inner Loop Header: Depth=1
	v_cmp_lt_i32_e32 vcc, v55, v50
	v_cndmask_b32_e32 v3, v49, v55, vcc
	v_cmp_lt_i32_e32 vcc, v54, v50
	s_mul_hi_i32 s1, s6, s15
	s_mul_i32 s0, s6, s15
	v_add_u32_e32 v1, s6, v13
	v_cndmask_b32_e32 v4, v49, v54, vcc
	v_cmp_lt_i32_e32 vcc, v53, v50
	v_cndmask_b32_e32 v5, v49, v53, vcc
	v_cmp_lt_i32_e32 vcc, v51, v50
	s_lshl_b64 s[0:1], s[0:1], 2
	v_ashrrev_i32_e32 v2, 31, v1
	v_cndmask_b32_e32 v6, v49, v51, vcc
	v_cmp_lt_i32_e32 vcc, v52, v50
	s_add_u32 s38, s18, s0
	v_lshlrev_b64 v[1:2], 1, v[1:2]
	v_cndmask_b32_e32 v7, v49, v52, vcc
	s_addc_u32 s8, s19, s1
	v_lshlrev_b32_e32 v89, 2, v4
	v_lshlrev_b32_e32 v88, 2, v5
	;; [unrolled: 1-line block ×3, first 2 shown]
	v_mov_b32_e32 v4, s8
	v_mov_b32_e32 v5, s8
	;; [unrolled: 1-line block ×4, first 2 shown]
	v_add_co_u32_e64 v1, s[8:9], s30, v1
	v_addc_co_u32_e64 v2, s[8:9], v69, v2, s[8:9]
	s_mul_hi_i32 s3, s6, s14
	s_mul_i32 s2, s6, s14
	v_lshlrev_b32_e32 v90, 2, v3
	v_lshlrev_b32_e32 v87, 2, v6
	v_add_co_u32_e32 v6, vcc, s38, v16
	v_add_co_u32_e64 v3, s[8:9], s38, v14
	s_lshl_b64 s[36:37], s[2:3], 2
	v_add_co_u32_e64 v8, s[0:1], s38, v18
	v_add_co_u32_e64 v10, s[2:3], s38, v20
	v_addc_co_u32_e64 v4, s[8:9], v4, v15, s[8:9]
	v_addc_co_u32_e32 v5, vcc, v5, v17, vcc
	v_add_co_u32_e32 v11, vcc, v6, v68
	v_addc_co_u32_e64 v6, s[0:1], v7, v19, s[0:1]
	v_addc_co_u32_e64 v7, s[2:3], v9, v21, s[2:3]
	v_add_co_u32_e64 v42, s[8:9], v3, v68
	v_mov_b32_e32 v82, v30
	v_add_co_u32_e64 v30, s[0:1], v8, v68
	v_add_co_u32_e64 v32, s[2:3], v10, v68
	v_addc_co_u32_e64 v43, s[8:9], 0, v4, s[8:9]
	v_mov_b32_e32 v85, v31
	v_addc_co_u32_e32 v12, vcc, 0, v5, vcc
	v_addc_co_u32_e64 v31, vcc, 0, v6, s[0:1]
	v_addc_co_u32_e64 v33, vcc, 0, v7, s[2:3]
	global_load_dwordx4 v[91:94], v[42:43], off
	global_load_dwordx4 v[95:98], v[11:12], off
	;; [unrolled: 1-line block ×4, first 2 shown]
	v_mov_b32_e32 v83, 0
	v_mov_b32_e32 v84, 0
	s_add_u32 s35, s12, s36
	s_addc_u32 s36, s13, s37
	v_mov_b32_e32 v3, s36
	v_add_co_u32_e32 v4, vcc, s35, v22
	v_mov_b32_e32 v5, s36
	v_add_co_u32_e64 v6, s[0:1], s35, v24
	v_mov_b32_e32 v7, s36
	v_add_co_u32_e64 v8, s[2:3], s35, v26
	;; [unrolled: 2-line block ×3, first 2 shown]
	v_addc_co_u32_e32 v3, vcc, v3, v23, vcc
	v_addc_co_u32_e64 v5, vcc, v5, v25, s[0:1]
	v_add_co_u32_e32 v34, vcc, v6, v63
	v_addc_co_u32_e64 v6, s[0:1], v7, v27, s[2:3]
	s_waitcnt vmcnt(3)
	ds_write_b128 v56, v[91:94]
	s_waitcnt vmcnt(2)
	ds_write_b128 v57, v[95:98]
	s_waitcnt vmcnt(1)
	ds_write_b128 v58, v[99:102]
	s_waitcnt vmcnt(0)
	ds_write_b128 v59, v[103:106]
	s_waitcnt lgkmcnt(0)
	s_barrier
	ds_read_b128 v[91:94], v60
	ds_read_b128 v[95:98], v48
	ds_read_b128 v[99:102], v60 offset:8704
	s_waitcnt lgkmcnt(1)
	;;#ASMSTART
	v_dot2_f32_f16 v83, v91, v95, v83
	;;#ASMEND
	;;#ASMSTART
	v_dot2_f32_f16 v83, v92, v96, v83
	;;#ASMEND
	;;#ASMSTART
	v_dot2_f32_f16 v83, v93, v97, v83
	;;#ASMEND
	;;#ASMSTART
	v_dot2_f32_f16 v83, v94, v98, v83
	;;#ASMEND
	s_waitcnt lgkmcnt(0)
	;;#ASMSTART
	v_dot2_f32_f16 v84, v99, v95, v84
	;;#ASMEND
	;;#ASMSTART
	v_dot2_f32_f16 v84, v100, v96, v84
	;;#ASMEND
	;;#ASMSTART
	v_dot2_f32_f16 v84, v101, v97, v84
	;;#ASMEND
	;;#ASMSTART
	v_dot2_f32_f16 v84, v102, v98, v84
	;;#ASMEND
	ds_read_b128 v[91:94], v60 offset:16
	ds_read_b128 v[95:98], v48 offset:16
	ds_read_b128 v[99:102], v60 offset:8720
	s_waitcnt lgkmcnt(1)
	;;#ASMSTART
	v_dot2_f32_f16 v83, v91, v95, v83
	;;#ASMEND
	;;#ASMSTART
	v_dot2_f32_f16 v83, v92, v96, v83
	;;#ASMEND
	;;#ASMSTART
	v_dot2_f32_f16 v83, v93, v97, v83
	;;#ASMEND
	;;#ASMSTART
	v_dot2_f32_f16 v83, v94, v98, v83
	;;#ASMEND
	s_waitcnt lgkmcnt(0)
	;;#ASMSTART
	v_dot2_f32_f16 v84, v99, v95, v84
	;;#ASMEND
	;;#ASMSTART
	v_dot2_f32_f16 v84, v100, v96, v84
	;;#ASMEND
	;;#ASMSTART
	v_dot2_f32_f16 v84, v101, v97, v84
	;;#ASMEND
	;;#ASMSTART
	v_dot2_f32_f16 v84, v102, v98, v84
	;;#ASMEND
	ds_read_b128 v[91:94], v60 offset:32
	ds_read_b128 v[95:98], v48 offset:32
	;; [unrolled: 29-line block ×15, first 2 shown]
	ds_read_b128 v[99:102], v60 offset:8944
	s_waitcnt lgkmcnt(1)
	;;#ASMSTART
	v_dot2_f32_f16 v83, v91, v95, v83
	;;#ASMEND
	;;#ASMSTART
	v_dot2_f32_f16 v83, v92, v96, v83
	;;#ASMEND
	;; [unrolled: 3-line block ×4, first 2 shown]
	s_waitcnt lgkmcnt(0)
	;;#ASMSTART
	v_dot2_f32_f16 v84, v99, v95, v84
	;;#ASMEND
	;;#ASMSTART
	v_dot2_f32_f16 v84, v100, v96, v84
	;;#ASMEND
	;; [unrolled: 3-line block ×4, first 2 shown]
	s_barrier
	global_load_dwordx4 v[91:94], v[42:43], off offset:256
	global_load_dwordx4 v[95:98], v[11:12], off offset:256
	;; [unrolled: 1-line block ×3, first 2 shown]
	s_nop 0
	global_load_dwordx4 v[30:33], v[32:33], off offset:256
	s_waitcnt vmcnt(3)
	ds_write_b128 v56, v[91:94]
	s_waitcnt vmcnt(2)
	ds_write_b128 v57, v[95:98]
	;; [unrolled: 2-line block ×4, first 2 shown]
	s_waitcnt lgkmcnt(0)
	s_barrier
	ds_read_b128 v[30:33], v60
	ds_read_b128 v[91:94], v48 offset:256
	ds_read_b128 v[95:98], v60 offset:8704
	s_waitcnt lgkmcnt(1)
	;;#ASMSTART
	v_dot2_f32_f16 v83, v30, v91, v83
	;;#ASMEND
	;;#ASMSTART
	v_dot2_f32_f16 v83, v31, v92, v83
	;;#ASMEND
	;;#ASMSTART
	v_dot2_f32_f16 v83, v32, v93, v83
	;;#ASMEND
	;;#ASMSTART
	v_dot2_f32_f16 v83, v33, v94, v83
	;;#ASMEND
	s_waitcnt lgkmcnt(0)
	;;#ASMSTART
	v_dot2_f32_f16 v84, v95, v91, v84
	;;#ASMEND
	;;#ASMSTART
	v_dot2_f32_f16 v84, v96, v92, v84
	;;#ASMEND
	;;#ASMSTART
	v_dot2_f32_f16 v84, v97, v93, v84
	;;#ASMEND
	;;#ASMSTART
	v_dot2_f32_f16 v84, v98, v94, v84
	;;#ASMEND
	ds_read_b128 v[30:33], v60 offset:16
	ds_read_b128 v[91:94], v48 offset:272
	ds_read_b128 v[95:98], v60 offset:8720
	s_waitcnt lgkmcnt(1)
	;;#ASMSTART
	v_dot2_f32_f16 v83, v30, v91, v83
	;;#ASMEND
	;;#ASMSTART
	v_dot2_f32_f16 v83, v31, v92, v83
	;;#ASMEND
	;;#ASMSTART
	v_dot2_f32_f16 v83, v32, v93, v83
	;;#ASMEND
	;;#ASMSTART
	v_dot2_f32_f16 v83, v33, v94, v83
	;;#ASMEND
	s_waitcnt lgkmcnt(0)
	;;#ASMSTART
	v_dot2_f32_f16 v84, v95, v91, v84
	;;#ASMEND
	;;#ASMSTART
	v_dot2_f32_f16 v84, v96, v92, v84
	;;#ASMEND
	;;#ASMSTART
	v_dot2_f32_f16 v84, v97, v93, v84
	;;#ASMEND
	;;#ASMSTART
	v_dot2_f32_f16 v84, v98, v94, v84
	;;#ASMEND
	ds_read_b128 v[30:33], v60 offset:32
	;; [unrolled: 29-line block ×15, first 2 shown]
	ds_read_b128 v[91:94], v48 offset:496
	ds_read_b128 v[95:98], v60 offset:8944
	s_waitcnt lgkmcnt(1)
	;;#ASMSTART
	v_dot2_f32_f16 v83, v30, v91, v83
	;;#ASMEND
	;;#ASMSTART
	v_dot2_f32_f16 v83, v31, v92, v83
	;;#ASMEND
	;; [unrolled: 3-line block ×4, first 2 shown]
	s_waitcnt lgkmcnt(0)
	;;#ASMSTART
	v_dot2_f32_f16 v84, v95, v91, v84
	;;#ASMEND
	;;#ASMSTART
	v_dot2_f32_f16 v84, v96, v92, v84
	;;#ASMEND
	;; [unrolled: 3-line block ×4, first 2 shown]
	global_load_ushort v11, v[1:2], off
	s_nop 0
	global_load_ushort v1, v[1:2], off offset:64
	v_addc_co_u32_e64 v7, s[2:3], v9, v29, s[8:9]
	v_add_co_u32_e64 v36, s[0:1], v8, v63
	v_add_co_u32_e64 v38, s[2:3], v10, v63
	v_add_co_u32_e64 v40, s[8:9], v4, v63
	v_addc_co_u32_e64 v41, s[8:9], 0, v3, s[8:9]
	v_addc_co_u32_e32 v35, vcc, 0, v5, vcc
	v_addc_co_u32_e64 v37, vcc, 0, v6, s[0:1]
	v_addc_co_u32_e64 v39, vcc, 0, v7, s[2:3]
	s_waitcnt vmcnt(0)
	s_barrier
	global_load_dwordx4 v[40:43], v[40:41], off
	s_nop 0
	global_load_dwordx4 v[32:35], v[34:35], off
	s_nop 0
	;; [unrolled: 2-line block ×3, first 2 shown]
	global_load_dwordx4 v[36:39], v[38:39], off
	s_or_b32 s38, s6, 32
	s_mul_hi_i32 s37, s38, s14
	s_mul_i32 s36, s38, s14
	s_lshl_b64 s[36:37], s[36:37], 2
	s_add_u32 s8, s12, s36
	s_addc_u32 s2, s13, s37
	v_mov_b32_e32 v3, s2
	v_mov_b32_e32 v4, s2
	v_add_co_u32_e32 v5, vcc, s8, v24
	v_mov_b32_e32 v6, s2
	v_add_co_u32_e64 v7, s[0:1], s8, v26
	v_mov_b32_e32 v8, s2
	v_add_co_u32_e64 v9, s[2:3], s8, v28
	v_add_co_u32_e64 v10, s[8:9], s8, v22
	v_addc_co_u32_e32 v4, vcc, v4, v25, vcc
	v_addc_co_u32_e64 v108, s[0:1], v6, v27, s[0:1]
	v_addc_co_u32_e64 v109, s[2:3], v8, v29, s[2:3]
	;; [unrolled: 1-line block ×3, first 2 shown]
	v_add_co_u32_e32 v5, vcc, v5, v63
	v_add_co_u32_e64 v7, s[0:1], v7, v63
	v_add_co_u32_e64 v3, s[2:3], v9, v63
	v_addc_co_u32_e32 v6, vcc, 0, v4, vcc
	v_addc_co_u32_e64 v8, vcc, 0, v108, s[0:1]
	v_addc_co_u32_e64 v4, vcc, 0, v109, s[2:3]
	v_add_co_u32_e64 v9, s[8:9], v10, v63
	v_addc_co_u32_e64 v10, s[8:9], 0, v107, s[8:9]
	v_cvt_f32_f16_e32 v2, v11
	v_cvt_f32_f16_e32 v1, v1
	v_add_f32_e32 v2, v83, v2
	v_add_f32_e32 v1, v84, v1
	;; [unrolled: 1-line block ×4, first 2 shown]
	v_max3_f32 v11, v82, v11, v12
	ds_bpermute_b32 v12, v90, v11
	s_waitcnt lgkmcnt(0)
	v_max_f32_e32 v12, v12, v12
	v_max_f32_e32 v11, v11, v12
	ds_bpermute_b32 v12, v89, v11
	s_waitcnt lgkmcnt(0)
	v_max_f32_e32 v12, v12, v12
	v_max_f32_e32 v11, v11, v12
	;; [unrolled: 4-line block ×5, first 2 shown]
	v_sub_f32_e32 v11, v82, v30
	v_sub_f32_e32 v2, v2, v30
	;; [unrolled: 1-line block ×3, first 2 shown]
	v_mul_f32_e32 v12, 0x3fb8aa3b, v2
	v_mul_f32_e32 v31, 0x3fb8aa3b, v1
	;; [unrolled: 1-line block ×3, first 2 shown]
	v_fma_f32 v83, v2, s24, -v12
	v_rndne_f32_e32 v84, v12
	v_fma_f32 v86, v1, s24, -v31
	v_rndne_f32_e32 v87, v31
	;; [unrolled: 2-line block ×3, first 2 shown]
	v_fmac_f32_e32 v83, 0x32a5705f, v2
	v_sub_f32_e32 v12, v12, v84
	v_fmac_f32_e32 v86, 0x32a5705f, v1
	v_sub_f32_e32 v31, v31, v87
	;; [unrolled: 2-line block ×3, first 2 shown]
	v_add_f32_e32 v12, v12, v83
	v_add_f32_e32 v31, v31, v86
	;; [unrolled: 1-line block ×3, first 2 shown]
	v_cvt_i32_f32_e32 v84, v84
	v_cvt_i32_f32_e32 v87, v87
	;; [unrolled: 1-line block ×3, first 2 shown]
	v_exp_f32_e32 v12, v12
	v_exp_f32_e32 v31, v31
	;; [unrolled: 1-line block ×3, first 2 shown]
	v_cmp_ngt_f32_e32 vcc, s25, v1
	v_ldexp_f32 v12, v12, v84
	v_ldexp_f32 v31, v31, v87
	;; [unrolled: 1-line block ×3, first 2 shown]
	v_cmp_ngt_f32_e64 s[0:1], s25, v11
	v_cmp_ngt_f32_e64 s[2:3], s25, v2
	v_cndmask_b32_e64 v12, 0, v12, s[2:3]
	v_cndmask_b32_e32 v31, 0, v31, vcc
	v_cmp_nlt_f32_e32 vcc, s31, v1
	v_cndmask_b32_e64 v1, 0, v82, s[0:1]
	v_cmp_nlt_f32_e64 s[0:1], s31, v11
	v_cmp_nlt_f32_e64 s[2:3], s31, v2
	v_cndmask_b32_e64 v2, v70, v12, s[2:3]
	v_cndmask_b32_e32 v11, v70, v31, vcc
	v_cndmask_b32_e64 v1, v70, v1, s[0:1]
	v_cvt_f16_f32_e32 v12, v2
	v_add_f32_e32 v31, v2, v11
	v_cvt_f16_f32_e32 v2, v1
	v_cvt_f16_f32_e32 v11, v11
	v_fmac_f32_e32 v31, v85, v1
	ds_write_b16 v62, v12
	ds_write_b16 v62, v11 offset:64
	s_waitcnt vmcnt(3)
	ds_write_b128 v64, v[40:43]
	s_waitcnt vmcnt(2)
	ds_write_b128 v65, v[32:35]
	;; [unrolled: 2-line block ×4, first 2 shown]
	v_mul_u32_u24_e32 v1, 0x10001, v2
	s_waitcnt lgkmcnt(0)
	s_barrier
	ds_read2_b64 v[32:35], v47 offset1:32
	ds_read_b128 v[36:39], v61
	ds_read_b128 v[40:43], v61 offset:16
	ds_read_b128 v[82:85], v61 offset:32
	;; [unrolled: 1-line block ×3, first 2 shown]
	ds_read2_b64 v[90:93], v47 offset0:64 offset1:96
	ds_read2_b64 v[94:97], v47 offset0:128 offset1:160
	;; [unrolled: 1-line block ×3, first 2 shown]
	ds_read2_b64 v[102:105], v71 offset1:32
	ds_read2_b64 v[106:109], v71 offset0:64 offset1:96
	ds_read2_b64 v[110:113], v71 offset0:128 offset1:160
	;; [unrolled: 1-line block ×3, first 2 shown]
	ds_read2_b64 v[118:121], v72 offset1:32
	ds_read2_b64 v[122:125], v72 offset0:64 offset1:96
	s_waitcnt lgkmcnt(12)
	v_mul_u32_u24_sdwa v12, v36, s34 dst_sel:DWORD dst_unused:UNUSED_PAD src0_sel:WORD_0 src1_sel:DWORD
	v_pk_mul_f16 v2, v79, v1
	v_pk_mul_f16 v11, v78, v1
	;; [unrolled: 1-line block ×4, first 2 shown]
	v_pk_fma_f16 v2, v34, v12, v2
	v_pk_fma_f16 v11, v35, v12, v11
	v_mul_u32_u24_sdwa v12, v36, s34 dst_sel:DWORD dst_unused:UNUSED_PAD src0_sel:WORD_1 src1_sel:DWORD
	v_pk_fma_f16 v36, v80, v1, v78
	v_pk_fma_f16 v1, v81, v1, v79
	s_waitcnt lgkmcnt(8)
	v_pk_fma_f16 v2, v92, v12, v2
	v_pk_fma_f16 v11, v93, v12, v11
	;; [unrolled: 1-line block ×4, first 2 shown]
	v_mul_u32_u24_sdwa v12, v37, s34 dst_sel:DWORD dst_unused:UNUSED_PAD src0_sel:WORD_0 src1_sel:DWORD
	s_waitcnt lgkmcnt(7)
	v_pk_fma_f16 v2, v96, v12, v2
	v_pk_fma_f16 v11, v97, v12, v11
	;; [unrolled: 1-line block ×4, first 2 shown]
	v_mul_u32_u24_sdwa v12, v37, s34 dst_sel:DWORD dst_unused:UNUSED_PAD src0_sel:WORD_1 src1_sel:DWORD
	s_waitcnt lgkmcnt(6)
	v_pk_fma_f16 v2, v100, v12, v2
	v_pk_fma_f16 v11, v101, v12, v11
	;; [unrolled: 1-line block ×4, first 2 shown]
	v_mul_u32_u24_sdwa v12, v38, s34 dst_sel:DWORD dst_unused:UNUSED_PAD src0_sel:WORD_0 src1_sel:DWORD
	s_waitcnt lgkmcnt(5)
	v_pk_fma_f16 v2, v104, v12, v2
	v_pk_fma_f16 v11, v105, v12, v11
	;; [unrolled: 1-line block ×4, first 2 shown]
	v_mul_u32_u24_sdwa v12, v38, s34 dst_sel:DWORD dst_unused:UNUSED_PAD src0_sel:WORD_1 src1_sel:DWORD
	ds_read2_b64 v[32:35], v72 offset0:128 offset1:160
	s_waitcnt lgkmcnt(5)
	v_pk_fma_f16 v2, v108, v12, v2
	v_pk_fma_f16 v11, v109, v12, v11
	;; [unrolled: 1-line block ×4, first 2 shown]
	v_mul_u32_u24_sdwa v12, v39, s34 dst_sel:DWORD dst_unused:UNUSED_PAD src0_sel:WORD_0 src1_sel:DWORD
	ds_read2_b64 v[78:81], v72 offset0:192 offset1:224
	s_waitcnt lgkmcnt(5)
	v_pk_fma_f16 v2, v112, v12, v2
	v_pk_fma_f16 v11, v113, v12, v11
	;; [unrolled: 1-line block ×4, first 2 shown]
	v_mul_u32_u24_sdwa v12, v39, s34 dst_sel:DWORD dst_unused:UNUSED_PAD src0_sel:WORD_1 src1_sel:DWORD
	ds_read2_b64 v[90:93], v73 offset1:32
	s_waitcnt lgkmcnt(5)
	v_pk_fma_f16 v2, v116, v12, v2
	v_pk_fma_f16 v11, v117, v12, v11
	;; [unrolled: 1-line block ×4, first 2 shown]
	v_mul_u32_u24_sdwa v12, v40, s34 dst_sel:DWORD dst_unused:UNUSED_PAD src0_sel:WORD_0 src1_sel:DWORD
	ds_read2_b64 v[94:97], v73 offset0:64 offset1:96
	s_waitcnt lgkmcnt(5)
	v_pk_fma_f16 v2, v120, v12, v2
	v_pk_fma_f16 v11, v121, v12, v11
	;; [unrolled: 1-line block ×4, first 2 shown]
	v_mul_u32_u24_sdwa v12, v40, s34 dst_sel:DWORD dst_unused:UNUSED_PAD src0_sel:WORD_1 src1_sel:DWORD
	ds_read2_b64 v[98:101], v73 offset0:128 offset1:160
	s_waitcnt lgkmcnt(5)
	v_pk_fma_f16 v2, v124, v12, v2
	v_pk_fma_f16 v11, v125, v12, v11
	;; [unrolled: 1-line block ×4, first 2 shown]
	v_mul_u32_u24_sdwa v12, v41, s34 dst_sel:DWORD dst_unused:UNUSED_PAD src0_sel:WORD_0 src1_sel:DWORD
	ds_read2_b64 v[102:105], v73 offset0:192 offset1:224
	s_waitcnt lgkmcnt(5)
	v_pk_fma_f16 v2, v34, v12, v2
	v_pk_fma_f16 v11, v35, v12, v11
	;; [unrolled: 1-line block ×4, first 2 shown]
	v_mul_u32_u24_sdwa v12, v41, s34 dst_sel:DWORD dst_unused:UNUSED_PAD src0_sel:WORD_1 src1_sel:DWORD
	s_waitcnt lgkmcnt(4)
	v_pk_fma_f16 v2, v80, v12, v2
	v_pk_fma_f16 v11, v81, v12, v11
	v_pk_fma_f16 v40, v78, v12, v40
	v_pk_fma_f16 v1, v79, v12, v1
	v_mul_u32_u24_sdwa v12, v42, s34 dst_sel:DWORD dst_unused:UNUSED_PAD src0_sel:WORD_0 src1_sel:DWORD
	ds_read2_b64 v[106:109], v74 offset1:32
	ds_read2_b64 v[110:113], v74 offset0:64 offset1:96
	s_waitcnt lgkmcnt(5)
	v_pk_fma_f16 v2, v92, v12, v2
	v_pk_fma_f16 v11, v93, v12, v11
	;; [unrolled: 1-line block ×4, first 2 shown]
	v_mul_u32_u24_sdwa v12, v42, s34 dst_sel:DWORD dst_unused:UNUSED_PAD src0_sel:WORD_1 src1_sel:DWORD
	ds_read2_b64 v[36:39], v74 offset0:128 offset1:160
	s_waitcnt lgkmcnt(5)
	v_pk_fma_f16 v2, v96, v12, v2
	v_pk_fma_f16 v11, v97, v12, v11
	;; [unrolled: 1-line block ×4, first 2 shown]
	v_mul_u32_u24_sdwa v12, v43, s34 dst_sel:DWORD dst_unused:UNUSED_PAD src0_sel:WORD_0 src1_sel:DWORD
	ds_read2_b64 v[114:117], v74 offset0:192 offset1:224
	s_waitcnt lgkmcnt(5)
	v_pk_fma_f16 v2, v100, v12, v2
	v_pk_fma_f16 v11, v101, v12, v11
	;; [unrolled: 1-line block ×4, first 2 shown]
	v_mul_u32_u24_sdwa v12, v43, s34 dst_sel:DWORD dst_unused:UNUSED_PAD src0_sel:WORD_1 src1_sel:DWORD
	ds_read2_b64 v[118:121], v75 offset1:32
	s_waitcnt lgkmcnt(5)
	v_pk_fma_f16 v2, v104, v12, v2
	v_pk_fma_f16 v11, v105, v12, v11
	;; [unrolled: 1-line block ×4, first 2 shown]
	v_mul_u32_u24_sdwa v12, v82, s34 dst_sel:DWORD dst_unused:UNUSED_PAD src0_sel:WORD_0 src1_sel:DWORD
	s_waitcnt lgkmcnt(4)
	v_pk_fma_f16 v2, v108, v12, v2
	v_pk_fma_f16 v11, v109, v12, v11
	;; [unrolled: 1-line block ×4, first 2 shown]
	v_mul_u32_u24_sdwa v12, v82, s34 dst_sel:DWORD dst_unused:UNUSED_PAD src0_sel:WORD_1 src1_sel:DWORD
	s_waitcnt lgkmcnt(3)
	v_pk_fma_f16 v2, v112, v12, v2
	v_pk_fma_f16 v11, v113, v12, v11
	;; [unrolled: 1-line block ×4, first 2 shown]
	v_mul_u32_u24_sdwa v12, v83, s34 dst_sel:DWORD dst_unused:UNUSED_PAD src0_sel:WORD_0 src1_sel:DWORD
	ds_read2_b64 v[32:35], v75 offset0:64 offset1:96
	s_waitcnt lgkmcnt(3)
	v_pk_fma_f16 v2, v38, v12, v2
	v_pk_fma_f16 v11, v39, v12, v11
	;; [unrolled: 1-line block ×4, first 2 shown]
	v_mul_u32_u24_sdwa v12, v83, s34 dst_sel:DWORD dst_unused:UNUSED_PAD src0_sel:WORD_1 src1_sel:DWORD
	s_waitcnt lgkmcnt(2)
	v_pk_fma_f16 v2, v116, v12, v2
	v_pk_fma_f16 v83, v117, v12, v11
	;; [unrolled: 1-line block ×4, first 2 shown]
	v_mul_u32_u24_sdwa v114, v84, s34 dst_sel:DWORD dst_unused:UNUSED_PAD src0_sel:WORD_0 src1_sel:DWORD
	ds_read2_b64 v[78:81], v75 offset0:128 offset1:160
	ds_read2_b64 v[90:93], v75 offset0:192 offset1:224
	ds_read2_b64 v[94:97], v76 offset1:32
	ds_read2_b64 v[98:101], v76 offset0:64 offset1:96
	ds_read2_b64 v[122:125], v76 offset0:128 offset1:160
	;; [unrolled: 1-line block ×3, first 2 shown]
	ds_read2_b64 v[102:105], v77 offset1:32
	ds_read2_b64 v[106:109], v77 offset0:64 offset1:96
	ds_read2_b64 v[36:39], v77 offset0:128 offset1:160
	;; [unrolled: 1-line block ×3, first 2 shown]
	s_waitcnt lgkmcnt(0)
	s_barrier
	global_load_dwordx4 v[9:12], v[9:10], off
	v_pk_fma_f16 v2, v120, v114, v2
	v_pk_fma_f16 v83, v121, v114, v83
	;; [unrolled: 1-line block ×4, first 2 shown]
	global_load_dwordx4 v[114:117], v[5:6], off
	s_nop 0
	global_load_dwordx4 v[5:8], v[7:8], off
	v_mul_u32_u24_sdwa v84, v84, s34 dst_sel:DWORD dst_unused:UNUSED_PAD src0_sel:WORD_1 src1_sel:DWORD
	v_pk_fma_f16 v34, v34, v84, v2
	v_pk_fma_f16 v33, v33, v84, v1
	global_load_dwordx4 v[1:4], v[3:4], off
	v_mul_u32_u24_sdwa v118, v85, s34 dst_sel:DWORD dst_unused:UNUSED_PAD src0_sel:WORD_0 src1_sel:DWORD
	v_pk_fma_f16 v35, v35, v84, v83
	v_pk_fma_f16 v32, v32, v84, v82
	v_mul_u32_u24_sdwa v85, v85, s34 dst_sel:DWORD dst_unused:UNUSED_PAD src0_sel:WORD_1 src1_sel:DWORD
	v_pk_fma_f16 v34, v80, v118, v34
	v_pk_fma_f16 v35, v81, v118, v35
	v_pk_fma_f16 v32, v78, v118, v32
	v_pk_fma_f16 v33, v79, v118, v33
	v_mul_u32_u24_sdwa v119, v86, s34 dst_sel:DWORD dst_unused:UNUSED_PAD src0_sel:WORD_0 src1_sel:DWORD
	v_pk_fma_f16 v34, v92, v85, v34
	v_pk_fma_f16 v35, v93, v85, v35
	v_pk_fma_f16 v32, v90, v85, v32
	v_pk_fma_f16 v33, v91, v85, v33
	v_mul_u32_u24_sdwa v86, v86, s34 dst_sel:DWORD dst_unused:UNUSED_PAD src0_sel:WORD_1 src1_sel:DWORD
	v_pk_fma_f16 v34, v96, v119, v34
	v_pk_fma_f16 v35, v97, v119, v35
	v_pk_fma_f16 v32, v94, v119, v32
	v_pk_fma_f16 v33, v95, v119, v33
	v_mul_u32_u24_sdwa v120, v87, s34 dst_sel:DWORD dst_unused:UNUSED_PAD src0_sel:WORD_0 src1_sel:DWORD
	v_pk_fma_f16 v34, v100, v86, v34
	v_pk_fma_f16 v35, v101, v86, v35
	;; [unrolled: 10-line block ×4, first 2 shown]
	v_pk_fma_f16 v32, v106, v84, v32
	v_pk_fma_f16 v33, v107, v84, v33
	v_mul_u32_u24_sdwa v88, v89, s34 dst_sel:DWORD dst_unused:UNUSED_PAD src0_sel:WORD_1 src1_sel:DWORD
	v_pk_fma_f16 v34, v38, v87, v34
	v_pk_fma_f16 v35, v39, v87, v35
	;; [unrolled: 1-line block ×8, first 2 shown]
	s_waitcnt vmcnt(3)
	ds_write_b128 v64, v[9:12]
	s_waitcnt vmcnt(2)
	ds_write_b128 v65, v[114:117]
	;; [unrolled: 2-line block ×4, first 2 shown]
	s_waitcnt lgkmcnt(0)
	s_barrier
	ds_read2_b64 v[32:35], v47 offset1:32
	ds_read_b128 v[36:39], v61 offset:64
	ds_read_b128 v[9:12], v61 offset:80
	;; [unrolled: 1-line block ×4, first 2 shown]
	ds_read2_b64 v[40:43], v47 offset0:64 offset1:96
	ds_read2_b64 v[78:81], v47 offset0:128 offset1:160
	;; [unrolled: 1-line block ×3, first 2 shown]
	ds_read2_b64 v[86:89], v71 offset1:32
	ds_read2_b64 v[90:93], v71 offset0:64 offset1:96
	ds_read2_b64 v[94:97], v71 offset0:128 offset1:160
	ds_read2_b64 v[98:101], v71 offset0:192 offset1:224
	ds_read2_b64 v[102:105], v72 offset1:32
	ds_read2_b64 v[106:109], v72 offset0:64 offset1:96
	ds_read2_b64 v[110:113], v72 offset0:128 offset1:160
	;; [unrolled: 1-line block ×3, first 2 shown]
	s_waitcnt lgkmcnt(14)
	v_mul_u32_u24_sdwa v122, v36, s34 dst_sel:DWORD dst_unused:UNUSED_PAD src0_sel:WORD_0 src1_sel:DWORD
	v_pk_fma_f16 v120, v32, v122, v120
	v_pk_fma_f16 v121, v33, v122, v121
	v_pk_fma_f16 v118, v34, v122, v118
	v_pk_fma_f16 v119, v35, v122, v119
	v_mul_u32_u24_sdwa v36, v36, s34 dst_sel:DWORD dst_unused:UNUSED_PAD src0_sel:WORD_1 src1_sel:DWORD
	s_waitcnt lgkmcnt(10)
	v_pk_fma_f16 v120, v40, v36, v120
	v_pk_fma_f16 v121, v41, v36, v121
	v_pk_fma_f16 v118, v42, v36, v118
	v_pk_fma_f16 v36, v43, v36, v119
	v_mul_u32_u24_sdwa v119, v37, s34 dst_sel:DWORD dst_unused:UNUSED_PAD src0_sel:WORD_0 src1_sel:DWORD
	s_waitcnt lgkmcnt(9)
	v_pk_fma_f16 v120, v78, v119, v120
	v_pk_fma_f16 v121, v79, v119, v121
	v_pk_fma_f16 v118, v80, v119, v118
	v_pk_fma_f16 v36, v81, v119, v36
	v_mul_u32_u24_sdwa v37, v37, s34 dst_sel:DWORD dst_unused:UNUSED_PAD src0_sel:WORD_1 src1_sel:DWORD
	s_waitcnt lgkmcnt(8)
	v_pk_fma_f16 v119, v82, v37, v120
	v_pk_fma_f16 v120, v83, v37, v121
	v_pk_fma_f16 v118, v84, v37, v118
	v_pk_fma_f16 v36, v85, v37, v36
	v_mul_u32_u24_sdwa v37, v38, s34 dst_sel:DWORD dst_unused:UNUSED_PAD src0_sel:WORD_0 src1_sel:DWORD
	s_waitcnt lgkmcnt(7)
	;; [unrolled: 12-line block ×3, first 2 shown]
	v_pk_fma_f16 v38, v94, v37, v38
	v_pk_fma_f16 v122, v95, v37, v119
	;; [unrolled: 1-line block ×4, first 2 shown]
	v_mul_u32_u24_sdwa v37, v39, s34 dst_sel:DWORD dst_unused:UNUSED_PAD src0_sel:WORD_1 src1_sel:DWORD
	ds_read2_b64 v[32:35], v73 offset1:32
	s_waitcnt lgkmcnt(5)
	v_pk_fma_f16 v98, v98, v37, v38
	v_pk_fma_f16 v99, v99, v37, v122
	v_pk_fma_f16 v100, v100, v37, v123
	v_pk_fma_f16 v101, v101, v37, v36
	v_mul_u32_u24_sdwa v122, v9, s34 dst_sel:DWORD dst_unused:UNUSED_PAD src0_sel:WORD_0 src1_sel:DWORD
	ds_read2_b64 v[40:43], v73 offset0:64 offset1:96
	s_waitcnt lgkmcnt(5)
	v_pk_fma_f16 v102, v102, v122, v98
	v_pk_fma_f16 v103, v103, v122, v99
	;; [unrolled: 1-line block ×4, first 2 shown]
	v_mul_u32_u24_sdwa v9, v9, s34 dst_sel:DWORD dst_unused:UNUSED_PAD src0_sel:WORD_1 src1_sel:DWORD
	ds_read2_b64 v[78:81], v73 offset0:128 offset1:160
	s_waitcnt lgkmcnt(5)
	v_pk_fma_f16 v106, v106, v9, v102
	v_pk_fma_f16 v107, v107, v9, v103
	;; [unrolled: 1-line block ×4, first 2 shown]
	v_mul_u32_u24_sdwa v109, v10, s34 dst_sel:DWORD dst_unused:UNUSED_PAD src0_sel:WORD_0 src1_sel:DWORD
	ds_read2_b64 v[82:85], v73 offset0:192 offset1:224
	s_waitcnt lgkmcnt(5)
	v_pk_fma_f16 v110, v110, v109, v106
	v_pk_fma_f16 v111, v111, v109, v107
	;; [unrolled: 1-line block ×4, first 2 shown]
	v_mul_u32_u24_sdwa v10, v10, s34 dst_sel:DWORD dst_unused:UNUSED_PAD src0_sel:WORD_1 src1_sel:DWORD
	ds_read2_b64 v[86:89], v74 offset1:32
	s_waitcnt lgkmcnt(5)
	v_pk_fma_f16 v114, v114, v10, v110
	v_pk_fma_f16 v115, v115, v10, v111
	;; [unrolled: 1-line block ×4, first 2 shown]
	v_mul_u32_u24_sdwa v10, v11, s34 dst_sel:DWORD dst_unused:UNUSED_PAD src0_sel:WORD_0 src1_sel:DWORD
	ds_read2_b64 v[90:93], v74 offset0:64 offset1:96
	s_waitcnt lgkmcnt(5)
	v_pk_fma_f16 v114, v32, v10, v114
	v_pk_fma_f16 v115, v33, v10, v115
	;; [unrolled: 1-line block ×4, first 2 shown]
	v_mul_u32_u24_sdwa v10, v11, s34 dst_sel:DWORD dst_unused:UNUSED_PAD src0_sel:WORD_1 src1_sel:DWORD
	s_waitcnt lgkmcnt(4)
	v_pk_fma_f16 v11, v40, v10, v114
	v_pk_fma_f16 v114, v41, v10, v115
	;; [unrolled: 1-line block ×4, first 2 shown]
	v_mul_u32_u24_sdwa v10, v12, s34 dst_sel:DWORD dst_unused:UNUSED_PAD src0_sel:WORD_0 src1_sel:DWORD
	ds_read2_b64 v[94:97], v74 offset0:128 offset1:160
	ds_read2_b64 v[118:121], v74 offset0:192 offset1:224
	s_waitcnt lgkmcnt(5)
	v_pk_fma_f16 v11, v78, v10, v11
	v_pk_fma_f16 v122, v79, v10, v114
	;; [unrolled: 1-line block ×4, first 2 shown]
	v_mul_u32_u24_sdwa v10, v12, s34 dst_sel:DWORD dst_unused:UNUSED_PAD src0_sel:WORD_1 src1_sel:DWORD
	ds_read2_b64 v[36:39], v75 offset1:32
	v_mul_u32_u24_sdwa v12, v5, s34 dst_sel:DWORD dst_unused:UNUSED_PAD src0_sel:WORD_0 src1_sel:DWORD
	s_waitcnt lgkmcnt(5)
	v_pk_fma_f16 v11, v82, v10, v11
	v_pk_fma_f16 v82, v83, v10, v122
	;; [unrolled: 1-line block ×4, first 2 shown]
	ds_read2_b64 v[98:101], v75 offset0:64 offset1:96
	v_mul_u32_u24_sdwa v124, v5, s34 dst_sel:DWORD dst_unused:UNUSED_PAD src0_sel:WORD_1 src1_sel:DWORD
	s_waitcnt lgkmcnt(5)
	v_pk_fma_f16 v84, v86, v12, v11
	v_pk_fma_f16 v82, v87, v12, v82
	;; [unrolled: 1-line block ×4, first 2 shown]
	ds_read2_b64 v[102:105], v75 offset0:128 offset1:160
	v_mul_u32_u24_sdwa v125, v6, s34 dst_sel:DWORD dst_unused:UNUSED_PAD src0_sel:WORD_0 src1_sel:DWORD
	s_waitcnt lgkmcnt(5)
	v_pk_fma_f16 v86, v90, v124, v84
	v_pk_fma_f16 v87, v91, v124, v82
	;; [unrolled: 1-line block ×4, first 2 shown]
	ds_read2_b64 v[106:109], v75 offset0:192 offset1:224
	v_mul_u32_u24_sdwa v122, v6, s34 dst_sel:DWORD dst_unused:UNUSED_PAD src0_sel:WORD_1 src1_sel:DWORD
	s_waitcnt lgkmcnt(5)
	v_pk_fma_f16 v86, v94, v125, v86
	v_pk_fma_f16 v87, v95, v125, v87
	;; [unrolled: 1-line block ×4, first 2 shown]
	ds_read2_b64 v[110:113], v76 offset1:32
	v_mul_u32_u24_sdwa v123, v7, s34 dst_sel:DWORD dst_unused:UNUSED_PAD src0_sel:WORD_0 src1_sel:DWORD
	s_waitcnt lgkmcnt(5)
	v_pk_fma_f16 v86, v118, v122, v86
	v_pk_fma_f16 v87, v119, v122, v87
	v_pk_fma_f16 v88, v120, v122, v88
	v_pk_fma_f16 v89, v121, v122, v89
	ds_read2_b64 v[32:35], v76 offset0:64 offset1:96
	v_mul_u32_u24_sdwa v126, v7, s34 dst_sel:DWORD dst_unused:UNUSED_PAD src0_sel:WORD_1 src1_sel:DWORD
	s_waitcnt lgkmcnt(5)
	v_pk_fma_f16 v36, v36, v123, v86
	v_pk_fma_f16 v37, v37, v123, v87
	;; [unrolled: 1-line block ×4, first 2 shown]
	ds_read2_b64 v[40:43], v76 offset0:128 offset1:160
	v_mul_u32_u24_sdwa v127, v8, s34 dst_sel:DWORD dst_unused:UNUSED_PAD src0_sel:WORD_0 src1_sel:DWORD
	s_waitcnt lgkmcnt(5)
	v_pk_fma_f16 v36, v98, v126, v36
	v_pk_fma_f16 v37, v99, v126, v37
	;; [unrolled: 1-line block ×4, first 2 shown]
	v_mul_u32_u24_sdwa v45, v8, s34 dst_sel:DWORD dst_unused:UNUSED_PAD src0_sel:WORD_1 src1_sel:DWORD
	s_waitcnt lgkmcnt(4)
	v_pk_fma_f16 v36, v102, v127, v36
	v_pk_fma_f16 v37, v103, v127, v37
	;; [unrolled: 1-line block ×4, first 2 shown]
	ds_read2_b64 v[78:81], v76 offset0:192 offset1:224
	ds_read2_b64 v[114:117], v77 offset1:32
	v_mul_u32_u24_sdwa v90, v1, s34 dst_sel:DWORD dst_unused:UNUSED_PAD src0_sel:WORD_0 src1_sel:DWORD
	s_waitcnt lgkmcnt(5)
	v_pk_fma_f16 v36, v106, v45, v36
	v_pk_fma_f16 v37, v107, v45, v37
	;; [unrolled: 1-line block ×4, first 2 shown]
	ds_read2_b64 v[5:8], v77 offset0:64 offset1:96
	ds_read2_b64 v[9:12], v77 offset0:128 offset1:160
	ds_read2_b64 v[82:85], v77 offset0:192 offset1:224
	s_waitcnt lgkmcnt(0)
	s_barrier
	s_load_dword s0, s[10:11], 0x4
	v_mul_u32_u24_sdwa v1, v1, s34 dst_sel:DWORD dst_unused:UNUSED_PAD src0_sel:WORD_1 src1_sel:DWORD
	v_pk_fma_f16 v36, v110, v90, v36
	v_pk_fma_f16 v37, v111, v90, v37
	;; [unrolled: 1-line block ×4, first 2 shown]
	v_mul_u32_u24_sdwa v91, v2, s34 dst_sel:DWORD dst_unused:UNUSED_PAD src0_sel:WORD_0 src1_sel:DWORD
	v_pk_fma_f16 v32, v32, v1, v36
	v_pk_fma_f16 v33, v33, v1, v37
	;; [unrolled: 1-line block ×4, first 2 shown]
	v_mul_u32_u24_sdwa v2, v2, s34 dst_sel:DWORD dst_unused:UNUSED_PAD src0_sel:WORD_1 src1_sel:DWORD
	v_pk_fma_f16 v32, v40, v91, v32
	v_pk_fma_f16 v33, v41, v91, v33
	v_pk_fma_f16 v34, v42, v91, v34
	v_pk_fma_f16 v1, v43, v91, v1
	v_mul_u32_u24_sdwa v92, v3, s34 dst_sel:DWORD dst_unused:UNUSED_PAD src0_sel:WORD_0 src1_sel:DWORD
	v_pk_fma_f16 v32, v78, v2, v32
	v_pk_fma_f16 v33, v79, v2, v33
	;; [unrolled: 1-line block ×4, first 2 shown]
	v_mul_u32_u24_sdwa v3, v3, s34 dst_sel:DWORD dst_unused:UNUSED_PAD src0_sel:WORD_1 src1_sel:DWORD
	v_pk_fma_f16 v2, v114, v92, v32
	v_pk_fma_f16 v32, v115, v92, v33
	;; [unrolled: 1-line block ×4, first 2 shown]
	v_mul_u32_u24_sdwa v93, v4, s34 dst_sel:DWORD dst_unused:UNUSED_PAD src0_sel:WORD_0 src1_sel:DWORD
	s_waitcnt lgkmcnt(0)
	s_lshl_b32 s0, s0, 6
	v_pk_fma_f16 v2, v5, v3, v2
	v_pk_fma_f16 v5, v6, v3, v32
	;; [unrolled: 1-line block ×4, first 2 shown]
	v_mul_u32_u24_sdwa v4, v4, s34 dst_sel:DWORD dst_unused:UNUSED_PAD src0_sel:WORD_1 src1_sel:DWORD
	s_add_i32 s6, s0, s6
	v_pk_fma_f16 v2, v9, v93, v2
	v_pk_fma_f16 v3, v10, v93, v5
	;; [unrolled: 1-line block ×4, first 2 shown]
	s_cmp_ge_i32 s6, s28
	v_pk_fma_f16 v80, v82, v4, v2
	v_pk_fma_f16 v81, v83, v4, v3
	;; [unrolled: 1-line block ×4, first 2 shown]
	s_cbranch_scc0 .LBB9_9
; %bb.10:
	v_lshlrev_b32_e32 v17, 2, v0
.LBB9_11:
	v_cmp_lt_i32_e32 vcc, v55, v50
	v_cndmask_b32_e32 v1, v49, v55, vcc
	v_lshlrev_b32_e32 v1, 2, v1
	ds_bpermute_b32 v1, v1, v31
	v_cmp_lt_i32_e32 vcc, v54, v50
	v_cndmask_b32_e32 v2, v49, v54, vcc
	v_lshlrev_b32_e32 v2, 2, v2
	v_cmp_lt_i32_e32 vcc, v53, v50
	s_waitcnt lgkmcnt(0)
	v_add_f32_e32 v1, v31, v1
	ds_bpermute_b32 v2, v2, v1
	v_cndmask_b32_e32 v3, v49, v53, vcc
	v_lshlrev_b32_e32 v3, 2, v3
	v_cmp_lt_i32_e32 vcc, v51, v50
	s_cmp_lg_u64 s[16:17], 0
	s_waitcnt lgkmcnt(0)
	v_add_f32_e32 v1, v1, v2
	ds_bpermute_b32 v2, v3, v1
	v_cndmask_b32_e32 v3, v49, v51, vcc
	v_lshlrev_b32_e32 v3, 2, v3
	v_cmp_lt_i32_e32 vcc, v52, v50
	v_cndmask_b32_e32 v4, v49, v52, vcc
	s_waitcnt lgkmcnt(0)
	v_add_f32_e32 v2, v1, v2
	ds_bpermute_b32 v3, v3, v2
	v_lshlrev_b32_e32 v4, 2, v4
	s_cselect_b64 s[0:1], -1, 0
	s_cmp_eq_u32 s7, 0
	s_cselect_b64 s[2:3], -1, 0
	s_waitcnt lgkmcnt(0)
	v_add_f32_e32 v2, v2, v3
	ds_bpermute_b32 v3, v4, v2
	s_and_b64 s[0:1], s[2:3], s[0:1]
	v_add_u32_e32 v1, s29, v46
	s_and_b64 vcc, exec, s[0:1]
	s_waitcnt lgkmcnt(0)
	v_add_f32_e32 v31, v2, v3
	s_cbranch_vccz .LBB9_13
; %bb.12:
	v_ashrrev_i32_e32 v2, 31, v1
	v_lshlrev_b64 v[2:3], 2, v[1:2]
	v_mov_b32_e32 v4, s17
	v_add_co_u32_e32 v2, vcc, s16, v2
	v_addc_co_u32_e32 v3, vcc, v4, v3, vcc
	global_load_dword v2, v[2:3], off
	v_max_f32_e32 v3, v30, v30
	s_mov_b32 s0, 0x3fb8aa3b
	s_mov_b32 s1, 0xc2ce8ed0
	s_waitcnt vmcnt(0)
	v_max_f32_e32 v4, v2, v2
	v_max_f32_e32 v3, v3, v4
	v_sub_f32_e32 v4, v30, v3
	v_sub_f32_e32 v2, v2, v3
	v_mul_f32_e32 v5, 0x3fb8aa3b, v4
	v_mul_f32_e32 v6, 0x3fb8aa3b, v2
	v_fma_f32 v7, v4, s0, -v5
	v_rndne_f32_e32 v8, v5
	v_fma_f32 v9, v2, s0, -v6
	v_rndne_f32_e32 v10, v6
	v_fmac_f32_e32 v7, 0x32a5705f, v4
	v_sub_f32_e32 v5, v5, v8
	v_fmac_f32_e32 v9, 0x32a5705f, v2
	v_sub_f32_e32 v6, v6, v10
	v_add_f32_e32 v5, v5, v7
	v_cvt_i32_f32_e32 v8, v8
	v_add_f32_e32 v6, v6, v9
	v_exp_f32_e32 v5, v5
	v_cvt_i32_f32_e32 v10, v10
	v_exp_f32_e32 v6, v6
	v_cmp_ngt_f32_e32 vcc, s1, v4
	v_ldexp_f32 v5, v5, v8
	s_mov_b32 s0, 0x42b17218
	v_ldexp_f32 v6, v6, v10
	v_cndmask_b32_e32 v5, 0, v5, vcc
	v_cmp_ngt_f32_e32 vcc, s1, v2
	v_mov_b32_e32 v7, 0x7f800000
	v_cndmask_b32_e32 v6, 0, v6, vcc
	v_cmp_nlt_f32_e32 vcc, s0, v4
	v_cndmask_b32_e32 v4, v7, v5, vcc
	v_cvt_f16_f32_e32 v5, v4
	v_cmp_nlt_f32_e32 vcc, s0, v2
	v_cndmask_b32_e32 v2, v7, v6, vcc
	v_fmac_f32_e32 v2, v31, v4
	v_mov_b32_e32 v31, v2
	v_mul_u32_u24_e32 v2, 0x10001, v5
	v_pk_mul_f16 v80, v80, v2
	v_pk_mul_f16 v81, v81, v2
	;; [unrolled: 1-line block ×4, first 2 shown]
	v_mov_b32_e32 v30, v3
.LBB9_13:
	v_div_scale_f32 v2, s[0:1], v31, v31, 1.0
	v_div_scale_f32 v3, vcc, 1.0, v31, 1.0
	v_cmp_eq_u32_e64 s[0:1], 0, v0
	s_mul_i32 s33, s33, s26
	s_load_dword s4, s[4:5], 0xd4
	v_add_u32_e32 v5, s33, v44
	v_mov_b32_e32 v6, 0
	v_cvt_f32_f16_sdwa v4, v81 dst_sel:DWORD dst_unused:UNUSED_PAD src0_sel:WORD_1
	v_cvt_f32_f16_e32 v9, v81
	v_cvt_f32_f16_sdwa v10, v80 dst_sel:DWORD dst_unused:UNUSED_PAD src0_sel:WORD_1
	v_cvt_f32_f16_e32 v11, v80
	s_waitcnt lgkmcnt(0)
	s_cmp_lg_u32 s4, 1
	v_cvt_f32_f16_sdwa v12, v78 dst_sel:DWORD dst_unused:UNUSED_PAD src0_sel:WORD_1
	v_cvt_f32_f16_e32 v13, v78
	v_rcp_f32_e32 v0, v2
	v_cvt_f32_f16_sdwa v14, v79 dst_sel:DWORD dst_unused:UNUSED_PAD src0_sel:WORD_1
	v_cvt_f32_f16_e32 v15, v79
	v_fma_f32 v7, -v2, v0, 1.0
	v_fmac_f32_e32 v0, v7, v0
	v_mul_f32_e32 v7, v3, v0
	v_fma_f32 v8, -v2, v7, v3
	v_fmac_f32_e32 v7, v8, v0
	v_fma_f32 v2, -v2, v7, v3
	v_div_fmas_f32 v3, v2, v0, v7
	v_mad_u64_u32 v[0:1], s[2:3], v5, s27, v[1:2]
	s_cselect_b64 s[2:3], -1, 0
	v_mov_b32_e32 v8, s21
	v_mul_lo_u32 v0, s4, v0
	s_and_b64 s[0:1], s[0:1], s[2:3]
	v_add_u32_e32 v0, s7, v0
	v_lshl_add_u32 v5, v0, 8, v17
	v_lshlrev_b64 v[1:2], 2, v[5:6]
	v_add_u32_e32 v5, 0x80, v5
	v_add_co_u32_e32 v7, vcc, s20, v1
	v_lshlrev_b64 v[5:6], 2, v[5:6]
	v_div_fixup_f32 v1, v3, v31, 1.0
	v_cndmask_b32_e64 v16, v1, 1.0, s[2:3]
	v_addc_co_u32_e32 v8, vcc, v8, v2, vcc
	v_mul_f32_e32 v4, v16, v4
	v_mul_f32_e32 v3, v16, v9
	;; [unrolled: 1-line block ×4, first 2 shown]
	global_store_dwordx4 v[7:8], v[1:4], off
	v_mov_b32_e32 v7, s21
	v_add_co_u32_e32 v5, vcc, s20, v5
	v_mul_f32_e32 v4, v16, v12
	v_mul_f32_e32 v3, v16, v13
	;; [unrolled: 1-line block ×4, first 2 shown]
	v_addc_co_u32_e32 v6, vcc, v7, v6, vcc
	global_store_dwordx4 v[5:6], v[1:4], off
	s_and_saveexec_b64 s[2:3], s[0:1]
	s_cbranch_execz .LBB9_15
; %bb.14:
	v_ashrrev_i32_e32 v1, 31, v0
	v_lshlrev_b64 v[0:1], 3, v[0:1]
	v_mov_b32_e32 v2, s23
	v_add_co_u32_e32 v0, vcc, s22, v0
	v_addc_co_u32_e32 v1, vcc, v2, v1, vcc
	global_store_dwordx2 v[0:1], v[30:31], off
.LBB9_15:
	s_endpgm
	.section	.rodata,"a",@progbits
	.p2align	6, 0x0
	.amdhsa_kernel _ZL15flash_attn_tileILi256ELi256ELi1ELi8ELb0EEvPKcS1_S1_S1_S1_PKiPfP15HIP_vector_typeIfLj2EEffffjfiS5_IjLj3EEiiiiiiiiiiiliiliiiiil
		.amdhsa_group_segment_fixed_size 22528
		.amdhsa_private_segment_fixed_size 0
		.amdhsa_kernarg_size 464
		.amdhsa_user_sgpr_count 6
		.amdhsa_user_sgpr_private_segment_buffer 1
		.amdhsa_user_sgpr_dispatch_ptr 0
		.amdhsa_user_sgpr_queue_ptr 0
		.amdhsa_user_sgpr_kernarg_segment_ptr 1
		.amdhsa_user_sgpr_dispatch_id 0
		.amdhsa_user_sgpr_flat_scratch_init 0
		.amdhsa_user_sgpr_private_segment_size 0
		.amdhsa_uses_dynamic_stack 0
		.amdhsa_system_sgpr_private_segment_wavefront_offset 0
		.amdhsa_system_sgpr_workgroup_id_x 1
		.amdhsa_system_sgpr_workgroup_id_y 1
		.amdhsa_system_sgpr_workgroup_id_z 1
		.amdhsa_system_sgpr_workgroup_info 0
		.amdhsa_system_vgpr_workitem_id 1
		.amdhsa_next_free_vgpr 128
		.amdhsa_next_free_sgpr 98
		.amdhsa_reserve_vcc 1
		.amdhsa_reserve_flat_scratch 0
		.amdhsa_float_round_mode_32 0
		.amdhsa_float_round_mode_16_64 0
		.amdhsa_float_denorm_mode_32 3
		.amdhsa_float_denorm_mode_16_64 3
		.amdhsa_dx10_clamp 1
		.amdhsa_ieee_mode 1
		.amdhsa_fp16_overflow 0
		.amdhsa_exception_fp_ieee_invalid_op 0
		.amdhsa_exception_fp_denorm_src 0
		.amdhsa_exception_fp_ieee_div_zero 0
		.amdhsa_exception_fp_ieee_overflow 0
		.amdhsa_exception_fp_ieee_underflow 0
		.amdhsa_exception_fp_ieee_inexact 0
		.amdhsa_exception_int_div_zero 0
	.end_amdhsa_kernel
	.section	.text._ZL15flash_attn_tileILi256ELi256ELi1ELi8ELb0EEvPKcS1_S1_S1_S1_PKiPfP15HIP_vector_typeIfLj2EEffffjfiS5_IjLj3EEiiiiiiiiiiiliiliiiiil,"axG",@progbits,_ZL15flash_attn_tileILi256ELi256ELi1ELi8ELb0EEvPKcS1_S1_S1_S1_PKiPfP15HIP_vector_typeIfLj2EEffffjfiS5_IjLj3EEiiiiiiiiiiiliiliiiiil,comdat
.Lfunc_end9:
	.size	_ZL15flash_attn_tileILi256ELi256ELi1ELi8ELb0EEvPKcS1_S1_S1_S1_PKiPfP15HIP_vector_typeIfLj2EEffffjfiS5_IjLj3EEiiiiiiiiiiiliiliiiiil, .Lfunc_end9-_ZL15flash_attn_tileILi256ELi256ELi1ELi8ELb0EEvPKcS1_S1_S1_S1_PKiPfP15HIP_vector_typeIfLj2EEffffjfiS5_IjLj3EEiiiiiiiiiiiliiliiiiil
                                        ; -- End function
	.set _ZL15flash_attn_tileILi256ELi256ELi1ELi8ELb0EEvPKcS1_S1_S1_S1_PKiPfP15HIP_vector_typeIfLj2EEffffjfiS5_IjLj3EEiiiiiiiiiiiliiliiiiil.num_vgpr, 128
	.set _ZL15flash_attn_tileILi256ELi256ELi1ELi8ELb0EEvPKcS1_S1_S1_S1_PKiPfP15HIP_vector_typeIfLj2EEffffjfiS5_IjLj3EEiiiiiiiiiiiliiliiiiil.num_agpr, 0
	.set _ZL15flash_attn_tileILi256ELi256ELi1ELi8ELb0EEvPKcS1_S1_S1_S1_PKiPfP15HIP_vector_typeIfLj2EEffffjfiS5_IjLj3EEiiiiiiiiiiiliiliiiiil.numbered_sgpr, 39
	.set _ZL15flash_attn_tileILi256ELi256ELi1ELi8ELb0EEvPKcS1_S1_S1_S1_PKiPfP15HIP_vector_typeIfLj2EEffffjfiS5_IjLj3EEiiiiiiiiiiiliiliiiiil.num_named_barrier, 0
	.set _ZL15flash_attn_tileILi256ELi256ELi1ELi8ELb0EEvPKcS1_S1_S1_S1_PKiPfP15HIP_vector_typeIfLj2EEffffjfiS5_IjLj3EEiiiiiiiiiiiliiliiiiil.private_seg_size, 0
	.set _ZL15flash_attn_tileILi256ELi256ELi1ELi8ELb0EEvPKcS1_S1_S1_S1_PKiPfP15HIP_vector_typeIfLj2EEffffjfiS5_IjLj3EEiiiiiiiiiiiliiliiiiil.uses_vcc, 1
	.set _ZL15flash_attn_tileILi256ELi256ELi1ELi8ELb0EEvPKcS1_S1_S1_S1_PKiPfP15HIP_vector_typeIfLj2EEffffjfiS5_IjLj3EEiiiiiiiiiiiliiliiiiil.uses_flat_scratch, 0
	.set _ZL15flash_attn_tileILi256ELi256ELi1ELi8ELb0EEvPKcS1_S1_S1_S1_PKiPfP15HIP_vector_typeIfLj2EEffffjfiS5_IjLj3EEiiiiiiiiiiiliiliiiiil.has_dyn_sized_stack, 0
	.set _ZL15flash_attn_tileILi256ELi256ELi1ELi8ELb0EEvPKcS1_S1_S1_S1_PKiPfP15HIP_vector_typeIfLj2EEffffjfiS5_IjLj3EEiiiiiiiiiiiliiliiiiil.has_recursion, 0
	.set _ZL15flash_attn_tileILi256ELi256ELi1ELi8ELb0EEvPKcS1_S1_S1_S1_PKiPfP15HIP_vector_typeIfLj2EEffffjfiS5_IjLj3EEiiiiiiiiiiiliiliiiiil.has_indirect_call, 0
	.section	.AMDGPU.csdata,"",@progbits
; Kernel info:
; codeLenInByte = 10364
; TotalNumSgprs: 43
; NumVgprs: 128
; ScratchSize: 0
; MemoryBound: 0
; FloatMode: 240
; IeeeMode: 1
; LDSByteSize: 22528 bytes/workgroup (compile time only)
; SGPRBlocks: 12
; VGPRBlocks: 31
; NumSGPRsForWavesPerEU: 102
; NumVGPRsForWavesPerEU: 128
; Occupancy: 2
; WaveLimiterHint : 1
; COMPUTE_PGM_RSRC2:SCRATCH_EN: 0
; COMPUTE_PGM_RSRC2:USER_SGPR: 6
; COMPUTE_PGM_RSRC2:TRAP_HANDLER: 0
; COMPUTE_PGM_RSRC2:TGID_X_EN: 1
; COMPUTE_PGM_RSRC2:TGID_Y_EN: 1
; COMPUTE_PGM_RSRC2:TGID_Z_EN: 1
; COMPUTE_PGM_RSRC2:TIDIG_COMP_CNT: 1
	.section	.text._ZL25flash_attn_mask_to_KV_maxILi1EEvPK7__half2Piiii,"axG",@progbits,_ZL25flash_attn_mask_to_KV_maxILi1EEvPK7__half2Piiii,comdat
	.globl	_ZL25flash_attn_mask_to_KV_maxILi1EEvPK7__half2Piiii ; -- Begin function _ZL25flash_attn_mask_to_KV_maxILi1EEvPK7__half2Piiii
	.p2align	8
	.type	_ZL25flash_attn_mask_to_KV_maxILi1EEvPK7__half2Piiii,@function
_ZL25flash_attn_mask_to_KV_maxILi1EEvPK7__half2Piiii: ; @_ZL25flash_attn_mask_to_KV_maxILi1EEvPK7__half2Piiii
; %bb.0:
	s_load_dwordx4 s[8:11], s[4:5], 0x0
	v_cmp_gt_u32_e32 vcc, 32, v0
	s_and_saveexec_b64 s[0:1], vcc
; %bb.1:
	v_lshlrev_b32_e32 v1, 2, v0
	v_mov_b32_e32 v2, 1
	ds_write_b32 v1, v2
; %bb.2:
	s_or_b64 exec, exec, s[0:1]
	s_load_dwordx4 s[0:3], s[4:5], 0x10
	s_load_dword s12, s[4:5], 0x20
	v_and_b32_e32 v1, 31, v0
	v_lshlrev_b32_e32 v4, 2, v1
	v_lshrrev_b32_e32 v3, 3, v0
	s_waitcnt lgkmcnt(0)
	s_mul_i32 s2, s2, s7
	s_mul_i32 s1, s1, s6
	s_add_i32 s2, s2, s1
	s_ashr_i32 s3, s2, 31
	s_lshl_b64 s[2:3], s[2:3], 2
	s_add_u32 s13, s8, s2
	s_addc_u32 s14, s9, s3
	s_lshl_b32 s15, s0, 8
	v_cmp_eq_u32_e64 s[0:1], 0, v1
	v_mbcnt_lo_u32_b32 v1, -1, 0
	v_mbcnt_hi_u32_b32 v5, -1, v1
	v_and_b32_e32 v1, 0x60, v5
	s_mov_b64 s[4:5], 0
	v_mov_b32_e32 v2, 0
	s_movk_i32 s16, 0x204
	v_add_u32_e32 v6, 32, v1
	v_xor_b32_e32 v7, 16, v5
	v_xor_b32_e32 v8, 8, v5
	;; [unrolled: 1-line block ×5, first 2 shown]
	s_barrier
                                        ; implicit-def: $sgpr2_sgpr3
	s_branch .LBB10_5
.LBB10_3:                               ;   in Loop: Header=BB10_5 Depth=1
	s_or_b64 exec, exec, s[8:9]
	s_waitcnt lgkmcnt(0)
	s_barrier
	ds_read_b32 v16, v4
	s_waitcnt lgkmcnt(0)
	s_barrier
	ds_bpermute_b32 v1, v1, v16
	v_cmp_ne_u32_e32 vcc, 0, v16
	s_waitcnt lgkmcnt(0)
	v_cmp_ne_u32_e64 s[2:3], 0, v1
	s_and_b64 s[2:3], vcc, s[2:3]
	v_cndmask_b32_e64 v1, 0, 1, s[2:3]
	ds_bpermute_b32 v1, v12, v1
	s_waitcnt lgkmcnt(0)
	v_cmp_ne_u32_e32 vcc, 0, v1
	s_and_b64 s[2:3], vcc, s[2:3]
	v_cndmask_b32_e64 v1, 0, 1, s[2:3]
	ds_bpermute_b32 v1, v13, v1
	s_waitcnt lgkmcnt(0)
	v_cmp_ne_u32_e32 vcc, 0, v1
	;; [unrolled: 5-line block ×3, first 2 shown]
	s_and_b64 s[2:3], vcc, s[2:3]
	v_cndmask_b32_e64 v1, 0, 1, s[2:3]
	ds_bpermute_b32 v1, v15, v1
	s_xor_b64 s[2:3], s[2:3], -1
	s_waitcnt lgkmcnt(0)
	v_cmp_eq_u32_e32 vcc, 0, v1
	s_or_b64 s[2:3], vcc, s[2:3]
.LBB10_4:                               ;   in Loop: Header=BB10_5 Depth=1
	s_and_b64 s[8:9], exec, s[2:3]
	s_or_b64 s[4:5], s[8:9], s[4:5]
	v_mov_b32_e32 v1, s15
	s_mov_b32 s15, s17
	s_andn2_b64 exec, exec, s[4:5]
	s_cbranch_execz .LBB10_10
.LBB10_5:                               ; =>This Inner Loop Header: Depth=1
	s_add_i32 s17, s15, 0xffffff00
	s_or_b64 s[2:3], s[2:3], exec
	s_cmp_lt_i32 s17, 0
	s_cbranch_scc1 .LBB10_4
; %bb.6:                                ;   in Loop: Header=BB10_5 Depth=1
	s_lshr_b32 s2, s17, 1
	v_add_u32_e32 v1, s2, v0
	v_lshlrev_b64 v[12:13], 2, v[1:2]
	v_mov_b32_e32 v1, s14
	v_add_co_u32_e32 v12, vcc, s13, v12
	v_addc_co_u32_e32 v13, vcc, v1, v13, vcc
	global_load_dword v1, v[12:13], off
	v_mov_b32_e32 v12, 0
	s_waitcnt vmcnt(0)
	v_cmp_class_f16_e64 s[8:9], v1, s16
	s_and_saveexec_b64 s[2:3], s[8:9]
; %bb.7:                                ;   in Loop: Header=BB10_5 Depth=1
	v_cmp_class_f16_sdwa s[8:9], v1, s16 src0_sel:WORD_1 src1_sel:DWORD
	v_cndmask_b32_e64 v12, 0, 1, s[8:9]
; %bb.8:                                ;   in Loop: Header=BB10_5 Depth=1
	s_or_b64 exec, exec, s[2:3]
	v_cmp_lt_i32_e32 vcc, v7, v6
	v_cndmask_b32_e32 v1, v5, v7, vcc
	v_lshlrev_b32_e32 v1, 2, v1
	ds_bpermute_b32 v13, v1, v12
	v_cmp_ne_u32_e32 vcc, 0, v12
	s_waitcnt lgkmcnt(0)
	v_cmp_ne_u32_e64 s[2:3], 0, v13
	s_and_b64 s[2:3], vcc, s[2:3]
	v_cmp_lt_i32_e32 vcc, v8, v6
	v_cndmask_b32_e32 v12, v5, v8, vcc
	v_cndmask_b32_e64 v13, 0, 1, s[2:3]
	v_lshlrev_b32_e32 v12, 2, v12
	ds_bpermute_b32 v13, v12, v13
	s_waitcnt lgkmcnt(0)
	v_cmp_ne_u32_e32 vcc, 0, v13
	s_and_b64 s[2:3], vcc, s[2:3]
	v_cmp_lt_i32_e32 vcc, v9, v6
	v_cndmask_b32_e32 v13, v5, v9, vcc
	v_cndmask_b32_e64 v14, 0, 1, s[2:3]
	v_lshlrev_b32_e32 v13, 2, v13
	ds_bpermute_b32 v14, v13, v14
	s_waitcnt lgkmcnt(0)
	v_cmp_ne_u32_e32 vcc, 0, v14
	;; [unrolled: 8-line block ×3, first 2 shown]
	s_and_b64 s[2:3], vcc, s[2:3]
	v_cmp_lt_i32_e32 vcc, v11, v6
	v_cndmask_b32_e32 v15, v5, v11, vcc
	v_cndmask_b32_e64 v16, 0, 1, s[2:3]
	v_lshlrev_b32_e32 v15, 2, v15
	ds_bpermute_b32 v16, v15, v16
	s_and_saveexec_b64 s[8:9], s[0:1]
	s_cbranch_execz .LBB10_3
; %bb.9:                                ;   in Loop: Header=BB10_5 Depth=1
	s_waitcnt lgkmcnt(0)
	v_cmp_ne_u32_e32 vcc, 0, v16
	s_and_b64 s[2:3], vcc, s[2:3]
	v_cndmask_b32_e64 v16, 0, 1, s[2:3]
	ds_write_b32 v3, v16
	s_branch .LBB10_3
.LBB10_10:
	s_or_b64 exec, exec, s[4:5]
	v_cmp_eq_u32_e32 vcc, 0, v0
	s_and_saveexec_b64 s[0:1], vcc
	s_cbranch_execz .LBB10_12
; %bb.11:
	s_mul_i32 s0, s12, s7
	s_add_i32 s0, s0, s6
	s_ashr_i32 s1, s0, 31
	s_lshl_b64 s[0:1], s[0:1], 2
	s_add_u32 s0, s10, s0
	s_addc_u32 s1, s11, s1
	v_mov_b32_e32 v0, 0
	global_store_dword v0, v1, s[0:1]
.LBB10_12:
	s_endpgm
	.section	.rodata,"a",@progbits
	.p2align	6, 0x0
	.amdhsa_kernel _ZL25flash_attn_mask_to_KV_maxILi1EEvPK7__half2Piiii
		.amdhsa_group_segment_fixed_size 128
		.amdhsa_private_segment_fixed_size 0
		.amdhsa_kernarg_size 288
		.amdhsa_user_sgpr_count 6
		.amdhsa_user_sgpr_private_segment_buffer 1
		.amdhsa_user_sgpr_dispatch_ptr 0
		.amdhsa_user_sgpr_queue_ptr 0
		.amdhsa_user_sgpr_kernarg_segment_ptr 1
		.amdhsa_user_sgpr_dispatch_id 0
		.amdhsa_user_sgpr_flat_scratch_init 0
		.amdhsa_user_sgpr_private_segment_size 0
		.amdhsa_uses_dynamic_stack 0
		.amdhsa_system_sgpr_private_segment_wavefront_offset 0
		.amdhsa_system_sgpr_workgroup_id_x 1
		.amdhsa_system_sgpr_workgroup_id_y 1
		.amdhsa_system_sgpr_workgroup_id_z 0
		.amdhsa_system_sgpr_workgroup_info 0
		.amdhsa_system_vgpr_workitem_id 0
		.amdhsa_next_free_vgpr 17
		.amdhsa_next_free_sgpr 18
		.amdhsa_reserve_vcc 1
		.amdhsa_reserve_flat_scratch 0
		.amdhsa_float_round_mode_32 0
		.amdhsa_float_round_mode_16_64 0
		.amdhsa_float_denorm_mode_32 3
		.amdhsa_float_denorm_mode_16_64 3
		.amdhsa_dx10_clamp 1
		.amdhsa_ieee_mode 1
		.amdhsa_fp16_overflow 0
		.amdhsa_exception_fp_ieee_invalid_op 0
		.amdhsa_exception_fp_denorm_src 0
		.amdhsa_exception_fp_ieee_div_zero 0
		.amdhsa_exception_fp_ieee_overflow 0
		.amdhsa_exception_fp_ieee_underflow 0
		.amdhsa_exception_fp_ieee_inexact 0
		.amdhsa_exception_int_div_zero 0
	.end_amdhsa_kernel
	.section	.text._ZL25flash_attn_mask_to_KV_maxILi1EEvPK7__half2Piiii,"axG",@progbits,_ZL25flash_attn_mask_to_KV_maxILi1EEvPK7__half2Piiii,comdat
.Lfunc_end10:
	.size	_ZL25flash_attn_mask_to_KV_maxILi1EEvPK7__half2Piiii, .Lfunc_end10-_ZL25flash_attn_mask_to_KV_maxILi1EEvPK7__half2Piiii
                                        ; -- End function
	.set _ZL25flash_attn_mask_to_KV_maxILi1EEvPK7__half2Piiii.num_vgpr, 17
	.set _ZL25flash_attn_mask_to_KV_maxILi1EEvPK7__half2Piiii.num_agpr, 0
	.set _ZL25flash_attn_mask_to_KV_maxILi1EEvPK7__half2Piiii.numbered_sgpr, 18
	.set _ZL25flash_attn_mask_to_KV_maxILi1EEvPK7__half2Piiii.num_named_barrier, 0
	.set _ZL25flash_attn_mask_to_KV_maxILi1EEvPK7__half2Piiii.private_seg_size, 0
	.set _ZL25flash_attn_mask_to_KV_maxILi1EEvPK7__half2Piiii.uses_vcc, 1
	.set _ZL25flash_attn_mask_to_KV_maxILi1EEvPK7__half2Piiii.uses_flat_scratch, 0
	.set _ZL25flash_attn_mask_to_KV_maxILi1EEvPK7__half2Piiii.has_dyn_sized_stack, 0
	.set _ZL25flash_attn_mask_to_KV_maxILi1EEvPK7__half2Piiii.has_recursion, 0
	.set _ZL25flash_attn_mask_to_KV_maxILi1EEvPK7__half2Piiii.has_indirect_call, 0
	.section	.AMDGPU.csdata,"",@progbits
; Kernel info:
; codeLenInByte = 752
; TotalNumSgprs: 22
; NumVgprs: 17
; ScratchSize: 0
; MemoryBound: 0
; FloatMode: 240
; IeeeMode: 1
; LDSByteSize: 128 bytes/workgroup (compile time only)
; SGPRBlocks: 2
; VGPRBlocks: 4
; NumSGPRsForWavesPerEU: 22
; NumVGPRsForWavesPerEU: 17
; Occupancy: 10
; WaveLimiterHint : 0
; COMPUTE_PGM_RSRC2:SCRATCH_EN: 0
; COMPUTE_PGM_RSRC2:USER_SGPR: 6
; COMPUTE_PGM_RSRC2:TRAP_HANDLER: 0
; COMPUTE_PGM_RSRC2:TGID_X_EN: 1
; COMPUTE_PGM_RSRC2:TGID_Y_EN: 1
; COMPUTE_PGM_RSRC2:TGID_Z_EN: 0
; COMPUTE_PGM_RSRC2:TIDIG_COMP_CNT: 0
	.section	.text._ZL33flash_attn_stream_k_fixup_uniformILi256ELi1ELi8EEvPfPK15HIP_vector_typeIfLj2EEiiiiiiS1_IjLj3EES5_S5_,"axG",@progbits,_ZL33flash_attn_stream_k_fixup_uniformILi256ELi1ELi8EEvPfPK15HIP_vector_typeIfLj2EEiiiiiiS1_IjLj3EES5_S5_,comdat
	.globl	_ZL33flash_attn_stream_k_fixup_uniformILi256ELi1ELi8EEvPfPK15HIP_vector_typeIfLj2EEiiiiiiS1_IjLj3EES5_S5_ ; -- Begin function _ZL33flash_attn_stream_k_fixup_uniformILi256ELi1ELi8EEvPfPK15HIP_vector_typeIfLj2EEiiiiiiS1_IjLj3EES5_S5_
	.p2align	8
	.type	_ZL33flash_attn_stream_k_fixup_uniformILi256ELi1ELi8EEvPfPK15HIP_vector_typeIfLj2EEiiiiiiS1_IjLj3EES5_S5_,@function
_ZL33flash_attn_stream_k_fixup_uniformILi256ELi1ELi8EEvPfPK15HIP_vector_typeIfLj2EEiiiiiiS1_IjLj3EES5_S5_: ; @_ZL33flash_attn_stream_k_fixup_uniformILi256ELi1ELi8EEvPfPK15HIP_vector_typeIfLj2EEiiiiiiS1_IjLj3EES5_S5_
; %bb.0:
	s_load_dwordx8 s[12:19], s[4:5], 0x1c
	s_load_dwordx2 s[10:11], s[4:5], 0x10
	s_load_dwordx4 s[0:3], s[4:5], 0x3c
	s_waitcnt lgkmcnt(0)
	s_mul_hi_u32 s9, s15, s6
	s_add_i32 s9, s6, s9
	s_lshr_b32 s9, s9, s16
	s_mul_i32 s15, s9, s17
	s_sub_i32 s16, s6, s15
	s_mul_hi_u32 s15, s16, s18
	s_add_i32 s15, s16, s15
	s_lshr_b32 s15, s15, s19
	s_mul_i32 s0, s15, s0
	s_sub_i32 s0, s16, s0
	;; [unrolled: 5-line block ×3, first 2 shown]
	s_lshl_b32 s17, s1, 3
	s_add_i32 s16, s16, s7
	s_cmp_lt_i32 s16, s10
	s_cselect_b64 s[0:1], -1, 0
	s_add_i32 s17, s17, s8
	s_cmp_lt_i32 s17, s13
	s_cselect_b64 s[2:3], -1, 0
	s_and_b64 s[0:1], s[0:1], s[2:3]
	s_andn2_b64 vcc, exec, s[0:1]
	s_cbranch_vccnz .LBB11_6
; %bb.1:
	s_mul_i32 s9, s9, s10
	s_load_dwordx4 s[0:3], s[4:5], 0x0
	s_mul_i32 s15, s15, s13
	s_add_i32 s4, s16, s9
	s_mul_i32 s4, s4, s11
	s_add_i32 s5, s17, s15
	s_add_i32 s5, s5, s4
	v_lshl_or_b32 v1, s5, 8, v0
	v_ashrrev_i32_e32 v2, 31, v1
	v_lshlrev_b64 v[1:2], 2, v[1:2]
	s_waitcnt lgkmcnt(0)
	v_mov_b32_e32 v3, s1
	v_add_co_u32_e32 v1, vcc, s0, v1
	v_addc_co_u32_e32 v2, vcc, v3, v2, vcc
	global_load_dword v8, v[1:2], off
	s_mul_i32 s9, s14, s6
	s_add_i32 s4, s9, s14
	s_add_i32 s0, s7, s4
	s_lshl_b32 s0, s0, 3
	s_add_i32 s0, s0, s8
	s_add_i32 s0, s0, -8
	s_ashr_i32 s1, s0, 31
	s_lshl_b64 s[0:1], s[0:1], 3
	s_add_u32 s0, s2, s0
	s_addc_u32 s1, s3, s1
	s_load_dword s5, s[0:1], 0x4
	s_add_i32 s10, s4, -2
	s_cmp_lt_i32 s10, s9
	s_cbranch_scc1 .LBB11_4
; %bb.2:
	s_lshl_b32 s10, s12, 5
	s_ashr_i32 s11, s10, 31
	s_lshl_b64 s[10:11], s[10:11], 2
	s_add_u32 s10, s2, s10
	s_addc_u32 s13, s3, s11
	s_load_dword s0, s[0:1], 0x0
	s_add_i32 s6, s6, 1
	s_lshl_b32 s1, s8, 8
	s_add_i32 s12, s7, s12
	s_mul_i32 s6, s14, s6
	s_lshl_b32 s7, s7, 11
	s_add_i32 s12, s12, s4
	s_lshl_b32 s6, s6, 11
	s_add_i32 s1, s1, s7
	s_add_i32 s11, s4, -1
	s_lshl_b32 s4, s12, 3
	s_add_i32 s1, s1, s6
	s_add_i32 s4, s8, s4
	v_or_b32_e32 v0, s1, v0
	s_add_i32 s4, s4, -16
	v_add_u32_e32 v3, 0xfffff000, v0
	s_waitcnt lgkmcnt(0)
	v_mov_b32_e32 v7, s5
	v_mov_b32_e32 v6, s0
	;; [unrolled: 1-line block ×3, first 2 shown]
	s_mov_b32 s6, 0x3fb8aa3b
	s_mov_b32 s7, 0xc2ce8ed0
	;; [unrolled: 1-line block ×3, first 2 shown]
	v_mov_b32_e32 v5, 0x7f800000
	s_mov_b32 s12, 0xc1a00000
.LBB11_3:                               ; =>This Inner Loop Header: Depth=1
	v_ashrrev_i32_e32 v4, 31, v3
	v_lshlrev_b64 v[9:10], 2, v[3:4]
	s_ashr_i32 s5, s4, 31
	v_add_co_u32_e32 v9, vcc, s10, v9
	v_addc_co_u32_e32 v10, vcc, v0, v10, vcc
	global_load_dword v4, v[9:10], off
	s_lshl_b64 s[0:1], s[4:5], 3
	s_add_u32 s0, s2, s0
	s_addc_u32 s1, s3, s1
	s_load_dwordx2 s[14:15], s[0:1], 0x0
	s_waitcnt vmcnt(1)
	v_mov_b32_e32 v9, v8
	v_max_f32_e32 v8, v6, v6
	v_mov_b32_e32 v10, v7
	s_add_i32 s11, s11, -1
	s_waitcnt lgkmcnt(0)
	v_max_f32_e64 v7, s14, s14
	v_max_f32_e32 v7, v8, v7
	v_sub_f32_e32 v11, s14, v7
	v_sub_f32_e32 v8, v6, v7
	v_mul_f32_e32 v12, 0x3fb8aa3b, v11
	v_mov_b32_e32 v6, v7
	v_mul_f32_e32 v7, 0x3fb8aa3b, v8
	v_fma_f32 v15, v11, s6, -v12
	v_rndne_f32_e32 v16, v12
	v_fma_f32 v13, v8, s6, -v7
	v_rndne_f32_e32 v14, v7
	v_fmac_f32_e32 v15, 0x32a5705f, v11
	v_sub_f32_e32 v12, v12, v16
	v_fmac_f32_e32 v13, 0x32a5705f, v8
	v_sub_f32_e32 v7, v7, v14
	v_add_f32_e32 v12, v12, v15
	v_cvt_i32_f32_e32 v16, v16
	v_add_f32_e32 v7, v7, v13
	v_exp_f32_e32 v12, v12
	v_cvt_i32_f32_e32 v14, v14
	v_exp_f32_e32 v7, v7
	v_cmp_ngt_f32_e32 vcc, s7, v11
	v_ldexp_f32 v12, v12, v16
	v_cmp_ngt_f32_e64 s[0:1], s7, v8
	v_ldexp_f32 v7, v7, v14
	v_cndmask_b32_e32 v12, 0, v12, vcc
	v_cmp_nlt_f32_e32 vcc, s8, v11
	v_cndmask_b32_e64 v7, 0, v7, s[0:1]
	v_cmp_nlt_f32_e64 s[0:1], s8, v8
	v_cndmask_b32_e32 v12, v5, v12, vcc
	v_cmp_le_f32_e32 vcc, s12, v11
	v_cndmask_b32_e64 v7, v5, v7, s[0:1]
	v_cmp_le_f32_e64 s[0:1], s12, v8
	v_cndmask_b32_e32 v8, 0, v12, vcc
	s_add_i32 s4, s4, -8
	v_cndmask_b32_e64 v11, 0, v7, s[0:1]
	v_mul_f32_e32 v7, s15, v8
	v_add_u32_e32 v3, 0xfffff800, v3
	s_cmp_le_i32 s11, s9
	v_fmac_f32_e32 v7, v10, v11
	s_waitcnt vmcnt(0)
	v_mul_f32_e32 v8, v4, v8
	v_fmac_f32_e32 v8, v9, v11
	s_cbranch_scc0 .LBB11_3
	s_branch .LBB11_5
.LBB11_4:
	s_waitcnt lgkmcnt(0)
	v_mov_b32_e32 v7, s5
.LBB11_5:
	s_waitcnt vmcnt(0)
	v_div_scale_f32 v0, s[0:1], v7, v7, v8
	v_div_scale_f32 v3, vcc, v8, v7, v8
	v_rcp_f32_e32 v4, v0
	v_fma_f32 v5, -v0, v4, 1.0
	v_fmac_f32_e32 v4, v5, v4
	v_mul_f32_e32 v5, v3, v4
	v_fma_f32 v6, -v0, v5, v3
	v_fmac_f32_e32 v5, v6, v4
	v_fma_f32 v0, -v0, v5, v3
	v_div_fmas_f32 v0, v0, v4, v5
	v_div_fixup_f32 v0, v0, v7, v8
	global_store_dword v[1:2], v0, off
.LBB11_6:
	s_endpgm
	.section	.rodata,"a",@progbits
	.p2align	6, 0x0
	.amdhsa_kernel _ZL33flash_attn_stream_k_fixup_uniformILi256ELi1ELi8EEvPfPK15HIP_vector_typeIfLj2EEiiiiiiS1_IjLj3EES5_S5_
		.amdhsa_group_segment_fixed_size 0
		.amdhsa_private_segment_fixed_size 0
		.amdhsa_kernarg_size 76
		.amdhsa_user_sgpr_count 6
		.amdhsa_user_sgpr_private_segment_buffer 1
		.amdhsa_user_sgpr_dispatch_ptr 0
		.amdhsa_user_sgpr_queue_ptr 0
		.amdhsa_user_sgpr_kernarg_segment_ptr 1
		.amdhsa_user_sgpr_dispatch_id 0
		.amdhsa_user_sgpr_flat_scratch_init 0
		.amdhsa_user_sgpr_private_segment_size 0
		.amdhsa_uses_dynamic_stack 0
		.amdhsa_system_sgpr_private_segment_wavefront_offset 0
		.amdhsa_system_sgpr_workgroup_id_x 1
		.amdhsa_system_sgpr_workgroup_id_y 1
		.amdhsa_system_sgpr_workgroup_id_z 1
		.amdhsa_system_sgpr_workgroup_info 0
		.amdhsa_system_vgpr_workitem_id 0
		.amdhsa_next_free_vgpr 17
		.amdhsa_next_free_sgpr 20
		.amdhsa_reserve_vcc 1
		.amdhsa_reserve_flat_scratch 0
		.amdhsa_float_round_mode_32 0
		.amdhsa_float_round_mode_16_64 0
		.amdhsa_float_denorm_mode_32 3
		.amdhsa_float_denorm_mode_16_64 3
		.amdhsa_dx10_clamp 1
		.amdhsa_ieee_mode 1
		.amdhsa_fp16_overflow 0
		.amdhsa_exception_fp_ieee_invalid_op 0
		.amdhsa_exception_fp_denorm_src 0
		.amdhsa_exception_fp_ieee_div_zero 0
		.amdhsa_exception_fp_ieee_overflow 0
		.amdhsa_exception_fp_ieee_underflow 0
		.amdhsa_exception_fp_ieee_inexact 0
		.amdhsa_exception_int_div_zero 0
	.end_amdhsa_kernel
	.section	.text._ZL33flash_attn_stream_k_fixup_uniformILi256ELi1ELi8EEvPfPK15HIP_vector_typeIfLj2EEiiiiiiS1_IjLj3EES5_S5_,"axG",@progbits,_ZL33flash_attn_stream_k_fixup_uniformILi256ELi1ELi8EEvPfPK15HIP_vector_typeIfLj2EEiiiiiiS1_IjLj3EES5_S5_,comdat
.Lfunc_end11:
	.size	_ZL33flash_attn_stream_k_fixup_uniformILi256ELi1ELi8EEvPfPK15HIP_vector_typeIfLj2EEiiiiiiS1_IjLj3EES5_S5_, .Lfunc_end11-_ZL33flash_attn_stream_k_fixup_uniformILi256ELi1ELi8EEvPfPK15HIP_vector_typeIfLj2EEiiiiiiS1_IjLj3EES5_S5_
                                        ; -- End function
	.set _ZL33flash_attn_stream_k_fixup_uniformILi256ELi1ELi8EEvPfPK15HIP_vector_typeIfLj2EEiiiiiiS1_IjLj3EES5_S5_.num_vgpr, 17
	.set _ZL33flash_attn_stream_k_fixup_uniformILi256ELi1ELi8EEvPfPK15HIP_vector_typeIfLj2EEiiiiiiS1_IjLj3EES5_S5_.num_agpr, 0
	.set _ZL33flash_attn_stream_k_fixup_uniformILi256ELi1ELi8EEvPfPK15HIP_vector_typeIfLj2EEiiiiiiS1_IjLj3EES5_S5_.numbered_sgpr, 20
	.set _ZL33flash_attn_stream_k_fixup_uniformILi256ELi1ELi8EEvPfPK15HIP_vector_typeIfLj2EEiiiiiiS1_IjLj3EES5_S5_.num_named_barrier, 0
	.set _ZL33flash_attn_stream_k_fixup_uniformILi256ELi1ELi8EEvPfPK15HIP_vector_typeIfLj2EEiiiiiiS1_IjLj3EES5_S5_.private_seg_size, 0
	.set _ZL33flash_attn_stream_k_fixup_uniformILi256ELi1ELi8EEvPfPK15HIP_vector_typeIfLj2EEiiiiiiS1_IjLj3EES5_S5_.uses_vcc, 1
	.set _ZL33flash_attn_stream_k_fixup_uniformILi256ELi1ELi8EEvPfPK15HIP_vector_typeIfLj2EEiiiiiiS1_IjLj3EES5_S5_.uses_flat_scratch, 0
	.set _ZL33flash_attn_stream_k_fixup_uniformILi256ELi1ELi8EEvPfPK15HIP_vector_typeIfLj2EEiiiiiiS1_IjLj3EES5_S5_.has_dyn_sized_stack, 0
	.set _ZL33flash_attn_stream_k_fixup_uniformILi256ELi1ELi8EEvPfPK15HIP_vector_typeIfLj2EEiiiiiiS1_IjLj3EES5_S5_.has_recursion, 0
	.set _ZL33flash_attn_stream_k_fixup_uniformILi256ELi1ELi8EEvPfPK15HIP_vector_typeIfLj2EEiiiiiiS1_IjLj3EES5_S5_.has_indirect_call, 0
	.section	.AMDGPU.csdata,"",@progbits
; Kernel info:
; codeLenInByte = 828
; TotalNumSgprs: 24
; NumVgprs: 17
; ScratchSize: 0
; MemoryBound: 0
; FloatMode: 240
; IeeeMode: 1
; LDSByteSize: 0 bytes/workgroup (compile time only)
; SGPRBlocks: 2
; VGPRBlocks: 4
; NumSGPRsForWavesPerEU: 24
; NumVGPRsForWavesPerEU: 17
; Occupancy: 10
; WaveLimiterHint : 0
; COMPUTE_PGM_RSRC2:SCRATCH_EN: 0
; COMPUTE_PGM_RSRC2:USER_SGPR: 6
; COMPUTE_PGM_RSRC2:TRAP_HANDLER: 0
; COMPUTE_PGM_RSRC2:TGID_X_EN: 1
; COMPUTE_PGM_RSRC2:TGID_Y_EN: 1
; COMPUTE_PGM_RSRC2:TGID_Z_EN: 1
; COMPUTE_PGM_RSRC2:TIDIG_COMP_CNT: 0
	.section	.text._ZL33flash_attn_stream_k_fixup_generalILi256ELi1ELi8EEvPfPK15HIP_vector_typeIfLj2EEiiiiS1_IjLj3EES5_S5_S5_,"axG",@progbits,_ZL33flash_attn_stream_k_fixup_generalILi256ELi1ELi8EEvPfPK15HIP_vector_typeIfLj2EEiiiiS1_IjLj3EES5_S5_S5_,comdat
	.globl	_ZL33flash_attn_stream_k_fixup_generalILi256ELi1ELi8EEvPfPK15HIP_vector_typeIfLj2EEiiiiS1_IjLj3EES5_S5_S5_ ; -- Begin function _ZL33flash_attn_stream_k_fixup_generalILi256ELi1ELi8EEvPfPK15HIP_vector_typeIfLj2EEiiiiS1_IjLj3EES5_S5_S5_
	.p2align	8
	.type	_ZL33flash_attn_stream_k_fixup_generalILi256ELi1ELi8EEvPfPK15HIP_vector_typeIfLj2EEiiiiS1_IjLj3EES5_S5_S5_,@function
_ZL33flash_attn_stream_k_fixup_generalILi256ELi1ELi8EEvPfPK15HIP_vector_typeIfLj2EEiiiiS1_IjLj3EES5_S5_S5_: ; @_ZL33flash_attn_stream_k_fixup_generalILi256ELi1ELi8EEvPfPK15HIP_vector_typeIfLj2EEiiiiS1_IjLj3EES5_S5_S5_
; %bb.0:
	s_load_dwordx4 s[0:3], s[4:5], 0x10
	s_load_dword s9, s[4:5], 0x50
	s_mov_b32 s12, 0
	s_waitcnt lgkmcnt(0)
	s_mul_hi_i32 s13, s3, s6
	s_cmp_lg_u64 s[12:13], 0
	s_mul_i32 s18, s3, s6
	s_cbranch_scc0 .LBB12_20
; %bb.1:
	s_add_u32 s10, s9, 0
	s_addc_u32 s11, 0, 0
	s_xor_b64 s[10:11], s[10:11], 0
	v_cvt_f32_u32_e32 v1, s10
	v_cvt_f32_u32_e32 v2, s11
	s_sub_u32 s12, 0, s10
	s_subb_u32 s19, 0, s11
	v_madmk_f32 v1, v2, 0x4f800000, v1
	v_rcp_f32_e32 v1, v1
	v_mul_f32_e32 v1, 0x5f7ffffc, v1
	v_mul_f32_e32 v2, 0x2f800000, v1
	v_trunc_f32_e32 v2, v2
	v_madmk_f32 v1, v2, 0xcf800000, v1
	v_cvt_u32_f32_e32 v2, v2
	v_cvt_u32_f32_e32 v1, v1
	v_readfirstlane_b32 s20, v2
	v_readfirstlane_b32 s14, v1
	s_mul_i32 s15, s12, s20
	s_mul_hi_u32 s22, s12, s14
	s_mul_i32 s21, s19, s14
	s_add_i32 s15, s22, s15
	s_add_i32 s15, s15, s21
	s_mul_i32 s23, s12, s14
	s_mul_i32 s22, s14, s15
	s_mul_hi_u32 s24, s14, s23
	s_mul_hi_u32 s21, s14, s15
	s_add_u32 s22, s24, s22
	s_addc_u32 s21, 0, s21
	s_mul_hi_u32 s25, s20, s23
	s_mul_i32 s23, s20, s23
	s_add_u32 s22, s22, s23
	s_mul_hi_u32 s24, s20, s15
	s_addc_u32 s21, s21, s25
	s_addc_u32 s22, s24, 0
	s_mul_i32 s15, s20, s15
	s_add_u32 s15, s21, s15
	s_addc_u32 s21, 0, s22
	s_add_u32 s22, s14, s15
	s_cselect_b64 s[14:15], -1, 0
	s_cmp_lg_u64 s[14:15], 0
	s_addc_u32 s20, s20, s21
	s_mul_i32 s14, s12, s20
	s_mul_hi_u32 s15, s12, s22
	s_add_i32 s14, s15, s14
	s_mul_i32 s19, s19, s22
	s_add_i32 s14, s14, s19
	s_mul_i32 s12, s12, s22
	s_mul_hi_u32 s19, s20, s12
	s_mul_i32 s21, s20, s12
	s_mul_i32 s24, s22, s14
	s_mul_hi_u32 s12, s22, s12
	s_mul_hi_u32 s23, s22, s14
	s_add_u32 s12, s12, s24
	s_addc_u32 s23, 0, s23
	s_add_u32 s12, s12, s21
	s_mul_hi_u32 s15, s20, s14
	s_addc_u32 s12, s23, s19
	s_addc_u32 s15, s15, 0
	s_mul_i32 s14, s20, s14
	s_add_u32 s12, s12, s14
	s_addc_u32 s19, 0, s15
	s_add_u32 s21, s22, s12
	s_cselect_b64 s[14:15], -1, 0
	s_cmp_lg_u64 s[14:15], 0
	s_addc_u32 s19, s20, s19
	s_ashr_i32 s14, s13, 31
	s_add_u32 s12, s18, s14
	s_mov_b32 s15, s14
	s_addc_u32 s13, s13, s14
	s_xor_b64 s[12:13], s[12:13], s[14:15]
	s_mul_i32 s22, s12, s19
	s_mul_hi_u32 s23, s12, s21
	s_mul_hi_u32 s20, s12, s19
	s_add_u32 s22, s23, s22
	s_addc_u32 s20, 0, s20
	s_mul_hi_u32 s24, s13, s21
	s_mul_i32 s21, s13, s21
	s_add_u32 s21, s22, s21
	s_mul_hi_u32 s23, s13, s19
	s_addc_u32 s20, s20, s24
	s_addc_u32 s21, s23, 0
	s_mul_i32 s19, s13, s19
	s_add_u32 s19, s20, s19
	s_addc_u32 s24, 0, s21
	s_mul_i32 s20, s10, s24
	s_mul_hi_u32 s21, s10, s19
	s_add_i32 s20, s21, s20
	s_mul_i32 s21, s11, s19
	s_add_i32 s25, s20, s21
	s_sub_i32 s22, s13, s25
	s_mul_i32 s20, s10, s19
	s_sub_u32 s12, s12, s20
	s_cselect_b64 s[20:21], -1, 0
	s_cmp_lg_u64 s[20:21], 0
	s_subb_u32 s26, s22, s11
	s_sub_u32 s27, s12, s10
	s_cselect_b64 s[22:23], -1, 0
	s_cmp_lg_u64 s[22:23], 0
	s_subb_u32 s22, s26, 0
	s_cmp_ge_u32 s22, s11
	s_cselect_b32 s23, -1, 0
	s_cmp_ge_u32 s27, s10
	s_cselect_b32 s26, -1, 0
	s_cmp_eq_u32 s22, s11
	s_cselect_b32 s22, s26, s23
	s_add_u32 s23, s19, 1
	s_addc_u32 s26, s24, 0
	s_add_u32 s27, s19, 2
	s_addc_u32 s28, s24, 0
	s_cmp_lg_u32 s22, 0
	s_cselect_b32 s22, s27, s23
	s_cselect_b32 s23, s28, s26
	s_cmp_lg_u64 s[20:21], 0
	s_subb_u32 s13, s13, s25
	s_cmp_ge_u32 s13, s11
	s_cselect_b32 s20, -1, 0
	s_cmp_ge_u32 s12, s10
	s_cselect_b32 s10, -1, 0
	s_cmp_eq_u32 s13, s11
	s_cselect_b32 s10, s10, s20
	s_cmp_lg_u32 s10, 0
	s_cselect_b32 s11, s23, s24
	s_cselect_b32 s10, s22, s19
	s_xor_b64 s[12:13], s[14:15], 0
	s_xor_b64 s[10:11], s[10:11], s[12:13]
	s_sub_u32 s10, s10, s12
	s_load_dwordx4 s[12:15], s[4:5], 0x44
	s_cbranch_execnz .LBB12_3
.LBB12_2:
	v_cvt_f32_u32_e32 v1, s9
	s_sub_i32 s10, 0, s9
	v_rcp_iflag_f32_e32 v1, v1
	v_mul_f32_e32 v1, 0x4f7ffffe, v1
	v_cvt_u32_f32_e32 v1, v1
	v_readfirstlane_b32 s11, v1
	s_mul_i32 s10, s10, s11
	s_mul_hi_u32 s10, s11, s10
	s_add_i32 s11, s11, s10
	s_mul_hi_u32 s10, s18, s11
	s_waitcnt lgkmcnt(0)
	s_mul_i32 s15, s10, s9
	s_sub_i32 s15, s18, s15
	s_add_i32 s11, s10, 1
	s_sub_i32 s16, s15, s9
	s_cmp_ge_u32 s15, s9
	s_cselect_b32 s10, s11, s10
	s_cselect_b32 s15, s16, s15
	s_add_i32 s11, s10, 1
	s_cmp_ge_u32 s15, s9
	s_cselect_b32 s10, s11, s10
.LBB12_3:
	s_add_i32 s11, s6, 1
	s_mul_hi_i32 s21, s3, s11
	s_mov_b32 s20, 0
	s_cmp_lg_u64 s[20:21], 0
	s_mul_i32 s11, s3, s11
	s_cbranch_scc0 .LBB12_21
; %bb.4:
	s_add_u32 s16, s9, 0
	s_addc_u32 s17, 0, 0
	s_xor_b64 s[18:19], s[16:17], 0
	v_cvt_f32_u32_e32 v1, s18
	v_cvt_f32_u32_e32 v2, s19
	s_waitcnt lgkmcnt(0)
	s_sub_u32 s15, 0, s18
	s_subb_u32 s20, 0, s19
	v_madmk_f32 v1, v2, 0x4f800000, v1
	v_rcp_f32_e32 v1, v1
	v_mul_f32_e32 v1, 0x5f7ffffc, v1
	v_mul_f32_e32 v2, 0x2f800000, v1
	v_trunc_f32_e32 v2, v2
	v_madmk_f32 v1, v2, 0xcf800000, v1
	v_cvt_u32_f32_e32 v2, v2
	v_cvt_u32_f32_e32 v1, v1
	v_readfirstlane_b32 s24, v2
	v_readfirstlane_b32 s22, v1
	s_mul_i32 s23, s15, s24
	s_mul_hi_u32 s26, s15, s22
	s_mul_i32 s25, s20, s22
	s_add_i32 s23, s26, s23
	s_add_i32 s23, s23, s25
	s_mul_i32 s27, s15, s22
	s_mul_i32 s26, s22, s23
	s_mul_hi_u32 s28, s22, s27
	s_mul_hi_u32 s25, s22, s23
	s_add_u32 s26, s28, s26
	s_addc_u32 s25, 0, s25
	s_mul_hi_u32 s29, s24, s27
	s_mul_i32 s27, s24, s27
	s_add_u32 s26, s26, s27
	s_mul_hi_u32 s28, s24, s23
	s_addc_u32 s25, s25, s29
	s_addc_u32 s26, s28, 0
	s_mul_i32 s23, s24, s23
	s_add_u32 s23, s25, s23
	s_addc_u32 s25, 0, s26
	s_add_u32 s26, s22, s23
	s_cselect_b64 s[22:23], -1, 0
	s_cmp_lg_u64 s[22:23], 0
	s_addc_u32 s24, s24, s25
	s_mul_i32 s22, s15, s24
	s_mul_hi_u32 s23, s15, s26
	s_add_i32 s22, s23, s22
	s_mul_i32 s20, s20, s26
	s_add_i32 s22, s22, s20
	s_mul_i32 s15, s15, s26
	s_mul_hi_u32 s23, s24, s15
	s_mul_i32 s25, s24, s15
	s_mul_i32 s28, s26, s22
	s_mul_hi_u32 s15, s26, s15
	s_mul_hi_u32 s27, s26, s22
	s_add_u32 s15, s15, s28
	s_addc_u32 s27, 0, s27
	s_add_u32 s15, s15, s25
	s_mul_hi_u32 s20, s24, s22
	s_addc_u32 s15, s27, s23
	s_addc_u32 s20, s20, 0
	s_mul_i32 s22, s24, s22
	s_add_u32 s15, s15, s22
	s_addc_u32 s20, 0, s20
	s_add_u32 s15, s26, s15
	s_cselect_b64 s[22:23], -1, 0
	s_cmp_lg_u64 s[22:23], 0
	s_addc_u32 s24, s24, s20
	s_ashr_i32 s22, s21, 31
	s_add_u32 s20, s11, s22
	s_mov_b32 s23, s22
	s_addc_u32 s21, s21, s22
	s_xor_b64 s[20:21], s[20:21], s[22:23]
	s_mul_i32 s26, s20, s24
	s_mul_hi_u32 s27, s20, s15
	s_mul_hi_u32 s25, s20, s24
	s_add_u32 s26, s27, s26
	s_addc_u32 s25, 0, s25
	s_mul_hi_u32 s28, s21, s15
	s_mul_i32 s15, s21, s15
	s_add_u32 s15, s26, s15
	s_mul_hi_u32 s27, s21, s24
	s_addc_u32 s15, s25, s28
	s_addc_u32 s25, s27, 0
	s_mul_i32 s24, s21, s24
	s_add_u32 s15, s15, s24
	s_addc_u32 s28, 0, s25
	s_mul_i32 s24, s18, s28
	s_mul_hi_u32 s25, s18, s15
	s_add_i32 s24, s25, s24
	s_mul_i32 s25, s19, s15
	s_add_i32 s29, s24, s25
	s_sub_i32 s26, s21, s29
	s_mul_i32 s24, s18, s15
	s_sub_u32 s20, s20, s24
	s_cselect_b64 s[24:25], -1, 0
	s_cmp_lg_u64 s[24:25], 0
	s_subb_u32 s30, s26, s19
	s_sub_u32 s31, s20, s18
	s_cselect_b64 s[26:27], -1, 0
	s_cmp_lg_u64 s[26:27], 0
	s_subb_u32 s26, s30, 0
	s_cmp_ge_u32 s26, s19
	s_cselect_b32 s27, -1, 0
	s_cmp_ge_u32 s31, s18
	s_cselect_b32 s30, -1, 0
	s_cmp_eq_u32 s26, s19
	s_cselect_b32 s26, s30, s27
	s_add_u32 s27, s15, 1
	s_addc_u32 s30, s28, 0
	s_add_u32 s31, s15, 2
	s_addc_u32 s33, s28, 0
	s_cmp_lg_u32 s26, 0
	s_cselect_b32 s26, s31, s27
	s_cselect_b32 s27, s33, s30
	s_cmp_lg_u64 s[24:25], 0
	s_subb_u32 s21, s21, s29
	s_cmp_ge_u32 s21, s19
	s_cselect_b32 s24, -1, 0
	s_cmp_ge_u32 s20, s18
	s_cselect_b32 s18, -1, 0
	s_cmp_eq_u32 s21, s19
	s_cselect_b32 s18, s18, s24
	s_cmp_lg_u32 s18, 0
	s_cselect_b32 s19, s27, s28
	s_cselect_b32 s18, s26, s15
	s_xor_b64 s[20:21], s[22:23], 0
	s_xor_b64 s[18:19], s[18:19], s[20:21]
	s_sub_u32 s18, s18, s20
	s_cbranch_execnz .LBB12_6
.LBB12_5:
	v_cvt_f32_u32_e32 v1, s9
	s_waitcnt lgkmcnt(0)
	s_sub_i32 s15, 0, s9
	v_rcp_iflag_f32_e32 v1, v1
	v_mul_f32_e32 v1, 0x4f7ffffe, v1
	v_cvt_u32_f32_e32 v1, v1
	v_readfirstlane_b32 s16, v1
	s_mul_i32 s15, s15, s16
	s_mul_hi_u32 s15, s16, s15
	s_add_i32 s16, s16, s15
	s_mul_hi_u32 s15, s11, s16
	s_mul_i32 s17, s15, s9
	s_sub_i32 s11, s11, s17
	s_add_i32 s16, s15, 1
	s_sub_i32 s17, s11, s9
	s_cmp_ge_u32 s11, s9
	s_cselect_b32 s15, s16, s15
	s_cselect_b32 s11, s17, s11
	s_add_i32 s16, s15, 1
	s_cmp_ge_u32 s11, s9
	s_cselect_b32 s18, s16, s15
.LBB12_6:
	s_cmp_eq_u32 s10, s18
	s_waitcnt lgkmcnt(0)
	s_mul_hi_u32 s11, s10, s12
	s_cselect_b64 s[16:17], -1, 0
	s_add_i32 s11, s11, s10
	s_lshr_b32 s11, s11, s13
	s_mul_i32 s15, s11, s14
	s_cmp_eq_u32 s15, s10
	s_mul_hi_u32 s15, s18, s12
	s_cselect_b64 s[20:21], -1, 0
	s_add_i32 s15, s15, s18
	s_lshr_b32 s15, s15, s13
	s_cmp_eq_u32 s11, s15
	s_mul_i32 s15, s15, s14
	s_cselect_b64 s[22:23], -1, 0
	s_cmp_lg_u32 s15, s18
	s_cselect_b64 s[18:19], -1, 0
	s_and_b64 s[18:19], s[22:23], s[18:19]
	s_or_b64 s[16:17], s[16:17], s[20:21]
	s_or_b64 s[16:17], s[16:17], s[18:19]
	s_and_b64 vcc, exec, s[16:17]
	s_cbranch_vccnz .LBB12_23
; %bb.7:
	s_load_dwordx8 s[20:27], s[4:5], 0x20
	s_load_dword s15, s[4:5], 0x40
	s_waitcnt lgkmcnt(0)
	s_mul_hi_u32 s16, s10, s20
	s_add_i32 s16, s16, s10
	s_lshr_b32 s20, s16, s21
	s_mul_i32 s16, s20, s22
	s_sub_i32 s16, s10, s16
	s_mul_hi_u32 s17, s16, s23
	s_add_i32 s17, s16, s17
	s_lshr_b32 s21, s17, s24
	s_mul_i32 s17, s21, s25
	s_sub_i32 s16, s16, s17
	;; [unrolled: 5-line block ×3, first 2 shown]
	s_mul_hi_u32 s16, s15, s12
	s_add_i32 s15, s15, s16
	s_lshr_b32 s23, s15, s13
	s_lshl_b32 s24, s17, 3
	s_add_i32 s23, s23, s7
	s_cmp_lt_i32 s23, s0
	s_cselect_b64 s[16:17], -1, 0
	s_add_i32 s24, s24, s8
	s_cmp_lt_i32 s24, s2
	s_cselect_b64 s[18:19], -1, 0
	s_and_b64 s[16:17], s[16:17], s[18:19]
	s_andn2_b64 vcc, exec, s[16:17]
	s_cbranch_vccnz .LBB12_23
; %bb.8:
	s_load_dwordx4 s[16:19], s[4:5], 0x0
	s_mov_b32 s4, 0
	s_lshl_b32 s26, s9, 5
	s_mov_b32 s27, s4
	s_lshl_b64 s[26:27], s[26:27], 2
	s_waitcnt lgkmcnt(0)
	s_add_u32 s15, s18, s26
	s_mul_i32 s20, s20, s0
	s_addc_u32 s22, s19, s27
	s_mul_i32 s21, s21, s2
	s_add_i32 s0, s23, s20
	s_mul_i32 s0, s0, s1
	s_add_i32 s1, s24, s21
	s_add_i32 s1, s1, s0
	v_lshl_or_b32 v1, s1, 8, v0
	v_ashrrev_i32_e32 v2, 31, v1
	v_lshlrev_b64 v[1:2], 2, v[1:2]
	v_mov_b32_e32 v3, s17
	v_add_co_u32_e32 v1, vcc, s16, v1
	v_addc_co_u32_e32 v2, vcc, v3, v2, vcc
	global_load_dword v3, v[1:2], off
	s_add_i32 s0, s7, s6
	v_cvt_f32_u32_e32 v4, s9
	s_lshl_b32 s0, s0, 3
	s_add_i32 s0, s0, s8
	s_ashr_i32 s1, s0, 31
	s_lshl_b64 s[0:1], s[0:1], 3
	v_rcp_iflag_f32_e32 v4, v4
	s_add_u32 s0, s18, s0
	s_addc_u32 s1, s19, s1
	s_load_dwordx2 s[0:1], s[0:1], 0x0
	v_mul_f32_e32 v4, 0x4f7ffffe, v4
	v_cvt_u32_f32_e32 v4, v4
	s_add_i32 s25, s6, -1
	v_lshl_or_b32 v0, s8, 8, v0
	s_waitcnt lgkmcnt(0)
	v_mov_b32_e32 v6, s1
	v_mov_b32_e32 v7, s0
	s_mov_b32 s2, 0x3fb8aa3b
	s_mov_b32 s6, 0xc2ce8ed0
	;; [unrolled: 1-line block ×4, first 2 shown]
	v_mov_b32_e32 v5, 0x7f800000
	s_mul_hi_i32 s5, s25, s3
	s_cmp_lg_u64 s[4:5], 0
	s_mul_i32 s20, s25, s3
	s_cbranch_scc0 .LBB12_19
.LBB12_9:
	s_add_u32 s0, s9, 0
	s_addc_u32 s1, 0, 0
	s_xor_b64 s[0:1], s[0:1], 0
	v_cvt_f32_u32_e32 v8, s0
	v_cvt_f32_u32_e32 v9, s1
	s_sub_u32 s21, 0, s0
	s_subb_u32 s26, 0, s1
	v_mac_f32_e32 v8, 0x4f800000, v9
	v_rcp_f32_e32 v8, v8
	v_mul_f32_e32 v8, 0x5f7ffffc, v8
	v_mul_f32_e32 v9, 0x2f800000, v8
	v_trunc_f32_e32 v9, v9
	v_mac_f32_e32 v8, 0xcf800000, v9
	v_cvt_u32_f32_e32 v9, v9
	v_cvt_u32_f32_e32 v8, v8
	v_readfirstlane_b32 s27, v9
	v_readfirstlane_b32 s16, v8
	s_mul_i32 s17, s21, s27
	s_mul_hi_u32 s29, s21, s16
	s_mul_i32 s28, s26, s16
	s_add_i32 s17, s29, s17
	s_mul_i32 s30, s21, s16
	s_add_i32 s17, s17, s28
	s_mul_i32 s29, s16, s17
	s_mul_hi_u32 s31, s16, s30
	s_mul_hi_u32 s28, s16, s17
	s_add_u32 s29, s31, s29
	s_addc_u32 s28, 0, s28
	s_mul_hi_u32 s33, s27, s30
	s_mul_i32 s30, s27, s30
	s_add_u32 s29, s29, s30
	s_mul_hi_u32 s31, s27, s17
	s_addc_u32 s28, s28, s33
	s_addc_u32 s29, s31, 0
	s_mul_i32 s17, s27, s17
	s_add_u32 s17, s28, s17
	s_addc_u32 s28, 0, s29
	s_add_u32 s29, s16, s17
	s_cselect_b64 s[16:17], -1, 0
	s_cmp_lg_u64 s[16:17], 0
	s_addc_u32 s27, s27, s28
	s_mul_i32 s16, s21, s27
	s_mul_hi_u32 s17, s21, s29
	s_add_i32 s16, s17, s16
	s_mul_i32 s26, s26, s29
	s_add_i32 s16, s16, s26
	s_mul_i32 s21, s21, s29
	s_mul_hi_u32 s26, s27, s21
	s_mul_i32 s28, s27, s21
	s_mul_i32 s31, s29, s16
	s_mul_hi_u32 s21, s29, s21
	s_mul_hi_u32 s30, s29, s16
	s_add_u32 s21, s21, s31
	s_addc_u32 s30, 0, s30
	s_add_u32 s21, s21, s28
	s_mul_hi_u32 s17, s27, s16
	s_addc_u32 s21, s30, s26
	s_addc_u32 s17, s17, 0
	s_mul_i32 s16, s27, s16
	s_add_u32 s16, s21, s16
	s_addc_u32 s21, 0, s17
	s_add_u32 s28, s29, s16
	s_cselect_b64 s[16:17], -1, 0
	s_cmp_lg_u64 s[16:17], 0
	s_addc_u32 s21, s27, s21
	s_ashr_i32 s16, s5, 31
	s_add_u32 s26, s20, s16
	s_mov_b32 s17, s16
	s_addc_u32 s27, s5, s16
	s_xor_b64 s[26:27], s[26:27], s[16:17]
	s_mul_i32 s29, s26, s21
	s_mul_hi_u32 s30, s26, s28
	s_mul_hi_u32 s5, s26, s21
	s_add_u32 s29, s30, s29
	s_addc_u32 s5, 0, s5
	s_mul_hi_u32 s31, s27, s28
	s_mul_i32 s28, s27, s28
	s_add_u32 s28, s29, s28
	s_mul_hi_u32 s30, s27, s21
	s_addc_u32 s5, s5, s31
	s_addc_u32 s28, s30, 0
	s_mul_i32 s21, s27, s21
	s_add_u32 s5, s5, s21
	s_addc_u32 s21, 0, s28
	s_mul_i32 s28, s0, s21
	s_mul_hi_u32 s29, s0, s5
	s_add_i32 s28, s29, s28
	s_mul_i32 s29, s1, s5
	s_add_i32 s33, s28, s29
	s_sub_i32 s30, s27, s33
	s_mul_i32 s28, s0, s5
	s_sub_u32 s26, s26, s28
	s_cselect_b64 s[28:29], -1, 0
	s_cmp_lg_u64 s[28:29], 0
	s_subb_u32 s34, s30, s1
	s_sub_u32 s35, s26, s0
	s_cselect_b64 s[30:31], -1, 0
	s_cmp_lg_u64 s[30:31], 0
	s_subb_u32 s30, s34, 0
	s_cmp_ge_u32 s30, s1
	s_cselect_b32 s31, -1, 0
	s_cmp_ge_u32 s35, s0
	s_cselect_b32 s34, -1, 0
	s_cmp_eq_u32 s30, s1
	s_cselect_b32 s30, s34, s31
	s_add_u32 s31, s5, 1
	s_addc_u32 s34, s21, 0
	s_add_u32 s35, s5, 2
	s_addc_u32 s36, s21, 0
	s_cmp_lg_u32 s30, 0
	s_cselect_b32 s30, s35, s31
	s_cselect_b32 s31, s36, s34
	s_cmp_lg_u64 s[28:29], 0
	s_subb_u32 s27, s27, s33
	s_cmp_ge_u32 s27, s1
	s_cselect_b32 s28, -1, 0
	s_cmp_ge_u32 s26, s0
	s_cselect_b32 s0, -1, 0
	s_cmp_eq_u32 s27, s1
	s_cselect_b32 s0, s0, s28
	s_cmp_lg_u32 s0, 0
	s_cselect_b32 s1, s31, s21
	s_cselect_b32 s0, s30, s5
	s_xor_b64 s[16:17], s[16:17], 0
	s_xor_b64 s[0:1], s[0:1], s[16:17]
	s_sub_u32 s16, s0, s16
	s_cbranch_execnz .LBB12_11
.LBB12_10:
	s_sub_i32 s0, 0, s9
	v_readfirstlane_b32 s1, v4
	s_mul_i32 s0, s0, s1
	s_mul_hi_u32 s0, s1, s0
	s_add_i32 s1, s1, s0
	s_mul_hi_u32 s0, s20, s1
	s_mul_i32 s5, s0, s9
	s_sub_i32 s5, s20, s5
	s_add_i32 s1, s0, 1
	s_sub_i32 s16, s5, s9
	s_cmp_ge_u32 s5, s9
	s_cselect_b32 s0, s1, s0
	s_cselect_b32 s5, s16, s5
	s_add_i32 s1, s0, 1
	s_cmp_ge_u32 s5, s9
	s_cselect_b32 s16, s1, s0
.LBB12_11:
	s_cmp_lg_u32 s10, s16
	s_mov_b64 s[20:21], -1
                                        ; implicit-def: $sgpr0_sgpr1
                                        ; implicit-def: $vgpr10
                                        ; implicit-def: $vgpr8
                                        ; implicit-def: $vgpr9
                                        ; implicit-def: $sgpr5
                                        ; implicit-def: $sgpr17
	s_cbranch_scc1 .LBB12_14
; %bb.12:
	s_andn2_b64 vcc, exec, s[20:21]
	s_cbranch_vccz .LBB12_17
.LBB12_13:
	s_andn2_b64 vcc, exec, s[0:1]
	s_cbranch_vccnz .LBB12_18
	s_branch .LBB12_22
.LBB12_14:
	s_add_i32 s26, s25, s7
	s_add_i32 s0, s26, s9
	s_lshl_b32 s0, s0, 3
	s_add_i32 s0, s0, s8
	s_mov_b32 s1, s4
	s_lshl_b64 s[0:1], s[0:1], 3
	s_add_u32 s20, s18, s0
	s_mul_hi_u32 s0, s16, s12
	s_addc_u32 s21, s19, s1
	s_add_i32 s0, s0, s16
	s_lshr_b32 s5, s0, s13
	s_mul_i32 s0, s5, s14
	s_cmp_eq_u32 s0, s16
	s_cselect_b64 s[0:1], -1, 0
	s_cmp_lt_u32 s5, s11
	s_cselect_b64 s[28:29], -1, 0
	s_or_b64 s[28:29], s[28:29], s[0:1]
	s_mov_b64 s[0:1], -1
	s_and_b64 vcc, exec, s[28:29]
	s_mov_b32 s5, s25
	s_mov_b32 s17, s10
	s_cbranch_vccnz .LBB12_16
; %bb.15:
	s_add_i32 s5, s25, -1
	s_mov_b64 s[0:1], 0
	s_mov_b32 s17, s16
.LBB12_16:
	v_lshl_add_u32 v8, s26, 11, v0
	v_ashrrev_i32_e32 v9, 31, v8
	v_lshlrev_b64 v[8:9], 2, v[8:9]
	v_mov_b32_e32 v10, s22
	v_add_co_u32_e32 v8, vcc, s15, v8
	v_addc_co_u32_e32 v9, vcc, v10, v9, vcc
	global_load_dword v10, v[8:9], off
	s_load_dwordx2 s[20:21], s[20:21], 0x0
	v_max_f32_e32 v8, v7, v7
	s_waitcnt lgkmcnt(0)
	v_max_f32_e64 v9, s20, s20
	v_max_f32_e32 v8, v8, v9
	v_sub_f32_e32 v9, v7, v8
	v_sub_f32_e32 v11, s20, v8
	v_mul_f32_e32 v12, 0x3fb8aa3b, v9
	v_mul_f32_e32 v13, 0x3fb8aa3b, v11
	v_fma_f32 v14, v9, s2, -v12
	v_rndne_f32_e32 v15, v12
	v_fma_f32 v16, v11, s2, -v13
	v_rndne_f32_e32 v17, v13
	v_fmac_f32_e32 v14, 0x32a5705f, v9
	v_sub_f32_e32 v12, v12, v15
	v_fmac_f32_e32 v16, 0x32a5705f, v11
	v_sub_f32_e32 v13, v13, v17
	v_add_f32_e32 v12, v12, v14
	v_cvt_i32_f32_e32 v15, v15
	v_add_f32_e32 v13, v13, v16
	v_exp_f32_e32 v12, v12
	v_cvt_i32_f32_e32 v17, v17
	v_exp_f32_e32 v13, v13
	v_cmp_ngt_f32_e32 vcc, s6, v9
	v_ldexp_f32 v12, v12, v15
	v_cndmask_b32_e32 v12, 0, v12, vcc
	v_ldexp_f32 v13, v13, v17
	v_cmp_ngt_f32_e32 vcc, s6, v11
	v_cndmask_b32_e32 v13, 0, v13, vcc
	v_cmp_nlt_f32_e32 vcc, s23, v9
	v_cndmask_b32_e32 v12, v5, v12, vcc
	v_cmp_nlt_f32_e32 vcc, s23, v11
	v_cndmask_b32_e32 v13, v5, v13, vcc
	v_cmp_le_f32_e32 vcc, s24, v9
	v_cndmask_b32_e32 v12, 0, v12, vcc
	v_cmp_le_f32_e32 vcc, s24, v11
	v_cndmask_b32_e32 v11, 0, v13, vcc
	v_mul_f32_e32 v9, s21, v11
	v_fmac_f32_e32 v9, v6, v12
	s_waitcnt vmcnt(0)
	v_mul_f32_e32 v10, v10, v11
	v_fmac_f32_e32 v10, v3, v12
	s_cbranch_execnz .LBB12_13
.LBB12_17:
	s_add_i32 s5, s25, -1
	s_mov_b32 s17, s10
	v_mov_b32_e32 v9, v6
	v_mov_b32_e32 v8, v7
	s_waitcnt vmcnt(0)
	v_mov_b32_e32 v10, v3
	s_cbranch_execz .LBB12_22
.LBB12_18:
	s_mov_b32 s10, s17
	s_mov_b32 s25, s5
	v_mov_b32_e32 v6, v9
	v_mov_b32_e32 v7, v8
	s_waitcnt vmcnt(0)
	v_mov_b32_e32 v3, v10
	s_mul_hi_i32 s5, s25, s3
	s_cmp_lg_u64 s[4:5], 0
	s_mul_i32 s20, s25, s3
	s_cbranch_scc1 .LBB12_9
.LBB12_19:
                                        ; implicit-def: $sgpr16_sgpr17
	s_branch .LBB12_10
.LBB12_20:
                                        ; implicit-def: $sgpr10_sgpr11
	s_load_dwordx4 s[12:15], s[4:5], 0x44
	s_branch .LBB12_2
.LBB12_21:
                                        ; implicit-def: $sgpr18_sgpr19
	s_branch .LBB12_5
.LBB12_22:
	v_div_scale_f32 v0, s[0:1], v9, v9, v10
	s_waitcnt vmcnt(0)
	v_div_scale_f32 v3, vcc, v10, v9, v10
	v_rcp_f32_e32 v4, v0
	v_fma_f32 v5, -v0, v4, 1.0
	v_fmac_f32_e32 v4, v5, v4
	v_mul_f32_e32 v5, v3, v4
	v_fma_f32 v6, -v0, v5, v3
	v_fmac_f32_e32 v5, v6, v4
	v_fma_f32 v0, -v0, v5, v3
	v_div_fmas_f32 v0, v0, v4, v5
	v_div_fixup_f32 v0, v0, v9, v10
	global_store_dword v[1:2], v0, off
.LBB12_23:
	s_endpgm
	.section	.rodata,"a",@progbits
	.p2align	6, 0x0
	.amdhsa_kernel _ZL33flash_attn_stream_k_fixup_generalILi256ELi1ELi8EEvPfPK15HIP_vector_typeIfLj2EEiiiiS1_IjLj3EES5_S5_S5_
		.amdhsa_group_segment_fixed_size 0
		.amdhsa_private_segment_fixed_size 0
		.amdhsa_kernarg_size 336
		.amdhsa_user_sgpr_count 6
		.amdhsa_user_sgpr_private_segment_buffer 1
		.amdhsa_user_sgpr_dispatch_ptr 0
		.amdhsa_user_sgpr_queue_ptr 0
		.amdhsa_user_sgpr_kernarg_segment_ptr 1
		.amdhsa_user_sgpr_dispatch_id 0
		.amdhsa_user_sgpr_flat_scratch_init 0
		.amdhsa_user_sgpr_private_segment_size 0
		.amdhsa_uses_dynamic_stack 0
		.amdhsa_system_sgpr_private_segment_wavefront_offset 0
		.amdhsa_system_sgpr_workgroup_id_x 1
		.amdhsa_system_sgpr_workgroup_id_y 1
		.amdhsa_system_sgpr_workgroup_id_z 1
		.amdhsa_system_sgpr_workgroup_info 0
		.amdhsa_system_vgpr_workitem_id 0
		.amdhsa_next_free_vgpr 18
		.amdhsa_next_free_sgpr 37
		.amdhsa_reserve_vcc 1
		.amdhsa_reserve_flat_scratch 0
		.amdhsa_float_round_mode_32 0
		.amdhsa_float_round_mode_16_64 0
		.amdhsa_float_denorm_mode_32 3
		.amdhsa_float_denorm_mode_16_64 3
		.amdhsa_dx10_clamp 1
		.amdhsa_ieee_mode 1
		.amdhsa_fp16_overflow 0
		.amdhsa_exception_fp_ieee_invalid_op 0
		.amdhsa_exception_fp_denorm_src 0
		.amdhsa_exception_fp_ieee_div_zero 0
		.amdhsa_exception_fp_ieee_overflow 0
		.amdhsa_exception_fp_ieee_underflow 0
		.amdhsa_exception_fp_ieee_inexact 0
		.amdhsa_exception_int_div_zero 0
	.end_amdhsa_kernel
	.section	.text._ZL33flash_attn_stream_k_fixup_generalILi256ELi1ELi8EEvPfPK15HIP_vector_typeIfLj2EEiiiiS1_IjLj3EES5_S5_S5_,"axG",@progbits,_ZL33flash_attn_stream_k_fixup_generalILi256ELi1ELi8EEvPfPK15HIP_vector_typeIfLj2EEiiiiS1_IjLj3EES5_S5_S5_,comdat
.Lfunc_end12:
	.size	_ZL33flash_attn_stream_k_fixup_generalILi256ELi1ELi8EEvPfPK15HIP_vector_typeIfLj2EEiiiiS1_IjLj3EES5_S5_S5_, .Lfunc_end12-_ZL33flash_attn_stream_k_fixup_generalILi256ELi1ELi8EEvPfPK15HIP_vector_typeIfLj2EEiiiiS1_IjLj3EES5_S5_S5_
                                        ; -- End function
	.set _ZL33flash_attn_stream_k_fixup_generalILi256ELi1ELi8EEvPfPK15HIP_vector_typeIfLj2EEiiiiS1_IjLj3EES5_S5_S5_.num_vgpr, 18
	.set _ZL33flash_attn_stream_k_fixup_generalILi256ELi1ELi8EEvPfPK15HIP_vector_typeIfLj2EEiiiiS1_IjLj3EES5_S5_S5_.num_agpr, 0
	.set _ZL33flash_attn_stream_k_fixup_generalILi256ELi1ELi8EEvPfPK15HIP_vector_typeIfLj2EEiiiiS1_IjLj3EES5_S5_S5_.numbered_sgpr, 37
	.set _ZL33flash_attn_stream_k_fixup_generalILi256ELi1ELi8EEvPfPK15HIP_vector_typeIfLj2EEiiiiS1_IjLj3EES5_S5_S5_.num_named_barrier, 0
	.set _ZL33flash_attn_stream_k_fixup_generalILi256ELi1ELi8EEvPfPK15HIP_vector_typeIfLj2EEiiiiS1_IjLj3EES5_S5_S5_.private_seg_size, 0
	.set _ZL33flash_attn_stream_k_fixup_generalILi256ELi1ELi8EEvPfPK15HIP_vector_typeIfLj2EEiiiiS1_IjLj3EES5_S5_S5_.uses_vcc, 1
	.set _ZL33flash_attn_stream_k_fixup_generalILi256ELi1ELi8EEvPfPK15HIP_vector_typeIfLj2EEiiiiS1_IjLj3EES5_S5_S5_.uses_flat_scratch, 0
	.set _ZL33flash_attn_stream_k_fixup_generalILi256ELi1ELi8EEvPfPK15HIP_vector_typeIfLj2EEiiiiS1_IjLj3EES5_S5_S5_.has_dyn_sized_stack, 0
	.set _ZL33flash_attn_stream_k_fixup_generalILi256ELi1ELi8EEvPfPK15HIP_vector_typeIfLj2EEiiiiS1_IjLj3EES5_S5_S5_.has_recursion, 0
	.set _ZL33flash_attn_stream_k_fixup_generalILi256ELi1ELi8EEvPfPK15HIP_vector_typeIfLj2EEiiiiS1_IjLj3EES5_S5_S5_.has_indirect_call, 0
	.section	.AMDGPU.csdata,"",@progbits
; Kernel info:
; codeLenInByte = 2920
; TotalNumSgprs: 41
; NumVgprs: 18
; ScratchSize: 0
; MemoryBound: 0
; FloatMode: 240
; IeeeMode: 1
; LDSByteSize: 0 bytes/workgroup (compile time only)
; SGPRBlocks: 5
; VGPRBlocks: 4
; NumSGPRsForWavesPerEU: 41
; NumVGPRsForWavesPerEU: 18
; Occupancy: 10
; WaveLimiterHint : 0
; COMPUTE_PGM_RSRC2:SCRATCH_EN: 0
; COMPUTE_PGM_RSRC2:USER_SGPR: 6
; COMPUTE_PGM_RSRC2:TRAP_HANDLER: 0
; COMPUTE_PGM_RSRC2:TGID_X_EN: 1
; COMPUTE_PGM_RSRC2:TGID_Y_EN: 1
; COMPUTE_PGM_RSRC2:TGID_Z_EN: 1
; COMPUTE_PGM_RSRC2:TIDIG_COMP_CNT: 0
	.section	.text._ZL15flash_attn_tileILi256ELi256ELi8ELi4ELb0EEvPKcS1_S1_S1_S1_PKiPfP15HIP_vector_typeIfLj2EEffffjfiS5_IjLj3EEiiiiiiiiiiiliiliiiiil,"axG",@progbits,_ZL15flash_attn_tileILi256ELi256ELi8ELi4ELb0EEvPKcS1_S1_S1_S1_PKiPfP15HIP_vector_typeIfLj2EEffffjfiS5_IjLj3EEiiiiiiiiiiiliiliiiiil,comdat
	.globl	_ZL15flash_attn_tileILi256ELi256ELi8ELi4ELb0EEvPKcS1_S1_S1_S1_PKiPfP15HIP_vector_typeIfLj2EEffffjfiS5_IjLj3EEiiiiiiiiiiiliiliiiiil ; -- Begin function _ZL15flash_attn_tileILi256ELi256ELi8ELi4ELb0EEvPKcS1_S1_S1_S1_PKiPfP15HIP_vector_typeIfLj2EEffffjfiS5_IjLj3EEiiiiiiiiiiiliiliiiiil
	.p2align	8
	.type	_ZL15flash_attn_tileILi256ELi256ELi8ELi4ELb0EEvPKcS1_S1_S1_S1_PKiPfP15HIP_vector_typeIfLj2EEffffjfiS5_IjLj3EEiiiiiiiiiiiliiliiiiil,@function
_ZL15flash_attn_tileILi256ELi256ELi8ELi4ELb0EEvPKcS1_S1_S1_S1_PKiPfP15HIP_vector_typeIfLj2EEffffjfiS5_IjLj3EEiiiiiiiiiiiliiliiiiil: ; @_ZL15flash_attn_tileILi256ELi256ELi8ELi4ELb0EEvPKcS1_S1_S1_S1_PKiPfP15HIP_vector_typeIfLj2EEffffjfiS5_IjLj3EEiiiiiiiiiiiliiliiiiil
; %bb.0:
	s_load_dwordx4 s[28:31], s[4:5], 0x5c
	s_load_dwordx2 s[36:37], s[4:5], 0x80
	s_mov_b64 s[46:47], s[2:3]
	s_mov_b64 s[44:45], s[0:1]
	s_add_u32 s44, s44, s9
	s_addc_u32 s45, s45, 0
	s_waitcnt lgkmcnt(0)
	s_ashr_i32 s0, s31, 31
	s_lshr_b32 s0, s0, 30
	s_add_i32 s0, s31, s0
	s_ashr_i32 s0, s0, 2
	v_cvt_f32_u32_e32 v2, s0
	s_sub_i32 s1, 0, s0
	s_load_dwordx16 s[12:27], s[4:5], 0x0
	s_mov_b64 s[38:39], 0
	v_rcp_iflag_f32_e32 v2, v2
	v_mul_f32_e32 v2, 0x4f7ffffe, v2
	v_cvt_u32_f32_e32 v2, v2
	v_readfirstlane_b32 s2, v2
	s_mul_i32 s1, s1, s2
	s_mul_hi_u32 s1, s2, s1
	s_add_i32 s2, s2, s1
	s_mul_hi_u32 s1, s8, s2
	s_mul_i32 s2, s1, s0
	s_sub_i32 s2, s8, s2
	s_add_i32 s3, s1, 1
	s_sub_i32 s9, s2, s0
	s_cmp_ge_u32 s2, s0
	s_cselect_b32 s1, s3, s1
	s_cselect_b32 s2, s9, s2
	s_add_i32 s3, s1, 1
	s_cmp_ge_u32 s2, s0
	s_cselect_b32 s33, s3, s1
	s_abs_i32 s0, s37
	v_cvt_f32_u32_e32 v2, s0
	s_lshl_b32 s1, s8, 2
	s_mul_i32 s8, s33, s31
	s_sub_i32 s9, 0, s0
	v_rcp_iflag_f32_e32 v2, v2
	s_sub_i32 s34, s1, s8
	s_abs_i32 s3, s31
	s_xor_b32 s2, s31, s37
	v_mul_f32_e32 v2, 0x4f7ffffe, v2
	v_cvt_u32_f32_e32 v2, v2
	s_ashr_i32 s2, s2, 31
	v_readfirstlane_b32 s1, v2
	s_mul_i32 s9, s9, s1
	s_mul_hi_u32 s8, s1, s9
	s_add_i32 s1, s1, s8
	s_mul_hi_u32 s1, s3, s1
	s_mul_i32 s8, s1, s0
	s_sub_i32 s3, s3, s8
	s_add_i32 s9, s1, 1
	s_sub_i32 s8, s3, s0
	s_cmp_ge_u32 s3, s0
	s_cselect_b32 s1, s9, s1
	s_cselect_b32 s3, s8, s3
	s_add_i32 s8, s1, 1
	s_cmp_ge_u32 s3, s0
	s_cselect_b32 s0, s8, s1
	s_xor_b32 s0, s0, s2
	s_sub_i32 s11, s0, s2
	s_abs_i32 s10, s11
	v_cvt_f32_u32_e32 v2, s10
	s_load_dwordx2 s[8:9], s[4:5], 0xb8
	s_waitcnt lgkmcnt(0)
	s_cmp_eq_u64 s[18:19], 0
	v_rcp_iflag_f32_e32 v2, v2
	v_mul_f32_e32 v2, 0x4f7ffffe, v2
	v_cvt_u32_f32_e32 v2, v2
	v_readfirstlane_b32 s35, v2
	s_cbranch_scc1 .LBB13_2
; %bb.1:
	s_abs_i32 s2, s8
	v_cvt_f32_u32_e32 v2, s2
	s_sub_i32 s37, 0, s2
	s_abs_i32 s8, s33
	s_ashr_i32 s3, s33, 31
	v_rcp_iflag_f32_e32 v2, v2
	s_load_dwordx2 s[0:1], s[4:5], 0xc8
	v_mul_f32_e32 v2, 0x4f7ffffe, v2
	v_cvt_u32_f32_e32 v2, v2
	v_readfirstlane_b32 s38, v2
	s_mul_i32 s37, s37, s38
	s_mul_hi_u32 s37, s38, s37
	s_add_i32 s38, s38, s37
	s_mul_hi_u32 s37, s8, s38
	s_mul_i32 s37, s37, s2
	s_sub_i32 s8, s8, s37
	s_sub_i32 s37, s8, s2
	s_cmp_ge_u32 s8, s2
	s_cselect_b32 s8, s37, s8
	s_sub_i32 s37, s8, s2
	s_cmp_ge_u32 s8, s2
	s_cselect_b32 s2, s37, s8
	s_xor_b32 s2, s2, s3
	s_sub_i32 s2, s2, s3
	s_ashr_i32 s3, s2, 31
	s_waitcnt lgkmcnt(0)
	s_mul_hi_u32 s8, s0, s2
	s_mul_i32 s3, s0, s3
	s_mul_i32 s1, s1, s2
	s_add_i32 s3, s8, s3
	s_add_i32 s3, s3, s1
	s_mul_i32 s0, s0, s2
	s_add_u32 s38, s18, s0
	s_addc_u32 s39, s19, s3
.LBB13_2:
	s_load_dwordx4 s[0:3], s[4:5], 0x70
	v_lshl_add_u32 v52, s6, 3, v1
	v_mul_hi_u32 v2, s28, v52
	v_lshlrev_b32_e32 v76, 11, v1
	s_waitcnt lgkmcnt(0)
	s_mul_i32 s2, s33, s2
	v_add_u32_e32 v2, v52, v2
	s_ashr_i32 s8, s2, 31
	v_lshrrev_b32_e32 v2, s29, v2
	s_mul_i32 s3, s34, s1
	s_add_u32 s2, s12, s2
	v_mul_lo_u32 v2, v2, s30
	s_addc_u32 s8, s13, s8
	s_ashr_i32 s12, s3, 31
	s_add_u32 s18, s2, s3
	s_addc_u32 s8, s8, s12
	s_ashr_i32 s3, s0, 31
	s_mov_b32 s2, s0
	v_sub_u32_e32 v2, v52, v2
	s_lshr_b64 s[12:13], s[2:3], 2
	v_mad_u64_u32 v[3:4], s[12:13], s12, v2, 0
	s_lshr_b32 s0, s3, 2
	v_mad_u64_u32 v[4:5], s[2:3], s0, v2, v[4:5]
	v_mov_b32_e32 v5, s8
	s_ashr_i32 s3, s1, 31
	v_lshlrev_b64 v[3:4], 2, v[3:4]
	s_and_b32 s0, s1, -4
	v_add_co_u32_e32 v3, vcc, s18, v3
	v_addc_co_u32_e32 v4, vcc, v5, v4, vcc
	v_lshlrev_b32_e32 v5, 4, v0
	v_add_co_u32_e32 v28, vcc, v3, v5
	v_addc_co_u32_e32 v29, vcc, 0, v4, vcc
	global_load_dwordx4 v[4:7], v[28:29], off
	global_load_dwordx4 v[8:11], v[28:29], off offset:512
	v_mov_b32_e32 v3, s3
	v_add_co_u32_e32 v20, vcc, s0, v28
	v_addc_co_u32_e32 v21, vcc, v29, v3, vcc
	global_load_dwordx4 v[12:15], v[20:21], off
	global_load_dwordx4 v[16:19], v[20:21], off offset:512
	s_mov_b32 s2, s1
	s_lshr_b64 s[0:1], s[2:3], 2
	s_lshl_b64 s[12:13], s[0:1], 3
	v_mov_b32_e32 v3, s13
	v_add_co_u32_e32 v30, vcc, s12, v28
	v_mad_u64_u32 v[32:33], s[0:1], s0, 12, v[28:29]
	v_addc_co_u32_e32 v31, vcc, v29, v3, vcc
	global_load_dwordx4 v[20:23], v[30:31], off
	global_load_dwordx4 v[24:27], v[30:31], off offset:512
	v_mov_b32_e32 v3, v33
	s_cmp_eq_u64 s[22:23], 0
	s_waitcnt vmcnt(5)
	v_mad_u64_u32 v[28:29], s[0:1], s3, 12, v[3:4]
	s_load_dword s0, s[4:5], 0x40
	v_lshlrev_b32_e32 v3, 3, v0
	v_mov_b32_e32 v33, v28
	global_load_dwordx4 v[28:31], v[32:33], off
	v_or_b32_e32 v36, v76, v3
	global_load_dwordx4 v[32:35], v[32:33], off offset:512
	s_waitcnt lgkmcnt(0)
	v_fma_mixlo_f16 v4, s0, v4, 0
	v_fma_mixlo_f16 v5, s0, v5, 0
	;; [unrolled: 1-line block ×4, first 2 shown]
	s_waitcnt vmcnt(6)
	v_fma_mixlo_f16 v8, s0, v8, 0
	v_fma_mixlo_f16 v9, s0, v9, 0
	;; [unrolled: 1-line block ×4, first 2 shown]
	v_lshlrev_b32_e32 v5, 16, v5
	v_and_b32_e32 v4, 0xffff, v4
	v_lshlrev_b32_e32 v7, 16, v7
	v_and_b32_e32 v6, 0xffff, v6
	;; [unrolled: 2-line block ×4, first 2 shown]
	s_waitcnt vmcnt(5)
	v_fma_mixlo_f16 v12, s0, v12, 0
	v_fma_mixlo_f16 v13, s0, v13, 0
	;; [unrolled: 1-line block ×4, first 2 shown]
	s_waitcnt vmcnt(4)
	v_fma_mixlo_f16 v16, s0, v16, 0
	v_fma_mixlo_f16 v17, s0, v17, 0
	v_or_b32_e32 v4, v5, v4
	v_or3_b32 v5, v7, v6, 0
	v_or_b32_e32 v6, v9, v8
	v_fma_mixlo_f16 v18, s0, v18, 0
	v_fma_mixlo_f16 v19, s0, v19, 0
	v_or3_b32 v7, v11, v10, 0
	v_lshlrev_b32_e32 v8, 16, v13
	v_and_b32_e32 v9, 0xffff, v12
	v_lshlrev_b32_e32 v10, 16, v15
	v_and_b32_e32 v11, 0xffff, v14
	;; [unrolled: 2-line block ×3, first 2 shown]
	v_or3_b32 v4, 0, 0, v4
	v_or3_b32 v6, 0, 0, v6
	v_lshlrev_b32_e32 v14, 16, v19
	v_or_b32_e32 v9, v8, v9
	v_or3_b32 v8, v10, v11, 0
	v_or_b32_e32 v10, v12, v13
	ds_write2_b64 v36, v[4:5], v[6:7] offset1:32
	v_and_b32_e32 v4, 0xffff, v18
	v_or3_b32 v7, 0, 0, v9
	v_or3_b32 v5, v14, v4, 0
	;; [unrolled: 1-line block ×3, first 2 shown]
	ds_write2_b64 v36, v[7:8], v[4:5] offset0:64 offset1:96
	s_waitcnt vmcnt(3)
	v_fma_mixlo_f16 v4, s0, v20, 0
	v_fma_mixlo_f16 v5, s0, v21, 0
	v_lshlrev_b32_e32 v5, 16, v5
	v_and_b32_e32 v4, 0xffff, v4
	v_or_b32_e32 v4, v5, v4
	v_fma_mixlo_f16 v5, s0, v22, 0
	v_fma_mixlo_f16 v6, s0, v23, 0
	v_lshlrev_b32_e32 v6, 16, v6
	v_and_b32_e32 v5, 0xffff, v5
	v_or3_b32 v5, v6, v5, 0
	s_waitcnt vmcnt(2)
	v_fma_mixlo_f16 v6, s0, v24, 0
	v_fma_mixlo_f16 v7, s0, v25, 0
	v_lshlrev_b32_e32 v7, 16, v7
	v_and_b32_e32 v6, 0xffff, v6
	v_or_b32_e32 v6, v7, v6
	v_fma_mixlo_f16 v7, s0, v26, 0
	v_fma_mixlo_f16 v8, s0, v27, 0
	v_lshlrev_b32_e32 v8, 16, v8
	v_and_b32_e32 v7, 0xffff, v7
	v_or3_b32 v4, 0, 0, v4
	v_or3_b32 v7, v8, v7, 0
	;; [unrolled: 1-line block ×3, first 2 shown]
	ds_write2_b64 v36, v[4:5], v[6:7] offset0:128 offset1:160
	s_waitcnt vmcnt(1)
	v_fma_mixlo_f16 v4, s0, v28, 0
	v_fma_mixlo_f16 v5, s0, v29, 0
	v_lshlrev_b32_e32 v5, 16, v5
	v_and_b32_e32 v4, 0xffff, v4
	v_or_b32_e32 v4, v5, v4
	v_fma_mixlo_f16 v5, s0, v30, 0
	v_fma_mixlo_f16 v6, s0, v31, 0
	v_lshlrev_b32_e32 v6, 16, v6
	v_and_b32_e32 v5, 0xffff, v5
	v_or3_b32 v5, v6, v5, 0
	s_waitcnt vmcnt(0)
	v_fma_mixlo_f16 v6, s0, v32, 0
	v_fma_mixlo_f16 v7, s0, v33, 0
	v_lshlrev_b32_e32 v7, 16, v7
	v_and_b32_e32 v6, 0xffff, v6
	v_or_b32_e32 v6, v7, v6
	v_fma_mixlo_f16 v7, s0, v34, 0
	v_fma_mixlo_f16 v8, s0, v35, 0
	v_lshlrev_b32_e32 v8, 16, v8
	v_and_b32_e32 v7, 0xffff, v7
	v_or3_b32 v4, 0, 0, v4
	v_or3_b32 v7, v8, v7, 0
	;; [unrolled: 1-line block ×3, first 2 shown]
	ds_write2_b64 v36, v[4:5], v[6:7] offset0:192 offset1:224
	s_waitcnt lgkmcnt(0)
	s_barrier
	s_cbranch_scc1 .LBB13_4
; %bb.3:
	s_load_dword s0, s[4:5], 0xd0
	s_mov_b32 s1, 0
	s_waitcnt lgkmcnt(0)
	s_mul_i32 s0, s0, s33
	s_add_i32 s0, s0, s6
	s_lshl_b64 s[0:1], s[0:1], 2
	s_add_u32 s0, s22, s0
	s_addc_u32 s1, s23, s1
	s_load_dword s36, s[0:1], 0x0
.LBB13_4:
	s_lshl_b32 s6, s7, 5
	v_lshlrev_b32_e32 v51, 2, v0
	s_waitcnt lgkmcnt(0)
	s_cmp_lt_i32 s6, s36
	v_mbcnt_lo_u32_b32 v4, -1, 0
	s_cbranch_scc1 .LBB13_7
; %bb.5:
	v_mbcnt_hi_u32_b32 v77, -1, v4
	v_and_b32_e32 v5, 0x60, v77
	v_add_u32_e32 v78, 32, v5
	v_xor_b32_e32 v83, 16, v77
	v_xor_b32_e32 v82, 8, v77
	;; [unrolled: 1-line block ×5, first 2 shown]
	s_cbranch_execz .LBB13_8
; %bb.6:
	v_mov_b32_e32 v27, 0
	v_mov_b32_e32 v99, 0
	;; [unrolled: 1-line block ×24, first 2 shown]
	s_branch .LBB13_11
.LBB13_7:
                                        ; implicit-def: $vgpr77
                                        ; implicit-def: $vgpr78
                                        ; implicit-def: $vgpr83
                                        ; implicit-def: $vgpr82
                                        ; implicit-def: $vgpr81
                                        ; implicit-def: $vgpr79
                                        ; implicit-def: $vgpr80
.LBB13_8:
	s_sub_i32 s0, 0, s10
	s_mul_i32 s0, s0, s35
	buffer_store_dword v52, off, s[44:47], 0 offset:8 ; 4-byte Folded Spill
	s_mul_hi_u32 s0, s35, s0
	s_add_i32 s35, s35, s0
	s_load_dwordx2 s[12:13], s[4:5], 0x8c
	s_load_dwordx4 s[0:3], s[4:5], 0x98
	s_abs_i32 s8, s34
	s_mul_hi_u32 s28, s8, s35
	s_ashr_i32 s29, s34, 31
	s_waitcnt lgkmcnt(0)
	s_ashr_i32 s23, s12, 2
	s_ashr_i32 s22, s2, 2
	;; [unrolled: 1-line block ×4, first 2 shown]
	s_mul_hi_u32 s12, s0, s33
	s_mul_i32 s35, s0, s9
	s_add_i32 s12, s12, s35
	s_mul_i32 s1, s1, s33
	s_ashr_i32 s11, s11, 31
	s_add_i32 s12, s12, s1
	s_mul_i32 s0, s0, s33
	s_add_u32 s0, s14, s0
	s_addc_u32 s1, s15, s12
	s_mul_i32 s12, s28, s10
	s_sub_i32 s8, s8, s12
	s_xor_b32 s11, s29, s11
	s_add_i32 s12, s28, 1
	s_sub_i32 s14, s8, s10
	s_cmp_ge_u32 s8, s10
	s_cselect_b32 s12, s12, s28
	s_cselect_b32 s8, s14, s8
	s_add_i32 s14, s12, 1
	s_cmp_ge_u32 s8, s10
	s_cselect_b32 s8, s14, s12
	s_load_dwordx2 s[18:19], s[4:5], 0xa8
	s_xor_b32 s8, s8, s11
	s_sub_i32 s8, s8, s11
	s_mul_i32 s10, s8, s13
	s_ashr_i32 s11, s10, 31
	s_add_u32 s28, s0, s10
	s_addc_u32 s29, s1, s11
	s_waitcnt lgkmcnt(0)
	s_mul_hi_u32 s0, s18, s33
	s_mul_i32 s1, s18, s9
	s_add_i32 s0, s0, s1
	s_mul_i32 s1, s19, s33
	s_add_i32 s0, s0, s1
	s_mul_i32 s1, s18, s33
	s_add_u32 s1, s16, s1
	s_mul_i32 s8, s8, s3
	s_addc_u32 s0, s17, s0
	s_ashr_i32 s3, s8, 31
	s_add_u32 s35, s1, s8
	v_lshrrev_b32_e32 v5, 4, v0
	v_and_b32_e32 v13, 60, v51
	s_addc_u32 s37, s0, s3
	v_lshl_add_u32 v6, v1, 1, v5
	v_lshlrev_b32_e32 v7, 2, v13
	s_movk_i32 s0, 0x110
	v_mov_b32_e32 v9, 0x4000
	v_mad_u32_u24 v7, v6, s0, v7
	v_mad_u32_u24 v86, v0, s0, v9
	v_mad_u64_u32 v[9:10], s[0:1], v2, s2, v[0:1]
	buffer_store_dword v9, off, s[44:47], 0 ; 4-byte Folded Spill
	s_nop 0
	buffer_store_dword v10, off, s[44:47], 0 offset:4 ; 4-byte Folded Spill
	v_mul_lo_u32 v5, s23, v6
	v_mul_lo_u32 v9, s22, v1
	v_add_u32_e32 v84, 0x4000, v7
	v_add_u32_e32 v85, 0x5100, v7
	v_lshl_add_u32 v7, s23, 4, v5
	v_lshl_add_u32 v11, s22, 3, v9
	v_ashrrev_i32_e32 v6, 31, v5
	v_ashrrev_i32_e32 v8, 31, v7
	v_mov_b32_e32 v2, 0x6200
	v_lshlrev_b32_e32 v88, 2, v51
	v_ashrrev_i32_e32 v10, 31, v9
	v_ashrrev_i32_e32 v12, 31, v11
	v_mbcnt_hi_u32_b32 v77, -1, v4
	v_lshl_add_u32 v87, v1, 8, v2
	v_lshl_add_u32 v1, v1, 9, v88
	s_add_u32 s18, s4, 0xd0
	v_lshlrev_b64 v[66:67], 2, v[5:6]
	v_lshlrev_b64 v[68:69], 2, v[7:8]
	v_and_b32_e32 v2, 0x60, v77
	v_lshlrev_b64 v[70:71], 2, v[9:10]
	v_lshlrev_b64 v[72:73], 2, v[11:12]
	v_mov_b32_e32 v15, 0
	v_add_u32_e32 v89, 0x4000, v1
	v_add_u32_e32 v90, 0x5000, v1
	s_addc_u32 s19, s5, 0
	v_mov_b32_e32 v1, 0xfeffffff
	v_lshlrev_b32_e32 v91, 2, v13
	v_mov_b32_e32 v92, s39
	v_add_u32_e32 v78, 32, v2
	v_xor_b32_e32 v83, 16, v77
	v_xor_b32_e32 v82, 8, v77
	;; [unrolled: 1-line block ×5, first 2 shown]
	s_mov_b32 s39, 0x3fb8aa3b
	s_mov_b32 s40, 0xc2ce8ed0
	;; [unrolled: 1-line block ×3, first 2 shown]
	v_mov_b32_e32 v93, 0x7f800000
	s_mov_b32 s42, 0x10001
	v_add_u32_e32 v94, v87, v3
	v_add_u32_e32 v95, 0x4000, v3
	;; [unrolled: 1-line block ×5, first 2 shown]
	v_mov_b32_e32 v16, 0
	v_mov_b32_e32 v18, 0
	;; [unrolled: 1-line block ×22, first 2 shown]
.LBB13_9:                               ; =>This Inner Loop Header: Depth=1
	v_mov_b32_e32 v36, v2
	v_mov_b32_e32 v37, v1
	buffer_load_dword v1, off, s[44:47], 0  ; 4-byte Folded Reload
	buffer_load_dword v2, off, s[44:47], 0 offset:4 ; 4-byte Folded Reload
	v_cmp_lt_i32_e32 vcc, v83, v78
	v_mov_b32_e32 v35, v3
	s_mul_hi_i32 s1, s6, s23
	s_mul_i32 s0, s6, s23
	v_cndmask_b32_e32 v3, v77, v83, vcc
	v_cmp_lt_i32_e32 vcc, v82, v78
	v_mov_b32_e32 v34, v4
	v_cndmask_b32_e32 v4, v77, v82, vcc
	v_cmp_lt_i32_e32 vcc, v81, v78
	s_lshl_b64 s[0:1], s[0:1], 2
	v_cndmask_b32_e32 v5, v77, v81, vcc
	v_cmp_lt_i32_e32 vcc, v79, v78
	s_add_u32 s8, s28, s0
	v_cndmask_b32_e32 v6, v77, v79, vcc
	s_addc_u32 s0, s29, s1
	v_lshlrev_b32_e32 v47, 2, v3
	v_lshlrev_b32_e32 v44, 2, v6
	v_mov_b32_e32 v3, s0
	v_mov_b32_e32 v6, s0
	v_cmp_lt_i32_e32 vcc, v80, v78
	v_cndmask_b32_e32 v7, v77, v80, vcc
	v_lshlrev_b32_e32 v46, 2, v4
	v_lshlrev_b32_e32 v45, 2, v5
	;; [unrolled: 1-line block ×3, first 2 shown]
	v_add_co_u32_e32 v7, vcc, s8, v68
	v_addc_co_u32_e32 v6, vcc, v6, v69, vcc
	s_mul_hi_i32 s3, s6, s22
	s_mul_i32 s2, s6, s22
	s_lshl_b64 s[2:3], s[2:3], 2
	s_add_u32 s2, s35, s2
	s_addc_u32 s3, s37, s3
	v_mov_b32_e32 v31, v101
	v_mov_b32_e32 v32, v100
	;; [unrolled: 1-line block ×8, first 2 shown]
	v_max_f32_e32 v48, v37, v37
	v_max_f32_e32 v49, v36, v36
	;; [unrolled: 1-line block ×4, first 2 shown]
	s_waitcnt vmcnt(1)
	v_add_u32_e32 v1, s6, v1
	s_waitcnt vmcnt(0)
	v_ashrrev_i32_e32 v2, 31, v1
	v_lshlrev_b64 v[1:2], 1, v[1:2]
	v_add_co_u32_e64 v1, s[0:1], s38, v1
	v_addc_co_u32_e64 v2, s[0:1], v92, v2, s[0:1]
	v_add_co_u32_e64 v4, s[0:1], s8, v66
	v_addc_co_u32_e64 v5, s[0:1], v3, v67, s[0:1]
	v_add_co_u32_e64 v13, s[0:1], v4, v91
	v_add_co_u32_e32 v3, vcc, v7, v91
	v_addc_co_u32_e64 v14, s[0:1], 0, v5, s[0:1]
	v_addc_co_u32_e32 v4, vcc, 0, v6, vcc
	global_load_dwordx4 v[52:55], v[13:14], off
	global_load_dwordx4 v[56:59], v[3:4], off
	s_or_b32 s8, s6, 16
	v_mov_b32_e32 v5, s3
	v_add_co_u32_e32 v6, vcc, s2, v70
	v_mov_b32_e32 v7, s3
	v_add_co_u32_e64 v8, s[0:1], s2, v72
	s_mul_hi_i32 s3, s8, s22
	s_mul_i32 s2, s8, s22
	v_addc_co_u32_e32 v5, vcc, v5, v71, vcc
	v_addc_co_u32_e64 v7, vcc, v7, v73, s[0:1]
	v_add_co_u32_e64 v11, s[0:1], v6, v88
	s_lshl_b64 s[2:3], s[2:3], 2
	v_addc_co_u32_e64 v12, s[0:1], 0, v5, s[0:1]
	v_add_co_u32_e32 v9, vcc, v8, v88
	s_add_u32 s0, s35, s2
	v_addc_co_u32_e32 v10, vcc, 0, v7, vcc
	s_addc_u32 s1, s37, s3
	v_mov_b32_e32 v5, s1
	v_mov_b32_e32 v6, s1
	v_add_co_u32_e32 v7, vcc, s0, v72
	v_add_co_u32_e64 v8, s[0:1], s0, v70
	v_addc_co_u32_e64 v60, s[0:1], v5, v71, s[0:1]
	v_addc_co_u32_e32 v6, vcc, v6, v73, vcc
	v_add_co_u32_e32 v5, vcc, v7, v88
	v_add_co_u32_e64 v7, s[0:1], v8, v88
	v_addc_co_u32_e64 v8, s[0:1], 0, v60, s[0:1]
	v_addc_co_u32_e32 v6, vcc, 0, v6, vcc
	s_waitcnt vmcnt(1)
	ds_write_b128 v84, v[52:55]
	s_waitcnt vmcnt(0)
	ds_write_b128 v85, v[56:59]
	s_waitcnt lgkmcnt(0)
	s_barrier
	ds_read_b128 v[52:55], v86
	ds_read_b128 v[56:59], v76
	ds_read_b128 v[60:63], v76 offset:512
	ds_read_b128 v[99:102], v76 offset:1024
	ds_read_b128 v[103:106], v76 offset:1536
	s_waitcnt lgkmcnt(3)
	;;#ASMSTART
	v_dot2_f32_f16 v38, v52, v56, v38
	;;#ASMEND
	;;#ASMSTART
	v_dot2_f32_f16 v38, v53, v57, v38
	;;#ASMEND
	;;#ASMSTART
	v_dot2_f32_f16 v38, v54, v58, v38
	;;#ASMEND
	;;#ASMSTART
	v_dot2_f32_f16 v38, v55, v59, v38
	;;#ASMEND
	s_waitcnt lgkmcnt(2)
	;;#ASMSTART
	v_dot2_f32_f16 v39, v52, v60, v39
	;;#ASMEND
	;;#ASMSTART
	v_dot2_f32_f16 v39, v53, v61, v39
	;;#ASMEND
	;;#ASMSTART
	v_dot2_f32_f16 v39, v54, v62, v39
	;;#ASMEND
	;;#ASMSTART
	v_dot2_f32_f16 v39, v55, v63, v39
	;;#ASMEND
	s_waitcnt lgkmcnt(1)
	;;#ASMSTART
	v_dot2_f32_f16 v40, v52, v99, v40
	;;#ASMEND
	;;#ASMSTART
	v_dot2_f32_f16 v40, v53, v100, v40
	;;#ASMEND
	;;#ASMSTART
	v_dot2_f32_f16 v40, v54, v101, v40
	;;#ASMEND
	;;#ASMSTART
	v_dot2_f32_f16 v40, v55, v102, v40
	;;#ASMEND
	s_waitcnt lgkmcnt(0)
	;;#ASMSTART
	v_dot2_f32_f16 v41, v52, v103, v41
	;;#ASMEND
	;;#ASMSTART
	v_dot2_f32_f16 v41, v53, v104, v41
	;;#ASMEND
	;;#ASMSTART
	v_dot2_f32_f16 v41, v54, v105, v41
	;;#ASMEND
	;;#ASMSTART
	v_dot2_f32_f16 v41, v55, v106, v41
	;;#ASMEND
	ds_read_b128 v[52:55], v86 offset:16
	ds_read_b128 v[56:59], v76 offset:16
	ds_read_b128 v[60:63], v76 offset:528
	ds_read_b128 v[99:102], v76 offset:1040
	ds_read_b128 v[103:106], v76 offset:1552
	s_waitcnt lgkmcnt(3)
	;;#ASMSTART
	v_dot2_f32_f16 v38, v52, v56, v38
	;;#ASMEND
	;;#ASMSTART
	v_dot2_f32_f16 v38, v53, v57, v38
	;;#ASMEND
	;;#ASMSTART
	v_dot2_f32_f16 v38, v54, v58, v38
	;;#ASMEND
	;;#ASMSTART
	v_dot2_f32_f16 v38, v55, v59, v38
	;;#ASMEND
	s_waitcnt lgkmcnt(2)
	;;#ASMSTART
	v_dot2_f32_f16 v39, v52, v60, v39
	;;#ASMEND
	;;#ASMSTART
	v_dot2_f32_f16 v39, v53, v61, v39
	;;#ASMEND
	;;#ASMSTART
	v_dot2_f32_f16 v39, v54, v62, v39
	;;#ASMEND
	;;#ASMSTART
	v_dot2_f32_f16 v39, v55, v63, v39
	;;#ASMEND
	s_waitcnt lgkmcnt(1)
	;;#ASMSTART
	v_dot2_f32_f16 v40, v52, v99, v40
	;;#ASMEND
	;;#ASMSTART
	v_dot2_f32_f16 v40, v53, v100, v40
	;;#ASMEND
	;;#ASMSTART
	v_dot2_f32_f16 v40, v54, v101, v40
	;;#ASMEND
	;;#ASMSTART
	v_dot2_f32_f16 v40, v55, v102, v40
	;;#ASMEND
	s_waitcnt lgkmcnt(0)
	;;#ASMSTART
	v_dot2_f32_f16 v41, v52, v103, v41
	;;#ASMEND
	;;#ASMSTART
	v_dot2_f32_f16 v41, v53, v104, v41
	;;#ASMEND
	;;#ASMSTART
	v_dot2_f32_f16 v41, v54, v105, v41
	;;#ASMEND
	;;#ASMSTART
	v_dot2_f32_f16 v41, v55, v106, v41
	;;#ASMEND
	ds_read_b128 v[52:55], v86 offset:32
	ds_read_b128 v[56:59], v76 offset:32
	;; [unrolled: 57-line block ×15, first 2 shown]
	ds_read_b128 v[60:63], v76 offset:752
	ds_read_b128 v[99:102], v76 offset:1264
	;; [unrolled: 1-line block ×3, first 2 shown]
	s_waitcnt lgkmcnt(3)
	;;#ASMSTART
	v_dot2_f32_f16 v38, v52, v56, v38
	;;#ASMEND
	;;#ASMSTART
	v_dot2_f32_f16 v38, v53, v57, v38
	;;#ASMEND
	;;#ASMSTART
	v_dot2_f32_f16 v38, v54, v58, v38
	;;#ASMEND
	;;#ASMSTART
	v_dot2_f32_f16 v38, v55, v59, v38
	;;#ASMEND
	s_waitcnt lgkmcnt(2)
	;;#ASMSTART
	v_dot2_f32_f16 v39, v52, v60, v39
	;;#ASMEND
	;;#ASMSTART
	v_dot2_f32_f16 v39, v53, v61, v39
	;;#ASMEND
	;;#ASMSTART
	v_dot2_f32_f16 v39, v54, v62, v39
	;;#ASMEND
	;;#ASMSTART
	v_dot2_f32_f16 v39, v55, v63, v39
	;;#ASMEND
	;; [unrolled: 13-line block ×4, first 2 shown]
	s_barrier
	global_load_dwordx4 v[52:55], v[13:14], off offset:256
	global_load_dwordx4 v[56:59], v[3:4], off offset:256
	s_waitcnt vmcnt(1)
	ds_write_b128 v84, v[52:55]
	s_waitcnt vmcnt(0)
	ds_write_b128 v85, v[56:59]
	s_waitcnt lgkmcnt(0)
	s_barrier
	ds_read_b128 v[52:55], v86
	ds_read_b128 v[56:59], v76 offset:256
	ds_read_b128 v[60:63], v76 offset:768
	ds_read_b128 v[99:102], v76 offset:1280
	ds_read_b128 v[103:106], v76 offset:1792
	s_waitcnt lgkmcnt(3)
	;;#ASMSTART
	v_dot2_f32_f16 v38, v52, v56, v38
	;;#ASMEND
	;;#ASMSTART
	v_dot2_f32_f16 v38, v53, v57, v38
	;;#ASMEND
	;;#ASMSTART
	v_dot2_f32_f16 v38, v54, v58, v38
	;;#ASMEND
	;;#ASMSTART
	v_dot2_f32_f16 v38, v55, v59, v38
	;;#ASMEND
	s_waitcnt lgkmcnt(2)
	;;#ASMSTART
	v_dot2_f32_f16 v39, v52, v60, v39
	;;#ASMEND
	;;#ASMSTART
	v_dot2_f32_f16 v39, v53, v61, v39
	;;#ASMEND
	;;#ASMSTART
	v_dot2_f32_f16 v39, v54, v62, v39
	;;#ASMEND
	;;#ASMSTART
	v_dot2_f32_f16 v39, v55, v63, v39
	;;#ASMEND
	s_waitcnt lgkmcnt(1)
	;;#ASMSTART
	v_dot2_f32_f16 v40, v52, v99, v40
	;;#ASMEND
	;;#ASMSTART
	v_dot2_f32_f16 v40, v53, v100, v40
	;;#ASMEND
	;;#ASMSTART
	v_dot2_f32_f16 v40, v54, v101, v40
	;;#ASMEND
	;;#ASMSTART
	v_dot2_f32_f16 v40, v55, v102, v40
	;;#ASMEND
	s_waitcnt lgkmcnt(0)
	;;#ASMSTART
	v_dot2_f32_f16 v41, v52, v103, v41
	;;#ASMEND
	;;#ASMSTART
	v_dot2_f32_f16 v41, v53, v104, v41
	;;#ASMEND
	;;#ASMSTART
	v_dot2_f32_f16 v41, v54, v105, v41
	;;#ASMEND
	;;#ASMSTART
	v_dot2_f32_f16 v41, v55, v106, v41
	;;#ASMEND
	ds_read_b128 v[52:55], v86 offset:16
	ds_read_b128 v[56:59], v76 offset:272
	ds_read_b128 v[60:63], v76 offset:784
	ds_read_b128 v[99:102], v76 offset:1296
	ds_read_b128 v[103:106], v76 offset:1808
	s_waitcnt lgkmcnt(3)
	;;#ASMSTART
	v_dot2_f32_f16 v38, v52, v56, v38
	;;#ASMEND
	;;#ASMSTART
	v_dot2_f32_f16 v38, v53, v57, v38
	;;#ASMEND
	;;#ASMSTART
	v_dot2_f32_f16 v38, v54, v58, v38
	;;#ASMEND
	;;#ASMSTART
	v_dot2_f32_f16 v38, v55, v59, v38
	;;#ASMEND
	s_waitcnt lgkmcnt(2)
	;;#ASMSTART
	v_dot2_f32_f16 v39, v52, v60, v39
	;;#ASMEND
	;;#ASMSTART
	v_dot2_f32_f16 v39, v53, v61, v39
	;;#ASMEND
	;;#ASMSTART
	v_dot2_f32_f16 v39, v54, v62, v39
	;;#ASMEND
	;;#ASMSTART
	v_dot2_f32_f16 v39, v55, v63, v39
	;;#ASMEND
	s_waitcnt lgkmcnt(1)
	;;#ASMSTART
	v_dot2_f32_f16 v40, v52, v99, v40
	;;#ASMEND
	;;#ASMSTART
	v_dot2_f32_f16 v40, v53, v100, v40
	;;#ASMEND
	;;#ASMSTART
	v_dot2_f32_f16 v40, v54, v101, v40
	;;#ASMEND
	;;#ASMSTART
	v_dot2_f32_f16 v40, v55, v102, v40
	;;#ASMEND
	s_waitcnt lgkmcnt(0)
	;;#ASMSTART
	v_dot2_f32_f16 v41, v52, v103, v41
	;;#ASMEND
	;;#ASMSTART
	v_dot2_f32_f16 v41, v53, v104, v41
	;;#ASMEND
	;;#ASMSTART
	v_dot2_f32_f16 v41, v54, v105, v41
	;;#ASMEND
	;;#ASMSTART
	v_dot2_f32_f16 v41, v55, v106, v41
	;;#ASMEND
	ds_read_b128 v[52:55], v86 offset:32
	ds_read_b128 v[56:59], v76 offset:288
	ds_read_b128 v[60:63], v76 offset:800
	ds_read_b128 v[99:102], v76 offset:1312
	ds_read_b128 v[103:106], v76 offset:1824
	s_waitcnt lgkmcnt(3)
	;;#ASMSTART
	v_dot2_f32_f16 v38, v52, v56, v38
	;;#ASMEND
	;;#ASMSTART
	v_dot2_f32_f16 v38, v53, v57, v38
	;;#ASMEND
	;;#ASMSTART
	v_dot2_f32_f16 v38, v54, v58, v38
	;;#ASMEND
	;;#ASMSTART
	v_dot2_f32_f16 v38, v55, v59, v38
	;;#ASMEND
	s_waitcnt lgkmcnt(2)
	;;#ASMSTART
	v_dot2_f32_f16 v39, v52, v60, v39
	;;#ASMEND
	;;#ASMSTART
	v_dot2_f32_f16 v39, v53, v61, v39
	;;#ASMEND
	;;#ASMSTART
	v_dot2_f32_f16 v39, v54, v62, v39
	;;#ASMEND
	;;#ASMSTART
	v_dot2_f32_f16 v39, v55, v63, v39
	;;#ASMEND
	s_waitcnt lgkmcnt(1)
	;;#ASMSTART
	v_dot2_f32_f16 v40, v52, v99, v40
	;;#ASMEND
	;;#ASMSTART
	v_dot2_f32_f16 v40, v53, v100, v40
	;;#ASMEND
	;;#ASMSTART
	v_dot2_f32_f16 v40, v54, v101, v40
	;;#ASMEND
	;;#ASMSTART
	v_dot2_f32_f16 v40, v55, v102, v40
	;;#ASMEND
	s_waitcnt lgkmcnt(0)
	;;#ASMSTART
	v_dot2_f32_f16 v41, v52, v103, v41
	;;#ASMEND
	;;#ASMSTART
	v_dot2_f32_f16 v41, v53, v104, v41
	;;#ASMEND
	;;#ASMSTART
	v_dot2_f32_f16 v41, v54, v105, v41
	;;#ASMEND
	;;#ASMSTART
	v_dot2_f32_f16 v41, v55, v106, v41
	;;#ASMEND
	ds_read_b128 v[52:55], v86 offset:48
	ds_read_b128 v[56:59], v76 offset:304
	ds_read_b128 v[60:63], v76 offset:816
	ds_read_b128 v[99:102], v76 offset:1328
	ds_read_b128 v[103:106], v76 offset:1840
	s_waitcnt lgkmcnt(3)
	;;#ASMSTART
	v_dot2_f32_f16 v38, v52, v56, v38
	;;#ASMEND
	;;#ASMSTART
	v_dot2_f32_f16 v38, v53, v57, v38
	;;#ASMEND
	;;#ASMSTART
	v_dot2_f32_f16 v38, v54, v58, v38
	;;#ASMEND
	;;#ASMSTART
	v_dot2_f32_f16 v38, v55, v59, v38
	;;#ASMEND
	s_waitcnt lgkmcnt(2)
	;;#ASMSTART
	v_dot2_f32_f16 v39, v52, v60, v39
	;;#ASMEND
	;;#ASMSTART
	v_dot2_f32_f16 v39, v53, v61, v39
	;;#ASMEND
	;;#ASMSTART
	v_dot2_f32_f16 v39, v54, v62, v39
	;;#ASMEND
	;;#ASMSTART
	v_dot2_f32_f16 v39, v55, v63, v39
	;;#ASMEND
	s_waitcnt lgkmcnt(1)
	;;#ASMSTART
	v_dot2_f32_f16 v40, v52, v99, v40
	;;#ASMEND
	;;#ASMSTART
	v_dot2_f32_f16 v40, v53, v100, v40
	;;#ASMEND
	;;#ASMSTART
	v_dot2_f32_f16 v40, v54, v101, v40
	;;#ASMEND
	;;#ASMSTART
	v_dot2_f32_f16 v40, v55, v102, v40
	;;#ASMEND
	s_waitcnt lgkmcnt(0)
	;;#ASMSTART
	v_dot2_f32_f16 v41, v52, v103, v41
	;;#ASMEND
	;;#ASMSTART
	v_dot2_f32_f16 v41, v53, v104, v41
	;;#ASMEND
	;;#ASMSTART
	v_dot2_f32_f16 v41, v54, v105, v41
	;;#ASMEND
	;;#ASMSTART
	v_dot2_f32_f16 v41, v55, v106, v41
	;;#ASMEND
	ds_read_b128 v[52:55], v86 offset:64
	ds_read_b128 v[56:59], v76 offset:320
	ds_read_b128 v[60:63], v76 offset:832
	ds_read_b128 v[99:102], v76 offset:1344
	ds_read_b128 v[103:106], v76 offset:1856
	s_waitcnt lgkmcnt(3)
	;;#ASMSTART
	v_dot2_f32_f16 v38, v52, v56, v38
	;;#ASMEND
	;;#ASMSTART
	v_dot2_f32_f16 v38, v53, v57, v38
	;;#ASMEND
	;;#ASMSTART
	v_dot2_f32_f16 v38, v54, v58, v38
	;;#ASMEND
	;;#ASMSTART
	v_dot2_f32_f16 v38, v55, v59, v38
	;;#ASMEND
	s_waitcnt lgkmcnt(2)
	;;#ASMSTART
	v_dot2_f32_f16 v39, v52, v60, v39
	;;#ASMEND
	;;#ASMSTART
	v_dot2_f32_f16 v39, v53, v61, v39
	;;#ASMEND
	;;#ASMSTART
	v_dot2_f32_f16 v39, v54, v62, v39
	;;#ASMEND
	;;#ASMSTART
	v_dot2_f32_f16 v39, v55, v63, v39
	;;#ASMEND
	s_waitcnt lgkmcnt(1)
	;;#ASMSTART
	v_dot2_f32_f16 v40, v52, v99, v40
	;;#ASMEND
	;;#ASMSTART
	v_dot2_f32_f16 v40, v53, v100, v40
	;;#ASMEND
	;;#ASMSTART
	v_dot2_f32_f16 v40, v54, v101, v40
	;;#ASMEND
	;;#ASMSTART
	v_dot2_f32_f16 v40, v55, v102, v40
	;;#ASMEND
	s_waitcnt lgkmcnt(0)
	;;#ASMSTART
	v_dot2_f32_f16 v41, v52, v103, v41
	;;#ASMEND
	;;#ASMSTART
	v_dot2_f32_f16 v41, v53, v104, v41
	;;#ASMEND
	;;#ASMSTART
	v_dot2_f32_f16 v41, v54, v105, v41
	;;#ASMEND
	;;#ASMSTART
	v_dot2_f32_f16 v41, v55, v106, v41
	;;#ASMEND
	ds_read_b128 v[52:55], v86 offset:80
	ds_read_b128 v[56:59], v76 offset:336
	ds_read_b128 v[60:63], v76 offset:848
	ds_read_b128 v[99:102], v76 offset:1360
	ds_read_b128 v[103:106], v76 offset:1872
	s_waitcnt lgkmcnt(3)
	;;#ASMSTART
	v_dot2_f32_f16 v38, v52, v56, v38
	;;#ASMEND
	;;#ASMSTART
	v_dot2_f32_f16 v38, v53, v57, v38
	;;#ASMEND
	;;#ASMSTART
	v_dot2_f32_f16 v38, v54, v58, v38
	;;#ASMEND
	;;#ASMSTART
	v_dot2_f32_f16 v38, v55, v59, v38
	;;#ASMEND
	s_waitcnt lgkmcnt(2)
	;;#ASMSTART
	v_dot2_f32_f16 v39, v52, v60, v39
	;;#ASMEND
	;;#ASMSTART
	v_dot2_f32_f16 v39, v53, v61, v39
	;;#ASMEND
	;;#ASMSTART
	v_dot2_f32_f16 v39, v54, v62, v39
	;;#ASMEND
	;;#ASMSTART
	v_dot2_f32_f16 v39, v55, v63, v39
	;;#ASMEND
	s_waitcnt lgkmcnt(1)
	;;#ASMSTART
	v_dot2_f32_f16 v40, v52, v99, v40
	;;#ASMEND
	;;#ASMSTART
	v_dot2_f32_f16 v40, v53, v100, v40
	;;#ASMEND
	;;#ASMSTART
	v_dot2_f32_f16 v40, v54, v101, v40
	;;#ASMEND
	;;#ASMSTART
	v_dot2_f32_f16 v40, v55, v102, v40
	;;#ASMEND
	s_waitcnt lgkmcnt(0)
	;;#ASMSTART
	v_dot2_f32_f16 v41, v52, v103, v41
	;;#ASMEND
	;;#ASMSTART
	v_dot2_f32_f16 v41, v53, v104, v41
	;;#ASMEND
	;;#ASMSTART
	v_dot2_f32_f16 v41, v54, v105, v41
	;;#ASMEND
	;;#ASMSTART
	v_dot2_f32_f16 v41, v55, v106, v41
	;;#ASMEND
	ds_read_b128 v[52:55], v86 offset:96
	ds_read_b128 v[56:59], v76 offset:352
	ds_read_b128 v[60:63], v76 offset:864
	ds_read_b128 v[99:102], v76 offset:1376
	ds_read_b128 v[103:106], v76 offset:1888
	s_waitcnt lgkmcnt(3)
	;;#ASMSTART
	v_dot2_f32_f16 v38, v52, v56, v38
	;;#ASMEND
	;;#ASMSTART
	v_dot2_f32_f16 v38, v53, v57, v38
	;;#ASMEND
	;;#ASMSTART
	v_dot2_f32_f16 v38, v54, v58, v38
	;;#ASMEND
	;;#ASMSTART
	v_dot2_f32_f16 v38, v55, v59, v38
	;;#ASMEND
	s_waitcnt lgkmcnt(2)
	;;#ASMSTART
	v_dot2_f32_f16 v39, v52, v60, v39
	;;#ASMEND
	;;#ASMSTART
	v_dot2_f32_f16 v39, v53, v61, v39
	;;#ASMEND
	;;#ASMSTART
	v_dot2_f32_f16 v39, v54, v62, v39
	;;#ASMEND
	;;#ASMSTART
	v_dot2_f32_f16 v39, v55, v63, v39
	;;#ASMEND
	s_waitcnt lgkmcnt(1)
	;;#ASMSTART
	v_dot2_f32_f16 v40, v52, v99, v40
	;;#ASMEND
	;;#ASMSTART
	v_dot2_f32_f16 v40, v53, v100, v40
	;;#ASMEND
	;;#ASMSTART
	v_dot2_f32_f16 v40, v54, v101, v40
	;;#ASMEND
	;;#ASMSTART
	v_dot2_f32_f16 v40, v55, v102, v40
	;;#ASMEND
	s_waitcnt lgkmcnt(0)
	;;#ASMSTART
	v_dot2_f32_f16 v41, v52, v103, v41
	;;#ASMEND
	;;#ASMSTART
	v_dot2_f32_f16 v41, v53, v104, v41
	;;#ASMEND
	;;#ASMSTART
	v_dot2_f32_f16 v41, v54, v105, v41
	;;#ASMEND
	;;#ASMSTART
	v_dot2_f32_f16 v41, v55, v106, v41
	;;#ASMEND
	ds_read_b128 v[52:55], v86 offset:112
	ds_read_b128 v[56:59], v76 offset:368
	ds_read_b128 v[60:63], v76 offset:880
	ds_read_b128 v[99:102], v76 offset:1392
	ds_read_b128 v[103:106], v76 offset:1904
	s_waitcnt lgkmcnt(3)
	;;#ASMSTART
	v_dot2_f32_f16 v38, v52, v56, v38
	;;#ASMEND
	;;#ASMSTART
	v_dot2_f32_f16 v38, v53, v57, v38
	;;#ASMEND
	;;#ASMSTART
	v_dot2_f32_f16 v38, v54, v58, v38
	;;#ASMEND
	;;#ASMSTART
	v_dot2_f32_f16 v38, v55, v59, v38
	;;#ASMEND
	s_waitcnt lgkmcnt(2)
	;;#ASMSTART
	v_dot2_f32_f16 v39, v52, v60, v39
	;;#ASMEND
	;;#ASMSTART
	v_dot2_f32_f16 v39, v53, v61, v39
	;;#ASMEND
	;;#ASMSTART
	v_dot2_f32_f16 v39, v54, v62, v39
	;;#ASMEND
	;;#ASMSTART
	v_dot2_f32_f16 v39, v55, v63, v39
	;;#ASMEND
	s_waitcnt lgkmcnt(1)
	;;#ASMSTART
	v_dot2_f32_f16 v40, v52, v99, v40
	;;#ASMEND
	;;#ASMSTART
	v_dot2_f32_f16 v40, v53, v100, v40
	;;#ASMEND
	;;#ASMSTART
	v_dot2_f32_f16 v40, v54, v101, v40
	;;#ASMEND
	;;#ASMSTART
	v_dot2_f32_f16 v40, v55, v102, v40
	;;#ASMEND
	s_waitcnt lgkmcnt(0)
	;;#ASMSTART
	v_dot2_f32_f16 v41, v52, v103, v41
	;;#ASMEND
	;;#ASMSTART
	v_dot2_f32_f16 v41, v53, v104, v41
	;;#ASMEND
	;;#ASMSTART
	v_dot2_f32_f16 v41, v54, v105, v41
	;;#ASMEND
	;;#ASMSTART
	v_dot2_f32_f16 v41, v55, v106, v41
	;;#ASMEND
	ds_read_b128 v[52:55], v86 offset:128
	ds_read_b128 v[56:59], v76 offset:384
	ds_read_b128 v[60:63], v76 offset:896
	ds_read_b128 v[99:102], v76 offset:1408
	ds_read_b128 v[103:106], v76 offset:1920
	s_waitcnt lgkmcnt(3)
	;;#ASMSTART
	v_dot2_f32_f16 v38, v52, v56, v38
	;;#ASMEND
	;;#ASMSTART
	v_dot2_f32_f16 v38, v53, v57, v38
	;;#ASMEND
	;;#ASMSTART
	v_dot2_f32_f16 v38, v54, v58, v38
	;;#ASMEND
	;;#ASMSTART
	v_dot2_f32_f16 v38, v55, v59, v38
	;;#ASMEND
	s_waitcnt lgkmcnt(2)
	;;#ASMSTART
	v_dot2_f32_f16 v39, v52, v60, v39
	;;#ASMEND
	;;#ASMSTART
	v_dot2_f32_f16 v39, v53, v61, v39
	;;#ASMEND
	;;#ASMSTART
	v_dot2_f32_f16 v39, v54, v62, v39
	;;#ASMEND
	;;#ASMSTART
	v_dot2_f32_f16 v39, v55, v63, v39
	;;#ASMEND
	s_waitcnt lgkmcnt(1)
	;;#ASMSTART
	v_dot2_f32_f16 v40, v52, v99, v40
	;;#ASMEND
	;;#ASMSTART
	v_dot2_f32_f16 v40, v53, v100, v40
	;;#ASMEND
	;;#ASMSTART
	v_dot2_f32_f16 v40, v54, v101, v40
	;;#ASMEND
	;;#ASMSTART
	v_dot2_f32_f16 v40, v55, v102, v40
	;;#ASMEND
	s_waitcnt lgkmcnt(0)
	;;#ASMSTART
	v_dot2_f32_f16 v41, v52, v103, v41
	;;#ASMEND
	;;#ASMSTART
	v_dot2_f32_f16 v41, v53, v104, v41
	;;#ASMEND
	;;#ASMSTART
	v_dot2_f32_f16 v41, v54, v105, v41
	;;#ASMEND
	;;#ASMSTART
	v_dot2_f32_f16 v41, v55, v106, v41
	;;#ASMEND
	ds_read_b128 v[52:55], v86 offset:144
	ds_read_b128 v[56:59], v76 offset:400
	ds_read_b128 v[60:63], v76 offset:912
	ds_read_b128 v[99:102], v76 offset:1424
	ds_read_b128 v[103:106], v76 offset:1936
	s_waitcnt lgkmcnt(3)
	;;#ASMSTART
	v_dot2_f32_f16 v38, v52, v56, v38
	;;#ASMEND
	;;#ASMSTART
	v_dot2_f32_f16 v38, v53, v57, v38
	;;#ASMEND
	;;#ASMSTART
	v_dot2_f32_f16 v38, v54, v58, v38
	;;#ASMEND
	;;#ASMSTART
	v_dot2_f32_f16 v38, v55, v59, v38
	;;#ASMEND
	s_waitcnt lgkmcnt(2)
	;;#ASMSTART
	v_dot2_f32_f16 v39, v52, v60, v39
	;;#ASMEND
	;;#ASMSTART
	v_dot2_f32_f16 v39, v53, v61, v39
	;;#ASMEND
	;;#ASMSTART
	v_dot2_f32_f16 v39, v54, v62, v39
	;;#ASMEND
	;;#ASMSTART
	v_dot2_f32_f16 v39, v55, v63, v39
	;;#ASMEND
	s_waitcnt lgkmcnt(1)
	;;#ASMSTART
	v_dot2_f32_f16 v40, v52, v99, v40
	;;#ASMEND
	;;#ASMSTART
	v_dot2_f32_f16 v40, v53, v100, v40
	;;#ASMEND
	;;#ASMSTART
	v_dot2_f32_f16 v40, v54, v101, v40
	;;#ASMEND
	;;#ASMSTART
	v_dot2_f32_f16 v40, v55, v102, v40
	;;#ASMEND
	s_waitcnt lgkmcnt(0)
	;;#ASMSTART
	v_dot2_f32_f16 v41, v52, v103, v41
	;;#ASMEND
	;;#ASMSTART
	v_dot2_f32_f16 v41, v53, v104, v41
	;;#ASMEND
	;;#ASMSTART
	v_dot2_f32_f16 v41, v54, v105, v41
	;;#ASMEND
	;;#ASMSTART
	v_dot2_f32_f16 v41, v55, v106, v41
	;;#ASMEND
	ds_read_b128 v[52:55], v86 offset:160
	ds_read_b128 v[56:59], v76 offset:416
	ds_read_b128 v[60:63], v76 offset:928
	ds_read_b128 v[99:102], v76 offset:1440
	ds_read_b128 v[103:106], v76 offset:1952
	s_waitcnt lgkmcnt(3)
	;;#ASMSTART
	v_dot2_f32_f16 v38, v52, v56, v38
	;;#ASMEND
	;;#ASMSTART
	v_dot2_f32_f16 v38, v53, v57, v38
	;;#ASMEND
	;;#ASMSTART
	v_dot2_f32_f16 v38, v54, v58, v38
	;;#ASMEND
	;;#ASMSTART
	v_dot2_f32_f16 v38, v55, v59, v38
	;;#ASMEND
	s_waitcnt lgkmcnt(2)
	;;#ASMSTART
	v_dot2_f32_f16 v39, v52, v60, v39
	;;#ASMEND
	;;#ASMSTART
	v_dot2_f32_f16 v39, v53, v61, v39
	;;#ASMEND
	;;#ASMSTART
	v_dot2_f32_f16 v39, v54, v62, v39
	;;#ASMEND
	;;#ASMSTART
	v_dot2_f32_f16 v39, v55, v63, v39
	;;#ASMEND
	s_waitcnt lgkmcnt(1)
	;;#ASMSTART
	v_dot2_f32_f16 v40, v52, v99, v40
	;;#ASMEND
	;;#ASMSTART
	v_dot2_f32_f16 v40, v53, v100, v40
	;;#ASMEND
	;;#ASMSTART
	v_dot2_f32_f16 v40, v54, v101, v40
	;;#ASMEND
	;;#ASMSTART
	v_dot2_f32_f16 v40, v55, v102, v40
	;;#ASMEND
	s_waitcnt lgkmcnt(0)
	;;#ASMSTART
	v_dot2_f32_f16 v41, v52, v103, v41
	;;#ASMEND
	;;#ASMSTART
	v_dot2_f32_f16 v41, v53, v104, v41
	;;#ASMEND
	;;#ASMSTART
	v_dot2_f32_f16 v41, v54, v105, v41
	;;#ASMEND
	;;#ASMSTART
	v_dot2_f32_f16 v41, v55, v106, v41
	;;#ASMEND
	ds_read_b128 v[52:55], v86 offset:176
	ds_read_b128 v[56:59], v76 offset:432
	ds_read_b128 v[60:63], v76 offset:944
	ds_read_b128 v[99:102], v76 offset:1456
	ds_read_b128 v[103:106], v76 offset:1968
	s_waitcnt lgkmcnt(3)
	;;#ASMSTART
	v_dot2_f32_f16 v38, v52, v56, v38
	;;#ASMEND
	;;#ASMSTART
	v_dot2_f32_f16 v38, v53, v57, v38
	;;#ASMEND
	;;#ASMSTART
	v_dot2_f32_f16 v38, v54, v58, v38
	;;#ASMEND
	;;#ASMSTART
	v_dot2_f32_f16 v38, v55, v59, v38
	;;#ASMEND
	s_waitcnt lgkmcnt(2)
	;;#ASMSTART
	v_dot2_f32_f16 v39, v52, v60, v39
	;;#ASMEND
	;;#ASMSTART
	v_dot2_f32_f16 v39, v53, v61, v39
	;;#ASMEND
	;;#ASMSTART
	v_dot2_f32_f16 v39, v54, v62, v39
	;;#ASMEND
	;;#ASMSTART
	v_dot2_f32_f16 v39, v55, v63, v39
	;;#ASMEND
	s_waitcnt lgkmcnt(1)
	;;#ASMSTART
	v_dot2_f32_f16 v40, v52, v99, v40
	;;#ASMEND
	;;#ASMSTART
	v_dot2_f32_f16 v40, v53, v100, v40
	;;#ASMEND
	;;#ASMSTART
	v_dot2_f32_f16 v40, v54, v101, v40
	;;#ASMEND
	;;#ASMSTART
	v_dot2_f32_f16 v40, v55, v102, v40
	;;#ASMEND
	s_waitcnt lgkmcnt(0)
	;;#ASMSTART
	v_dot2_f32_f16 v41, v52, v103, v41
	;;#ASMEND
	;;#ASMSTART
	v_dot2_f32_f16 v41, v53, v104, v41
	;;#ASMEND
	;;#ASMSTART
	v_dot2_f32_f16 v41, v54, v105, v41
	;;#ASMEND
	;;#ASMSTART
	v_dot2_f32_f16 v41, v55, v106, v41
	;;#ASMEND
	ds_read_b128 v[52:55], v86 offset:192
	ds_read_b128 v[56:59], v76 offset:448
	ds_read_b128 v[60:63], v76 offset:960
	ds_read_b128 v[99:102], v76 offset:1472
	ds_read_b128 v[103:106], v76 offset:1984
	s_waitcnt lgkmcnt(3)
	;;#ASMSTART
	v_dot2_f32_f16 v38, v52, v56, v38
	;;#ASMEND
	;;#ASMSTART
	v_dot2_f32_f16 v38, v53, v57, v38
	;;#ASMEND
	;;#ASMSTART
	v_dot2_f32_f16 v38, v54, v58, v38
	;;#ASMEND
	;;#ASMSTART
	v_dot2_f32_f16 v38, v55, v59, v38
	;;#ASMEND
	s_waitcnt lgkmcnt(2)
	;;#ASMSTART
	v_dot2_f32_f16 v39, v52, v60, v39
	;;#ASMEND
	;;#ASMSTART
	v_dot2_f32_f16 v39, v53, v61, v39
	;;#ASMEND
	;;#ASMSTART
	v_dot2_f32_f16 v39, v54, v62, v39
	;;#ASMEND
	;;#ASMSTART
	v_dot2_f32_f16 v39, v55, v63, v39
	;;#ASMEND
	s_waitcnt lgkmcnt(1)
	;;#ASMSTART
	v_dot2_f32_f16 v40, v52, v99, v40
	;;#ASMEND
	;;#ASMSTART
	v_dot2_f32_f16 v40, v53, v100, v40
	;;#ASMEND
	;;#ASMSTART
	v_dot2_f32_f16 v40, v54, v101, v40
	;;#ASMEND
	;;#ASMSTART
	v_dot2_f32_f16 v40, v55, v102, v40
	;;#ASMEND
	s_waitcnt lgkmcnt(0)
	;;#ASMSTART
	v_dot2_f32_f16 v41, v52, v103, v41
	;;#ASMEND
	;;#ASMSTART
	v_dot2_f32_f16 v41, v53, v104, v41
	;;#ASMEND
	;;#ASMSTART
	v_dot2_f32_f16 v41, v54, v105, v41
	;;#ASMEND
	;;#ASMSTART
	v_dot2_f32_f16 v41, v55, v106, v41
	;;#ASMEND
	ds_read_b128 v[52:55], v86 offset:208
	ds_read_b128 v[56:59], v76 offset:464
	ds_read_b128 v[60:63], v76 offset:976
	ds_read_b128 v[99:102], v76 offset:1488
	ds_read_b128 v[103:106], v76 offset:2000
	s_waitcnt lgkmcnt(3)
	;;#ASMSTART
	v_dot2_f32_f16 v38, v52, v56, v38
	;;#ASMEND
	;;#ASMSTART
	v_dot2_f32_f16 v38, v53, v57, v38
	;;#ASMEND
	;;#ASMSTART
	v_dot2_f32_f16 v38, v54, v58, v38
	;;#ASMEND
	;;#ASMSTART
	v_dot2_f32_f16 v38, v55, v59, v38
	;;#ASMEND
	s_waitcnt lgkmcnt(2)
	;;#ASMSTART
	v_dot2_f32_f16 v39, v52, v60, v39
	;;#ASMEND
	;;#ASMSTART
	v_dot2_f32_f16 v39, v53, v61, v39
	;;#ASMEND
	;;#ASMSTART
	v_dot2_f32_f16 v39, v54, v62, v39
	;;#ASMEND
	;;#ASMSTART
	v_dot2_f32_f16 v39, v55, v63, v39
	;;#ASMEND
	s_waitcnt lgkmcnt(1)
	;;#ASMSTART
	v_dot2_f32_f16 v40, v52, v99, v40
	;;#ASMEND
	;;#ASMSTART
	v_dot2_f32_f16 v40, v53, v100, v40
	;;#ASMEND
	;;#ASMSTART
	v_dot2_f32_f16 v40, v54, v101, v40
	;;#ASMEND
	;;#ASMSTART
	v_dot2_f32_f16 v40, v55, v102, v40
	;;#ASMEND
	s_waitcnt lgkmcnt(0)
	;;#ASMSTART
	v_dot2_f32_f16 v41, v52, v103, v41
	;;#ASMEND
	;;#ASMSTART
	v_dot2_f32_f16 v41, v53, v104, v41
	;;#ASMEND
	;;#ASMSTART
	v_dot2_f32_f16 v41, v54, v105, v41
	;;#ASMEND
	;;#ASMSTART
	v_dot2_f32_f16 v41, v55, v106, v41
	;;#ASMEND
	ds_read_b128 v[52:55], v86 offset:224
	ds_read_b128 v[56:59], v76 offset:480
	ds_read_b128 v[60:63], v76 offset:992
	ds_read_b128 v[99:102], v76 offset:1504
	ds_read_b128 v[103:106], v76 offset:2016
	s_waitcnt lgkmcnt(3)
	;;#ASMSTART
	v_dot2_f32_f16 v38, v52, v56, v38
	;;#ASMEND
	;;#ASMSTART
	v_dot2_f32_f16 v38, v53, v57, v38
	;;#ASMEND
	;;#ASMSTART
	v_dot2_f32_f16 v38, v54, v58, v38
	;;#ASMEND
	;;#ASMSTART
	v_dot2_f32_f16 v38, v55, v59, v38
	;;#ASMEND
	s_waitcnt lgkmcnt(2)
	;;#ASMSTART
	v_dot2_f32_f16 v39, v52, v60, v39
	;;#ASMEND
	;;#ASMSTART
	v_dot2_f32_f16 v39, v53, v61, v39
	;;#ASMEND
	;;#ASMSTART
	v_dot2_f32_f16 v39, v54, v62, v39
	;;#ASMEND
	;;#ASMSTART
	v_dot2_f32_f16 v39, v55, v63, v39
	;;#ASMEND
	s_waitcnt lgkmcnt(1)
	;;#ASMSTART
	v_dot2_f32_f16 v40, v52, v99, v40
	;;#ASMEND
	;;#ASMSTART
	v_dot2_f32_f16 v40, v53, v100, v40
	;;#ASMEND
	;;#ASMSTART
	v_dot2_f32_f16 v40, v54, v101, v40
	;;#ASMEND
	;;#ASMSTART
	v_dot2_f32_f16 v40, v55, v102, v40
	;;#ASMEND
	s_waitcnt lgkmcnt(0)
	;;#ASMSTART
	v_dot2_f32_f16 v41, v52, v103, v41
	;;#ASMEND
	;;#ASMSTART
	v_dot2_f32_f16 v41, v53, v104, v41
	;;#ASMEND
	;;#ASMSTART
	v_dot2_f32_f16 v41, v54, v105, v41
	;;#ASMEND
	;;#ASMSTART
	v_dot2_f32_f16 v41, v55, v106, v41
	;;#ASMEND
	ds_read_b128 v[52:55], v86 offset:240
	ds_read_b128 v[56:59], v76 offset:496
	ds_read_b128 v[60:63], v76 offset:1008
	;; [unrolled: 1-line block ×4, first 2 shown]
	s_waitcnt lgkmcnt(3)
	;;#ASMSTART
	v_dot2_f32_f16 v38, v52, v56, v38
	;;#ASMEND
	;;#ASMSTART
	v_dot2_f32_f16 v38, v53, v57, v38
	;;#ASMEND
	;;#ASMSTART
	v_dot2_f32_f16 v38, v54, v58, v38
	;;#ASMEND
	;;#ASMSTART
	v_dot2_f32_f16 v38, v55, v59, v38
	;;#ASMEND
	s_waitcnt lgkmcnt(2)
	;;#ASMSTART
	v_dot2_f32_f16 v39, v52, v60, v39
	;;#ASMEND
	;;#ASMSTART
	v_dot2_f32_f16 v39, v53, v61, v39
	;;#ASMEND
	;;#ASMSTART
	v_dot2_f32_f16 v39, v54, v62, v39
	;;#ASMEND
	;;#ASMSTART
	v_dot2_f32_f16 v39, v55, v63, v39
	;;#ASMEND
	s_waitcnt lgkmcnt(1)
	;;#ASMSTART
	v_dot2_f32_f16 v40, v52, v99, v40
	;;#ASMEND
	;;#ASMSTART
	v_dot2_f32_f16 v40, v53, v100, v40
	;;#ASMEND
	;;#ASMSTART
	v_dot2_f32_f16 v40, v54, v101, v40
	;;#ASMEND
	;;#ASMSTART
	v_dot2_f32_f16 v40, v55, v102, v40
	;;#ASMEND
	s_waitcnt lgkmcnt(0)
	;;#ASMSTART
	v_dot2_f32_f16 v41, v52, v103, v41
	;;#ASMEND
	;;#ASMSTART
	v_dot2_f32_f16 v41, v53, v104, v41
	;;#ASMEND
	;;#ASMSTART
	v_dot2_f32_f16 v41, v54, v105, v41
	;;#ASMEND
	;;#ASMSTART
	v_dot2_f32_f16 v41, v55, v106, v41
	;;#ASMEND
	global_load_ushort v1, v[1:2], off
	s_waitcnt vmcnt(0)
	s_barrier
	global_load_dwordx4 v[11:14], v[11:12], off
	s_nop 0
	global_load_dwordx4 v[52:55], v[9:10], off
	v_cvt_f32_f16_e32 v1, v1
	v_add_f32_e32 v9, v38, v1
	v_add_f32_e32 v10, v39, v1
	;; [unrolled: 1-line block ×8, first 2 shown]
	v_max_f32_e32 v1, v48, v1
	v_max_f32_e32 v2, v49, v2
	v_max_f32_e32 v3, v50, v3
	v_max_f32_e32 v4, v51, v4
	ds_bpermute_b32 v40, v47, v1
	ds_bpermute_b32 v41, v47, v2
	ds_bpermute_b32 v48, v47, v3
	ds_bpermute_b32 v47, v47, v4
	s_waitcnt lgkmcnt(3)
	v_max_f32_e32 v40, v40, v40
	s_waitcnt lgkmcnt(2)
	v_max_f32_e32 v41, v41, v41
	s_waitcnt lgkmcnt(1)
	v_max_f32_e32 v48, v48, v48
	s_waitcnt lgkmcnt(0)
	v_max_f32_e32 v47, v47, v47
	v_max_f32_e32 v1, v1, v40
	v_max_f32_e32 v2, v2, v41
	v_max_f32_e32 v3, v3, v48
	v_max_f32_e32 v4, v4, v47
	ds_bpermute_b32 v40, v46, v1
	ds_bpermute_b32 v41, v46, v2
	ds_bpermute_b32 v47, v46, v3
	ds_bpermute_b32 v46, v46, v4
	s_waitcnt lgkmcnt(3)
	v_max_f32_e32 v40, v40, v40
	s_waitcnt lgkmcnt(2)
	v_max_f32_e32 v41, v41, v41
	s_waitcnt lgkmcnt(1)
	v_max_f32_e32 v47, v47, v47
	s_waitcnt lgkmcnt(0)
	v_max_f32_e32 v46, v46, v46
	;; [unrolled: 16-line block ×5, first 2 shown]
	v_max_f32_e32 v1, v1, v40
	v_max_f32_e32 v2, v2, v41
	;; [unrolled: 1-line block ×4, first 2 shown]
	v_sub_f32_e32 v37, v37, v1
	v_sub_f32_e32 v9, v9, v1
	;; [unrolled: 1-line block ×8, first 2 shown]
	v_mul_f32_e32 v40, 0x3fb8aa3b, v37
	v_mul_f32_e32 v41, 0x3fb8aa3b, v9
	;; [unrolled: 1-line block ×8, first 2 shown]
	v_fma_f32 v49, v37, s39, -v40
	v_rndne_f32_e32 v50, v40
	v_fma_f32 v51, v9, s39, -v41
	v_rndne_f32_e32 v56, v41
	;; [unrolled: 2-line block ×8, first 2 shown]
	v_fmac_f32_e32 v49, 0x32a5705f, v37
	v_sub_f32_e32 v40, v40, v50
	v_fmac_f32_e32 v51, 0x32a5705f, v9
	v_sub_f32_e32 v41, v41, v56
	;; [unrolled: 2-line block ×8, first 2 shown]
	v_add_f32_e32 v40, v40, v49
	v_add_f32_e32 v41, v41, v51
	;; [unrolled: 1-line block ×8, first 2 shown]
	v_cvt_i32_f32_e32 v50, v50
	v_cvt_i32_f32_e32 v56, v56
	;; [unrolled: 1-line block ×8, first 2 shown]
	v_exp_f32_e32 v40, v40
	v_exp_f32_e32 v41, v41
	;; [unrolled: 1-line block ×8, first 2 shown]
	v_ldexp_f32 v40, v40, v50
	v_ldexp_f32 v41, v41, v56
	v_cmp_ngt_f32_e32 vcc, s40, v9
	v_ldexp_f32 v43, v43, v58
	v_cmp_ngt_f32_e64 s[0:1], s40, v36
	v_ldexp_f32 v44, v44, v60
	v_cmp_ngt_f32_e64 s[2:3], s40, v10
	;; [unrolled: 2-line block ×6, first 2 shown]
	v_cmp_ngt_f32_e64 s[16:17], s40, v37
	v_cndmask_b32_e64 v40, 0, v40, s[16:17]
	v_cndmask_b32_e32 v41, 0, v41, vcc
	v_cmp_nlt_f32_e32 vcc, s41, v9
	v_cndmask_b32_e64 v9, 0, v43, s[0:1]
	v_cmp_nlt_f32_e64 s[0:1], s41, v36
	v_cndmask_b32_e64 v36, 0, v44, s[2:3]
	v_cmp_nlt_f32_e64 s[2:3], s41, v10
	;; [unrolled: 2-line block ×6, first 2 shown]
	v_cmp_nlt_f32_e64 s[16:17], s41, v37
	v_cndmask_b32_e64 v37, v93, v40, s[16:17]
	v_cndmask_b32_e32 v102, v93, v41, vcc
	v_cndmask_b32_e64 v9, v93, v9, s[0:1]
	v_cndmask_b32_e64 v100, v93, v36, s[2:3]
	;; [unrolled: 1-line block ×6, first 2 shown]
	v_cvt_f16_f32_e32 v34, v102
	v_fmac_f32_e32 v102, v33, v37
	v_cvt_f16_f32_e32 v33, v37
	v_cvt_f16_f32_e32 v36, v100
	v_fmac_f32_e32 v100, v32, v9
	v_cvt_f16_f32_e32 v9, v9
	;; [unrolled: 3-line block ×3, first 2 shown]
	v_cvt_f16_f32_e32 v31, v99
	v_cvt_f16_f32_e32 v37, v35
	v_mul_u32_u24_e32 v64, 0x10001, v33
	v_mul_u32_u24_e32 v111, 0x10001, v9
	;; [unrolled: 1-line block ×4, first 2 shown]
	v_pack_b32_f16 v10, v32, v31
	v_pack_b32_f16 v9, v34, v36
	v_fmac_f32_e32 v99, v42, v35
	v_pk_mul_f16 v113, v30, v64
	v_pk_mul_f16 v114, v28, v64
	;; [unrolled: 1-line block ×8, first 2 shown]
	ds_write_b64 v94, v[9:10]
	s_waitcnt vmcnt(1)
	ds_write_b128 v89, v[11:14]
	s_waitcnt vmcnt(0)
	ds_write_b128 v90, v[52:55]
	s_waitcnt lgkmcnt(0)
	s_barrier
	ds_read2_b64 v[9:12], v95 offset1:32
	ds_read_b128 v[13:16], v87
	ds_read_b128 v[28:31], v87 offset:16
	ds_read_b128 v[32:35], v87 offset:32
	;; [unrolled: 1-line block ×3, first 2 shown]
	ds_read2_b64 v[40:43], v95 offset0:64 offset1:96
	ds_read2_b64 v[44:47], v95 offset0:128 offset1:160
	;; [unrolled: 1-line block ×3, first 2 shown]
	ds_read2_b64 v[52:55], v96 offset1:32
	ds_read2_b64 v[56:59], v96 offset0:64 offset1:96
	ds_read2_b64 v[60:63], v96 offset0:128 offset1:160
	;; [unrolled: 1-line block ×3, first 2 shown]
	ds_read2_b64 v[107:110], v97 offset1:32
	s_waitcnt lgkmcnt(11)
	v_mul_u32_u24_sdwa v119, v13, s42 dst_sel:DWORD dst_unused:UNUSED_PAD src0_sel:WORD_1 src1_sel:DWORD
	v_pk_mul_f16 v26, v26, v111
	v_pk_mul_f16 v25, v25, v111
	v_pk_mul_f16 v22, v22, v112
	v_mul_u32_u24_sdwa v118, v13, s42 dst_sel:DWORD dst_unused:UNUSED_PAD src0_sel:WORD_0 src1_sel:DWORD
	v_mul_u32_u24_sdwa v120, v14, s42 dst_sel:DWORD dst_unused:UNUSED_PAD src0_sel:WORD_0 src1_sel:DWORD
	v_mul_u32_u24_sdwa v121, v14, s42 dst_sel:DWORD dst_unused:UNUSED_PAD src0_sel:WORD_1 src1_sel:DWORD
	v_pk_fma_f16 v127, v11, v119, v24
	v_pk_mul_f16 v24, v9, v119
	v_pk_mul_f16 v20, v20, v112
	;; [unrolled: 1-line block ×3, first 2 shown]
	v_mul_u32_u24_sdwa v123, v15, s42 dst_sel:DWORD dst_unused:UNUSED_PAD src0_sel:WORD_1 src1_sel:DWORD
	v_mul_u32_u24_sdwa v124, v16, s42 dst_sel:DWORD dst_unused:UNUSED_PAD src0_sel:WORD_0 src1_sel:DWORD
	v_mul_u32_u24_sdwa v125, v16, s42 dst_sel:DWORD dst_unused:UNUSED_PAD src0_sel:WORD_1 src1_sel:DWORD
	v_pk_fma_f16 v113, v10, v118, v113
	v_pk_fma_f16 v114, v11, v118, v114
	;; [unrolled: 1-line block ×3, first 2 shown]
	v_pk_mul_f16 v118, v9, v118
	v_pk_fma_f16 v126, v10, v119, v26
	v_pk_fma_f16 v74, v12, v119, v25
	;; [unrolled: 1-line block ×3, first 2 shown]
	v_pk_mul_f16 v25, v9, v120
	v_pk_fma_f16 v17, v9, v121, v17
	v_pk_fma_f16 v18, v10, v121, v18
	;; [unrolled: 1-line block ×5, first 2 shown]
	v_mul_u32_u24_sdwa v122, v15, s42 dst_sel:DWORD dst_unused:UNUSED_PAD src0_sel:WORD_0 src1_sel:DWORD
	v_pk_fma_f16 v75, v11, v120, v20
	v_pk_fma_f16 v65, v12, v120, v21
	;; [unrolled: 1-line block ×4, first 2 shown]
	s_waitcnt lgkmcnt(7)
	v_pk_fma_f16 v17, v40, v125, v17
	v_pk_fma_f16 v18, v41, v125, v18
	;; [unrolled: 1-line block ×9, first 2 shown]
	v_mul_u32_u24_sdwa v120, v28, s42 dst_sel:DWORD dst_unused:UNUSED_PAD src0_sel:WORD_0 src1_sel:DWORD
	v_mul_u32_u24_sdwa v28, v28, s42 dst_sel:DWORD dst_unused:UNUSED_PAD src0_sel:WORD_1 src1_sel:DWORD
	v_mul_u32_u24_sdwa v121, v29, s42 dst_sel:DWORD dst_unused:UNUSED_PAD src0_sel:WORD_1 src1_sel:DWORD
	v_pk_fma_f16 v113, v41, v122, v113
	v_pk_fma_f16 v114, v42, v122, v114
	;; [unrolled: 1-line block ×7, first 2 shown]
	s_waitcnt lgkmcnt(6)
	v_pk_fma_f16 v17, v44, v121, v17
	v_pk_fma_f16 v18, v45, v121, v18
	;; [unrolled: 1-line block ×4, first 2 shown]
	v_mul_u32_u24_sdwa v29, v29, s42 dst_sel:DWORD dst_unused:UNUSED_PAD src0_sel:WORD_0 src1_sel:DWORD
	v_pk_fma_f16 v117, v45, v28, v117
	v_pk_fma_f16 v119, v46, v28, v119
	;; [unrolled: 1-line block ×4, first 2 shown]
	v_mul_u32_u24_sdwa v28, v31, s42 dst_sel:DWORD dst_unused:UNUSED_PAD src0_sel:WORD_1 src1_sel:DWORD
	ds_read_b128 v[13:16], v87 offset:64
	ds_read_b128 v[24:27], v87 offset:80
	v_pk_fma_f16 v113, v45, v120, v113
	v_pk_fma_f16 v118, v45, v29, v118
	;; [unrolled: 1-line block ×8, first 2 shown]
	v_mul_u32_u24_sdwa v120, v30, s42 dst_sel:DWORD dst_unused:UNUSED_PAD src0_sel:WORD_0 src1_sel:DWORD
	v_mul_u32_u24_sdwa v121, v30, s42 dst_sel:DWORD dst_unused:UNUSED_PAD src0_sel:WORD_1 src1_sel:DWORD
	v_mul_u32_u24_sdwa v122, v31, s42 dst_sel:DWORD dst_unused:UNUSED_PAD src0_sel:WORD_0 src1_sel:DWORD
	s_waitcnt lgkmcnt(7)
	v_pk_fma_f16 v17, v48, v28, v17
	v_pk_fma_f16 v18, v49, v28, v18
	;; [unrolled: 1-line block ×4, first 2 shown]
	ds_read_b128 v[28:31], v87 offset:96
	v_pk_fma_f16 v113, v49, v120, v113
	v_pk_fma_f16 v114, v50, v120, v114
	;; [unrolled: 1-line block ×4, first 2 shown]
	v_mul_u32_u24_sdwa v120, v32, s42 dst_sel:DWORD dst_unused:UNUSED_PAD src0_sel:WORD_0 src1_sel:DWORD
	v_pk_fma_f16 v117, v49, v121, v117
	v_pk_fma_f16 v119, v50, v121, v119
	;; [unrolled: 1-line block ×4, first 2 shown]
	v_mul_u32_u24_sdwa v121, v32, s42 dst_sel:DWORD dst_unused:UNUSED_PAD src0_sel:WORD_1 src1_sel:DWORD
	v_pk_fma_f16 v49, v49, v122, v118
	v_pk_fma_f16 v50, v50, v122, v75
	;; [unrolled: 1-line block ×4, first 2 shown]
	v_mul_u32_u24_sdwa v48, v33, s42 dst_sel:DWORD dst_unused:UNUSED_PAD src0_sel:WORD_0 src1_sel:DWORD
	v_mul_u32_u24_sdwa v32, v33, s42 dst_sel:DWORD dst_unused:UNUSED_PAD src0_sel:WORD_1 src1_sel:DWORD
	v_mul_u32_u24_sdwa v65, v34, s42 dst_sel:DWORD dst_unused:UNUSED_PAD src0_sel:WORD_0 src1_sel:DWORD
	v_mul_u32_u24_sdwa v75, v34, s42 dst_sel:DWORD dst_unused:UNUSED_PAD src0_sel:WORD_1 src1_sel:DWORD
	;; [unrolled: 2-line block ×3, first 2 shown]
	s_waitcnt lgkmcnt(7)
	v_pk_fma_f16 v17, v52, v32, v17
	v_pk_fma_f16 v18, v53, v32, v18
	;; [unrolled: 1-line block ×16, first 2 shown]
	v_mul_u32_u24_sdwa v120, v36, s42 dst_sel:DWORD dst_unused:UNUSED_PAD src0_sel:WORD_0 src1_sel:DWORD
	v_mul_u32_u24_sdwa v121, v36, s42 dst_sel:DWORD dst_unused:UNUSED_PAD src0_sel:WORD_1 src1_sel:DWORD
	v_mul_u32_u24_sdwa v48, v37, s42 dst_sel:DWORD dst_unused:UNUSED_PAD src0_sel:WORD_0 src1_sel:DWORD
	v_mul_u32_u24_sdwa v52, v37, s42 dst_sel:DWORD dst_unused:UNUSED_PAD src0_sel:WORD_1 src1_sel:DWORD
	s_waitcnt lgkmcnt(6)
	v_pk_fma_f16 v17, v56, v122, v17
	v_pk_fma_f16 v18, v57, v122, v18
	;; [unrolled: 1-line block ×16, first 2 shown]
	v_mul_u32_u24_sdwa v53, v38, s42 dst_sel:DWORD dst_unused:UNUSED_PAD src0_sel:WORD_0 src1_sel:DWORD
	v_mul_u32_u24_sdwa v54, v38, s42 dst_sel:DWORD dst_unused:UNUSED_PAD src0_sel:WORD_1 src1_sel:DWORD
	v_mul_u32_u24_sdwa v55, v39, s42 dst_sel:DWORD dst_unused:UNUSED_PAD src0_sel:WORD_0 src1_sel:DWORD
	v_mul_u32_u24_sdwa v123, v39, s42 dst_sel:DWORD dst_unused:UNUSED_PAD src0_sel:WORD_1 src1_sel:DWORD
	s_waitcnt lgkmcnt(5)
	v_pk_fma_f16 v17, v60, v52, v17
	v_pk_fma_f16 v18, v61, v52, v18
	;; [unrolled: 1-line block ×16, first 2 shown]
	ds_read2_b64 v[9:12], v97 offset0:64 offset1:96
	ds_read2_b64 v[20:23], v97 offset0:128 offset1:160
	;; [unrolled: 1-line block ×3, first 2 shown]
	ds_read2_b64 v[44:47], v98 offset1:32
	ds_read2_b64 v[32:35], v98 offset0:64 offset1:96
	ds_read2_b64 v[36:39], v98 offset0:128 offset1:160
	s_waitcnt lgkmcnt(8)
	v_mul_u32_u24_sdwa v65, v13, s42 dst_sel:DWORD dst_unused:UNUSED_PAD src0_sel:WORD_0 src1_sel:DWORD
	v_mul_u32_u24_sdwa v111, v13, s42 dst_sel:DWORD dst_unused:UNUSED_PAD src0_sel:WORD_1 src1_sel:DWORD
	v_mul_u32_u24_sdwa v56, v14, s42 dst_sel:DWORD dst_unused:UNUSED_PAD src0_sel:WORD_0 src1_sel:DWORD
	v_mul_u32_u24_sdwa v57, v14, s42 dst_sel:DWORD dst_unused:UNUSED_PAD src0_sel:WORD_1 src1_sel:DWORD
	;; [unrolled: 2-line block ×4, first 2 shown]
	ds_read_b128 v[13:16], v87 offset:112
	s_waitcnt lgkmcnt(8)
	v_mul_u32_u24_sdwa v116, v24, s42 dst_sel:DWORD dst_unused:UNUSED_PAD src0_sel:WORD_0 src1_sel:DWORD
	v_mul_u32_u24_sdwa v120, v24, s42 dst_sel:DWORD dst_unused:UNUSED_PAD src0_sel:WORD_1 src1_sel:DWORD
	v_mul_u32_u24_sdwa v48, v25, s42 dst_sel:DWORD dst_unused:UNUSED_PAD src0_sel:WORD_0 src1_sel:DWORD
	v_mul_u32_u24_sdwa v60, v25, s42 dst_sel:DWORD dst_unused:UNUSED_PAD src0_sel:WORD_1 src1_sel:DWORD
	;; [unrolled: 2-line block ×4, first 2 shown]
	v_pk_fma_f16 v17, v103, v123, v17
	v_pk_fma_f16 v18, v104, v123, v18
	;; [unrolled: 1-line block ×4, first 2 shown]
	ds_read2_b64 v[24:27], v98 offset0:192 offset1:224
	s_waitcnt lgkmcnt(0)
	s_barrier
	v_pk_fma_f16 v113, v104, v53, v113
	v_pk_fma_f16 v114, v105, v53, v114
	;; [unrolled: 1-line block ×4, first 2 shown]
	v_mul_u32_u24_sdwa v64, v28, s42 dst_sel:DWORD dst_unused:UNUSED_PAD src0_sel:WORD_0 src1_sel:DWORD
	v_pk_fma_f16 v117, v104, v54, v117
	v_pk_fma_f16 v119, v105, v54, v119
	;; [unrolled: 1-line block ×4, first 2 shown]
	v_mul_u32_u24_sdwa v75, v28, s42 dst_sel:DWORD dst_unused:UNUSED_PAD src0_sel:WORD_1 src1_sel:DWORD
	v_pk_fma_f16 v49, v104, v55, v49
	v_pk_fma_f16 v50, v105, v55, v50
	;; [unrolled: 1-line block ×4, first 2 shown]
	v_mul_u32_u24_sdwa v55, v29, s42 dst_sel:DWORD dst_unused:UNUSED_PAD src0_sel:WORD_0 src1_sel:DWORD
	v_mul_u32_u24_sdwa v103, v29, s42 dst_sel:DWORD dst_unused:UNUSED_PAD src0_sel:WORD_1 src1_sel:DWORD
	v_mul_u32_u24_sdwa v104, v30, s42 dst_sel:DWORD dst_unused:UNUSED_PAD src0_sel:WORD_0 src1_sel:DWORD
	v_mul_u32_u24_sdwa v105, v30, s42 dst_sel:DWORD dst_unused:UNUSED_PAD src0_sel:WORD_1 src1_sel:DWORD
	;; [unrolled: 2-line block ×3, first 2 shown]
	global_load_dwordx4 v[28:31], v[7:8], off
	v_pk_fma_f16 v17, v107, v57, v17
	global_load_dwordx4 v[5:8], v[5:6], off
	v_pk_fma_f16 v18, v108, v57, v18
	v_pk_fma_f16 v112, v109, v57, v112
	;; [unrolled: 1-line block ×79, first 2 shown]
	v_mul_u32_u24_sdwa v65, v13, s42 dst_sel:DWORD dst_unused:UNUSED_PAD src0_sel:WORD_0 src1_sel:DWORD
	v_mul_u32_u24_sdwa v13, v13, s42 dst_sel:DWORD dst_unused:UNUSED_PAD src0_sel:WORD_1 src1_sel:DWORD
	v_mul_u32_u24_sdwa v56, v14, s42 dst_sel:DWORD dst_unused:UNUSED_PAD src0_sel:WORD_0 src1_sel:DWORD
	v_mul_u32_u24_sdwa v14, v14, s42 dst_sel:DWORD dst_unused:UNUSED_PAD src0_sel:WORD_1 src1_sel:DWORD
	v_pk_fma_f16 v17, v32, v123, v17
	v_pk_fma_f16 v19, v33, v104, v19
	;; [unrolled: 1-line block ×16, first 2 shown]
	v_mul_u32_u24_sdwa v119, v15, s42 dst_sel:DWORD dst_unused:UNUSED_PAD src0_sel:WORD_0 src1_sel:DWORD
	v_mul_u32_u24_sdwa v15, v15, s42 dst_sel:DWORD dst_unused:UNUSED_PAD src0_sel:WORD_1 src1_sel:DWORD
	v_mul_u32_u24_sdwa v124, v16, s42 dst_sel:DWORD dst_unused:UNUSED_PAD src0_sel:WORD_0 src1_sel:DWORD
	v_mul_u32_u24_sdwa v16, v16, s42 dst_sel:DWORD dst_unused:UNUSED_PAD src0_sel:WORD_1 src1_sel:DWORD
	v_pk_fma_f16 v17, v36, v14, v17
	v_pk_fma_f16 v19, v37, v65, v19
	;; [unrolled: 1-line block ×32, first 2 shown]
	s_waitcnt vmcnt(1)
	ds_write_b128 v89, v[28:31]
	s_waitcnt vmcnt(0)
	ds_write_b128 v90, v[5:8]
	s_waitcnt lgkmcnt(0)
	s_barrier
	ds_read2_b64 v[61:64], v95 offset1:32
	ds_read_b128 v[29:32], v87 offset:128
	ds_read_b128 v[45:48], v87 offset:144
	;; [unrolled: 1-line block ×4, first 2 shown]
	ds_read2_b64 v[57:60], v95 offset0:64 offset1:96
	ds_read2_b64 v[53:56], v95 offset0:128 offset1:160
	;; [unrolled: 1-line block ×3, first 2 shown]
	ds_read2_b64 v[41:44], v96 offset1:32
	ds_read2_b64 v[37:40], v96 offset0:64 offset1:96
	ds_read2_b64 v[25:28], v96 offset0:128 offset1:160
	;; [unrolled: 1-line block ×3, first 2 shown]
	ds_read2_b64 v[5:8], v97 offset1:32
	ds_read_b128 v[115:118], v87 offset:192
	ds_read2_b64 v[13:16], v97 offset0:64 offset1:96
	ds_read2_b64 v[17:20], v97 offset0:128 offset1:160
	s_waitcnt lgkmcnt(14)
	v_mul_u32_u24_sdwa v120, v29, s42 dst_sel:DWORD dst_unused:UNUSED_PAD src0_sel:WORD_0 src1_sel:DWORD
	v_mul_u32_u24_sdwa v29, v29, s42 dst_sel:DWORD dst_unused:UNUSED_PAD src0_sel:WORD_1 src1_sel:DWORD
	v_mul_u32_u24_sdwa v121, v30, s42 dst_sel:DWORD dst_unused:UNUSED_PAD src0_sel:WORD_0 src1_sel:DWORD
	v_mul_u32_u24_sdwa v30, v30, s42 dst_sel:DWORD dst_unused:UNUSED_PAD src0_sel:WORD_1 src1_sel:DWORD
	v_pk_fma_f16 v74, v61, v120, v74
	v_pk_fma_f16 v113, v62, v120, v113
	;; [unrolled: 1-line block ×16, first 2 shown]
	v_mul_u32_u24_sdwa v29, v31, s42 dst_sel:DWORD dst_unused:UNUSED_PAD src0_sel:WORD_0 src1_sel:DWORD
	v_mul_u32_u24_sdwa v120, v31, s42 dst_sel:DWORD dst_unused:UNUSED_PAD src0_sel:WORD_1 src1_sel:DWORD
	v_mul_u32_u24_sdwa v121, v32, s42 dst_sel:DWORD dst_unused:UNUSED_PAD src0_sel:WORD_0 src1_sel:DWORD
	v_mul_u32_u24_sdwa v122, v32, s42 dst_sel:DWORD dst_unused:UNUSED_PAD src0_sel:WORD_1 src1_sel:DWORD
	s_waitcnt lgkmcnt(10)
	v_pk_fma_f16 v74, v57, v29, v74
	v_pk_fma_f16 v113, v58, v29, v113
	;; [unrolled: 1-line block ×8, first 2 shown]
	v_mul_u32_u24_sdwa v120, v45, s42 dst_sel:DWORD dst_unused:UNUSED_PAD src0_sel:WORD_0 src1_sel:DWORD
	v_pk_fma_f16 v119, v57, v121, v119
	v_pk_fma_f16 v105, v58, v121, v105
	;; [unrolled: 1-line block ×4, first 2 shown]
	v_mul_u32_u24_sdwa v121, v45, s42 dst_sel:DWORD dst_unused:UNUSED_PAD src0_sel:WORD_1 src1_sel:DWORD
	v_pk_fma_f16 v57, v57, v122, v103
	v_pk_fma_f16 v58, v58, v122, v106
	;; [unrolled: 1-line block ×4, first 2 shown]
	v_mul_u32_u24_sdwa v103, v46, s42 dst_sel:DWORD dst_unused:UNUSED_PAD src0_sel:WORD_0 src1_sel:DWORD
	v_mul_u32_u24_sdwa v106, v46, s42 dst_sel:DWORD dst_unused:UNUSED_PAD src0_sel:WORD_1 src1_sel:DWORD
	v_mul_u32_u24_sdwa v109, v47, s42 dst_sel:DWORD dst_unused:UNUSED_PAD src0_sel:WORD_0 src1_sel:DWORD
	v_mul_u32_u24_sdwa v112, v47, s42 dst_sel:DWORD dst_unused:UNUSED_PAD src0_sel:WORD_1 src1_sel:DWORD
	;; [unrolled: 2-line block ×3, first 2 shown]
	s_waitcnt lgkmcnt(9)
	v_pk_fma_f16 v74, v53, v120, v74
	v_pk_fma_f16 v113, v54, v120, v113
	;; [unrolled: 1-line block ×16, first 2 shown]
	ds_read_b128 v[61:64], v87 offset:208
	v_mul_u32_u24_sdwa v120, v33, s42 dst_sel:DWORD dst_unused:UNUSED_PAD src0_sel:WORD_0 src1_sel:DWORD
	v_mul_u32_u24_sdwa v111, v33, s42 dst_sel:DWORD dst_unused:UNUSED_PAD src0_sel:WORD_1 src1_sel:DWORD
	v_mul_u32_u24_sdwa v57, v34, s42 dst_sel:DWORD dst_unused:UNUSED_PAD src0_sel:WORD_0 src1_sel:DWORD
	v_mul_u32_u24_sdwa v58, v34, s42 dst_sel:DWORD dst_unused:UNUSED_PAD src0_sel:WORD_1 src1_sel:DWORD
	;; [unrolled: 2-line block ×4, first 2 shown]
	s_waitcnt lgkmcnt(9)
	v_pk_fma_f16 v74, v49, v109, v74
	v_pk_fma_f16 v113, v50, v109, v113
	;; [unrolled: 1-line block ×4, first 2 shown]
	ds_read_b128 v[33:36], v87 offset:224
	v_pk_fma_f16 v75, v49, v112, v75
	v_pk_fma_f16 v104, v50, v112, v104
	;; [unrolled: 1-line block ×12, first 2 shown]
	s_waitcnt lgkmcnt(9)
	v_pk_fma_f16 v74, v41, v120, v74
	v_pk_fma_f16 v113, v42, v120, v113
	;; [unrolled: 1-line block ×16, first 2 shown]
	v_mul_u32_u24_sdwa v110, v21, s42 dst_sel:DWORD dst_unused:UNUSED_PAD src0_sel:WORD_0 src1_sel:DWORD
	v_mul_u32_u24_sdwa v119, v21, s42 dst_sel:DWORD dst_unused:UNUSED_PAD src0_sel:WORD_1 src1_sel:DWORD
	v_mul_u32_u24_sdwa v53, v22, s42 dst_sel:DWORD dst_unused:UNUSED_PAD src0_sel:WORD_0 src1_sel:DWORD
	v_mul_u32_u24_sdwa v54, v22, s42 dst_sel:DWORD dst_unused:UNUSED_PAD src0_sel:WORD_1 src1_sel:DWORD
	s_waitcnt lgkmcnt(8)
	v_pk_fma_f16 v74, v37, v59, v74
	v_pk_fma_f16 v113, v38, v59, v113
	;; [unrolled: 1-line block ×16, first 2 shown]
	ds_read2_b64 v[29:32], v97 offset0:192 offset1:224
	v_mul_u32_u24_sdwa v55, v23, s42 dst_sel:DWORD dst_unused:UNUSED_PAD src0_sel:WORD_0 src1_sel:DWORD
	v_mul_u32_u24_sdwa v56, v23, s42 dst_sel:DWORD dst_unused:UNUSED_PAD src0_sel:WORD_1 src1_sel:DWORD
	v_mul_u32_u24_sdwa v122, v24, s42 dst_sel:DWORD dst_unused:UNUSED_PAD src0_sel:WORD_0 src1_sel:DWORD
	v_mul_u32_u24_sdwa v123, v24, s42 dst_sel:DWORD dst_unused:UNUSED_PAD src0_sel:WORD_1 src1_sel:DWORD
	s_waitcnt lgkmcnt(8)
	v_pk_fma_f16 v74, v25, v110, v74
	v_pk_fma_f16 v113, v26, v110, v113
	v_pk_fma_f16 v114, v27, v110, v114
	v_pk_fma_f16 v59, v28, v110, v59
	v_pk_fma_f16 v65, v25, v119, v65
	v_pk_fma_f16 v75, v26, v119, v75
	v_pk_fma_f16 v104, v27, v119, v104
	v_pk_fma_f16 v60, v28, v119, v60
	v_pk_fma_f16 v109, v25, v53, v109
	v_pk_fma_f16 v105, v26, v53, v105
	v_pk_fma_f16 v108, v27, v53, v108
	v_pk_fma_f16 v53, v28, v53, v57
	v_pk_fma_f16 v25, v25, v54, v49
	v_pk_fma_f16 v26, v26, v54, v50
	v_pk_fma_f16 v27, v27, v54, v51
	v_pk_fma_f16 v28, v28, v54, v52
	ds_read2_b64 v[45:48], v98 offset1:32
	s_waitcnt lgkmcnt(6)
	v_mul_u32_u24_sdwa v111, v115, s42 dst_sel:DWORD dst_unused:UNUSED_PAD src0_sel:WORD_0 src1_sel:DWORD
	v_mul_u32_u24_sdwa v103, v115, s42 dst_sel:DWORD dst_unused:UNUSED_PAD src0_sel:WORD_1 src1_sel:DWORD
	v_mul_u32_u24_sdwa v58, v116, s42 dst_sel:DWORD dst_unused:UNUSED_PAD src0_sel:WORD_0 src1_sel:DWORD
	v_mul_u32_u24_sdwa v115, v116, s42 dst_sel:DWORD dst_unused:UNUSED_PAD src0_sel:WORD_1 src1_sel:DWORD
	v_pk_fma_f16 v74, v9, v55, v74
	v_pk_fma_f16 v113, v10, v55, v113
	;; [unrolled: 1-line block ×16, first 2 shown]
	ds_read2_b64 v[21:24], v98 offset0:64 offset1:96
	v_mul_u32_u24_sdwa v116, v117, s42 dst_sel:DWORD dst_unused:UNUSED_PAD src0_sel:WORD_0 src1_sel:DWORD
	v_mul_u32_u24_sdwa v117, v117, s42 dst_sel:DWORD dst_unused:UNUSED_PAD src0_sel:WORD_1 src1_sel:DWORD
	v_mul_u32_u24_sdwa v120, v118, s42 dst_sel:DWORD dst_unused:UNUSED_PAD src0_sel:WORD_0 src1_sel:DWORD
	v_mul_u32_u24_sdwa v118, v118, s42 dst_sel:DWORD dst_unused:UNUSED_PAD src0_sel:WORD_1 src1_sel:DWORD
	ds_read2_b64 v[41:44], v98 offset0:128 offset1:160
	ds_read_b128 v[37:40], v87 offset:240
	s_waitcnt lgkmcnt(5)
	v_mul_u32_u24_sdwa v110, v33, s42 dst_sel:DWORD dst_unused:UNUSED_PAD src0_sel:WORD_0 src1_sel:DWORD
	v_mul_u32_u24_sdwa v57, v33, s42 dst_sel:DWORD dst_unused:UNUSED_PAD src0_sel:WORD_1 src1_sel:DWORD
	v_mul_u32_u24_sdwa v49, v34, s42 dst_sel:DWORD dst_unused:UNUSED_PAD src0_sel:WORD_0 src1_sel:DWORD
	v_mul_u32_u24_sdwa v50, v34, s42 dst_sel:DWORD dst_unused:UNUSED_PAD src0_sel:WORD_1 src1_sel:DWORD
	;; [unrolled: 2-line block ×4, first 2 shown]
	ds_read2_b64 v[33:36], v98 offset0:192 offset1:224
	s_waitcnt lgkmcnt(0)
	s_barrier
	s_load_dword s0, s[18:19], 0x4
	v_pk_fma_f16 v27, v5, v111, v74
	v_pk_fma_f16 v28, v5, v103, v59
	;; [unrolled: 1-line block ×16, first 2 shown]
	v_mul_u32_u24_sdwa v107, v61, s42 dst_sel:DWORD dst_unused:UNUSED_PAD src0_sel:WORD_0 src1_sel:DWORD
	v_mul_u32_u24_sdwa v61, v61, s42 dst_sel:DWORD dst_unused:UNUSED_PAD src0_sel:WORD_1 src1_sel:DWORD
	v_mul_u32_u24_sdwa v106, v62, s42 dst_sel:DWORD dst_unused:UNUSED_PAD src0_sel:WORD_0 src1_sel:DWORD
	v_mul_u32_u24_sdwa v62, v62, s42 dst_sel:DWORD dst_unused:UNUSED_PAD src0_sel:WORD_1 src1_sel:DWORD
	v_pk_fma_f16 v12, v13, v116, v27
	v_pk_fma_f16 v27, v13, v117, v28
	;; [unrolled: 1-line block ×16, first 2 shown]
	v_mul_u32_u24_sdwa v112, v63, s42 dst_sel:DWORD dst_unused:UNUSED_PAD src0_sel:WORD_0 src1_sel:DWORD
	v_mul_u32_u24_sdwa v63, v63, s42 dst_sel:DWORD dst_unused:UNUSED_PAD src0_sel:WORD_1 src1_sel:DWORD
	v_mul_u32_u24_sdwa v121, v64, s42 dst_sel:DWORD dst_unused:UNUSED_PAD src0_sel:WORD_0 src1_sel:DWORD
	v_mul_u32_u24_sdwa v64, v64, s42 dst_sel:DWORD dst_unused:UNUSED_PAD src0_sel:WORD_1 src1_sel:DWORD
	v_pk_fma_f16 v12, v17, v107, v12
	v_pk_fma_f16 v16, v17, v61, v27
	;; [unrolled: 1-line block ×48, first 2 shown]
	v_mul_u32_u24_sdwa v60, v37, s42 dst_sel:DWORD dst_unused:UNUSED_PAD src0_sel:WORD_0 src1_sel:DWORD
	v_mul_u32_u24_sdwa v37, v37, s42 dst_sel:DWORD dst_unused:UNUSED_PAD src0_sel:WORD_1 src1_sel:DWORD
	v_mul_u32_u24_sdwa v25, v38, s42 dst_sel:DWORD dst_unused:UNUSED_PAD src0_sel:WORD_0 src1_sel:DWORD
	v_mul_u32_u24_sdwa v26, v38, s42 dst_sel:DWORD dst_unused:UNUSED_PAD src0_sel:WORD_1 src1_sel:DWORD
	s_waitcnt lgkmcnt(0)
	s_lshl_b32 s0, s0, 5
	v_pk_fma_f16 v12, v21, v51, v12
	v_pk_fma_f16 v16, v21, v52, v16
	;; [unrolled: 1-line block ×16, first 2 shown]
	v_mul_u32_u24_sdwa v38, v39, s42 dst_sel:DWORD dst_unused:UNUSED_PAD src0_sel:WORD_0 src1_sel:DWORD
	v_mul_u32_u24_sdwa v39, v39, s42 dst_sel:DWORD dst_unused:UNUSED_PAD src0_sel:WORD_1 src1_sel:DWORD
	v_mul_u32_u24_sdwa v109, v40, s42 dst_sel:DWORD dst_unused:UNUSED_PAD src0_sel:WORD_0 src1_sel:DWORD
	v_mul_u32_u24_sdwa v40, v40, s42 dst_sel:DWORD dst_unused:UNUSED_PAD src0_sel:WORD_1 src1_sel:DWORD
	s_add_i32 s6, s0, s6
	v_pk_fma_f16 v12, v41, v60, v12
	v_pk_fma_f16 v16, v41, v37, v16
	;; [unrolled: 1-line block ×16, first 2 shown]
	s_cmp_ge_i32 s6, s36
	v_pk_fma_f16 v27, v33, v38, v12
	v_pk_fma_f16 v23, v33, v39, v16
	;; [unrolled: 1-line block ×16, first 2 shown]
	s_cbranch_scc0 .LBB13_9
; %bb.10:
	buffer_load_dword v52, off, s[44:47], 0 offset:8 ; 4-byte Folded Reload
	v_lshlrev_b32_e32 v51, 2, v0
.LBB13_11:
	v_cmp_lt_i32_e32 vcc, v83, v78
	v_cndmask_b32_e32 v5, v77, v83, vcc
	v_lshlrev_b32_e32 v5, 2, v5
	ds_bpermute_b32 v6, v5, v102
	ds_bpermute_b32 v12, v5, v100
	ds_bpermute_b32 v13, v5, v101
	ds_bpermute_b32 v5, v5, v99
	v_cmp_lt_i32_e32 vcc, v82, v78
	v_cndmask_b32_e32 v7, v77, v82, vcc
	v_lshlrev_b32_e32 v7, 2, v7
	s_waitcnt lgkmcnt(3)
	v_add_f32_e32 v6, v102, v6
	s_waitcnt lgkmcnt(2)
	v_add_f32_e32 v12, v100, v12
	s_waitcnt lgkmcnt(1)
	v_add_f32_e32 v13, v101, v13
	s_waitcnt lgkmcnt(0)
	v_add_f32_e32 v5, v99, v5
	ds_bpermute_b32 v8, v7, v6
	ds_bpermute_b32 v14, v7, v12
	ds_bpermute_b32 v31, v7, v13
	ds_bpermute_b32 v7, v7, v5
	v_cmp_lt_i32_e32 vcc, v81, v78
	v_cndmask_b32_e32 v9, v77, v81, vcc
	v_lshlrev_b32_e32 v9, 2, v9
	s_waitcnt lgkmcnt(3)
	v_add_f32_e32 v6, v6, v8
	s_waitcnt lgkmcnt(2)
	v_add_f32_e32 v12, v12, v14
	s_waitcnt lgkmcnt(1)
	v_add_f32_e32 v13, v13, v31
	s_waitcnt lgkmcnt(0)
	v_add_f32_e32 v5, v5, v7
	;; [unrolled: 15-line block ×4, first 2 shown]
	ds_bpermute_b32 v8, v11, v6
	ds_bpermute_b32 v10, v11, v9
	;; [unrolled: 1-line block ×4, first 2 shown]
	s_cmp_lg_u64 s[20:21], 0
	s_cselect_b64 s[0:1], -1, 0
	s_cmp_eq_u32 s7, 0
	s_cselect_b64 s[2:3], -1, 0
	s_and_b64 s[0:1], s[2:3], s[0:1]
	s_waitcnt lgkmcnt(3)
	v_add_f32_e32 v5, v6, v8
	s_waitcnt lgkmcnt(2)
	v_add_f32_e32 v6, v9, v10
	;; [unrolled: 2-line block ×4, first 2 shown]
	s_and_b64 vcc, exec, s[0:1]
	s_cbranch_vccz .LBB13_14
; %bb.12:
	s_ashr_i32 s35, s34, 31
	s_lshl_b64 s[0:1], s[34:35], 2
	s_add_u32 s0, s20, s0
	s_addc_u32 s1, s21, s1
	v_mov_b32_e32 v9, 0
	global_load_dwordx4 v[9:12], v9, s[0:1]
	v_max_f32_e32 v13, v1, v1
	v_max_f32_e32 v32, v2, v2
	s_mov_b32 s2, 0x3fb8aa3b
	v_max_f32_e32 v33, v3, v3
	s_mov_b32 s1, 0xc2ce8ed0
	s_mov_b32 s0, 0x42b17218
	v_mov_b32_e32 v14, 0x7f800000
	s_waitcnt vmcnt(0)
	v_max_f32_e32 v31, v9, v9
	v_max_f32_e32 v31, v13, v31
	;; [unrolled: 1-line block ×3, first 2 shown]
	v_sub_f32_e32 v1, v1, v31
	v_max_f32_e32 v32, v32, v34
	v_sub_f32_e32 v9, v9, v31
	v_mul_f32_e32 v13, 0x3fb8aa3b, v1
	v_max_f32_e32 v35, v11, v11
	v_sub_f32_e32 v2, v2, v32
	v_mul_f32_e32 v34, 0x3fb8aa3b, v9
	v_fma_f32 v39, v1, s2, -v13
	v_rndne_f32_e32 v40, v13
	v_max_f32_e32 v33, v33, v35
	v_sub_f32_e32 v10, v10, v32
	v_mul_f32_e32 v35, 0x3fb8aa3b, v2
	v_fma_f32 v41, v9, s2, -v34
	v_rndne_f32_e32 v42, v34
	v_fmac_f32_e32 v39, 0x32a5705f, v1
	v_sub_f32_e32 v13, v13, v40
	v_mul_f32_e32 v36, 0x3fb8aa3b, v10
	v_fma_f32 v43, v2, s2, -v35
	v_rndne_f32_e32 v44, v35
	v_fmac_f32_e32 v41, 0x32a5705f, v9
	v_sub_f32_e32 v34, v34, v42
	v_add_f32_e32 v13, v13, v39
	v_fma_f32 v45, v10, s2, -v36
	v_rndne_f32_e32 v46, v36
	v_cvt_i32_f32_e32 v40, v40
	v_fmac_f32_e32 v43, 0x32a5705f, v2
	v_sub_f32_e32 v35, v35, v44
	v_add_f32_e32 v34, v34, v41
	v_exp_f32_e32 v13, v13
	v_cvt_i32_f32_e32 v42, v42
	v_fmac_f32_e32 v45, 0x32a5705f, v10
	v_sub_f32_e32 v36, v36, v46
	v_add_f32_e32 v35, v35, v43
	v_exp_f32_e32 v34, v34
	v_cvt_i32_f32_e32 v44, v44
	v_add_f32_e32 v36, v36, v45
	v_exp_f32_e32 v35, v35
	v_cvt_i32_f32_e32 v46, v46
	v_exp_f32_e32 v36, v36
	v_ldexp_f32 v13, v13, v40
	v_cmp_ngt_f32_e32 vcc, s1, v1
	v_ldexp_f32 v34, v34, v42
	v_cndmask_b32_e32 v13, 0, v13, vcc
	v_cmp_ngt_f32_e32 vcc, s1, v9
	v_ldexp_f32 v35, v35, v44
	v_cndmask_b32_e32 v34, 0, v34, vcc
	;; [unrolled: 3-line block ×3, first 2 shown]
	v_cmp_ngt_f32_e32 vcc, s1, v10
	v_cndmask_b32_e32 v36, 0, v36, vcc
	v_cmp_nlt_f32_e32 vcc, s0, v1
	v_sub_f32_e32 v3, v3, v33
	v_cndmask_b32_e32 v1, v14, v13, vcc
	v_cmp_nlt_f32_e32 vcc, s0, v9
	v_mul_f32_e32 v37, 0x3fb8aa3b, v3
	v_cndmask_b32_e32 v9, v14, v34, vcc
	v_cmp_nlt_f32_e32 vcc, s0, v2
	v_cvt_f16_f32_e32 v13, v1
	v_fma_f32 v47, v3, s2, -v37
	v_rndne_f32_e32 v48, v37
	v_cndmask_b32_e32 v2, v14, v35, vcc
	v_sub_f32_e32 v11, v11, v33
	v_fmac_f32_e32 v47, 0x32a5705f, v3
	v_sub_f32_e32 v37, v37, v48
	v_cvt_f16_f32_e32 v34, v2
	v_mul_f32_e32 v38, 0x3fb8aa3b, v11
	v_add_f32_e32 v37, v37, v47
	v_fma_f32 v49, v11, s2, -v38
	v_rndne_f32_e32 v50, v38
	v_cvt_i32_f32_e32 v48, v48
	v_exp_f32_e32 v37, v37
	v_cmp_nlt_f32_e32 vcc, s0, v10
	v_fmac_f32_e32 v9, v5, v1
	v_mul_u32_u24_e32 v1, 0x10001, v13
	v_fmac_f32_e32 v49, 0x32a5705f, v11
	v_cndmask_b32_e32 v10, v14, v36, vcc
	v_pk_mul_f16 v27, v27, v1
	v_pk_mul_f16 v30, v30, v1
	;; [unrolled: 1-line block ×4, first 2 shown]
	v_sub_f32_e32 v1, v38, v50
	v_fmac_f32_e32 v10, v6, v2
	v_mul_u32_u24_e32 v2, 0x10001, v34
	v_add_f32_e32 v1, v1, v49
	v_pk_mul_f16 v23, v23, v2
	v_pk_mul_f16 v26, v26, v2
	v_pk_mul_f16 v24, v24, v2
	v_pk_mul_f16 v25, v25, v2
	v_exp_f32_e32 v1, v1
	v_cvt_i32_f32_e32 v2, v50
	v_ldexp_f32 v37, v37, v48
	v_cmp_ngt_f32_e32 vcc, s1, v3
	v_cndmask_b32_e32 v5, 0, v37, vcc
	v_cmp_nlt_f32_e32 vcc, s0, v3
	v_cndmask_b32_e32 v3, v14, v5, vcc
	v_ldexp_f32 v1, v1, v2
	v_cvt_f16_f32_e32 v2, v3
	v_cmp_ngt_f32_e32 vcc, s1, v11
	v_cndmask_b32_e32 v1, 0, v1, vcc
	v_cmp_nlt_f32_e32 vcc, s0, v11
	v_cndmask_b32_e32 v11, v14, v1, vcc
	v_fmac_f32_e32 v11, v7, v3
	v_mul_u32_u24_e32 v1, 0x10001, v2
	v_max_f32_e32 v2, v12, v12
	v_max_f32_e32 v3, v4, v4
	;; [unrolled: 1-line block ×3, first 2 shown]
	v_sub_f32_e32 v2, v4, v34
	v_mul_f32_e32 v3, 0x3fb8aa3b, v2
	v_fma_f32 v4, v2, s2, -v3
	v_rndne_f32_e32 v5, v3
	v_fmac_f32_e32 v4, 0x32a5705f, v2
	v_sub_f32_e32 v3, v3, v5
	v_add_f32_e32 v3, v3, v4
	v_exp_f32_e32 v3, v3
	v_cvt_i32_f32_e32 v4, v5
	v_pk_mul_f16 v19, v19, v1
	v_pk_mul_f16 v22, v22, v1
	;; [unrolled: 1-line block ×4, first 2 shown]
	v_ldexp_f32 v1, v3, v4
	v_sub_f32_e32 v3, v12, v34
	v_mul_f32_e32 v4, 0x3fb8aa3b, v3
	v_fma_f32 v5, v3, s2, -v4
	v_rndne_f32_e32 v6, v4
	v_fmac_f32_e32 v5, 0x32a5705f, v3
	v_sub_f32_e32 v4, v4, v6
	v_add_f32_e32 v4, v4, v5
	v_exp_f32_e32 v4, v4
	v_cvt_i32_f32_e32 v5, v6
	v_cmp_ngt_f32_e32 vcc, s1, v2
	v_cndmask_b32_e32 v1, 0, v1, vcc
	v_cmp_nlt_f32_e32 vcc, s0, v2
	v_cndmask_b32_e32 v1, v14, v1, vcc
	v_ldexp_f32 v2, v4, v5
	v_cvt_f16_f32_e32 v4, v1
	v_cmp_ngt_f32_e32 vcc, s1, v3
	v_cndmask_b32_e32 v2, 0, v2, vcc
	v_cmp_nlt_f32_e32 vcc, s0, v3
	v_cndmask_b32_e32 v12, v14, v2, vcc
	v_fmac_f32_e32 v12, v8, v1
	v_mul_u32_u24_e32 v1, 0x10001, v4
	v_pk_mul_f16 v17, v17, v1
	v_pk_mul_f16 v18, v18, v1
	;; [unrolled: 1-line block ×4, first 2 shown]
	v_mov_b32_e32 v1, v31
	v_mov_b32_e32 v2, v32
	;; [unrolled: 1-line block ×8, first 2 shown]
	v_cmp_gt_i32_e32 vcc, s30, v52
	s_and_saveexec_b64 s[0:1], vcc
	s_cbranch_execnz .LBB13_15
.LBB13_13:
	s_endpgm
.LBB13_14:
	v_mov_b32_e32 v12, v8
	v_mov_b32_e32 v11, v7
	;; [unrolled: 1-line block ×4, first 2 shown]
	s_waitcnt vmcnt(0)
	v_cmp_gt_i32_e32 vcc, s30, v52
	s_and_saveexec_b64 s[0:1], vcc
	s_cbranch_execz .LBB13_13
.LBB13_15:
	s_load_dword s6, s[4:5], 0xd4
	v_mov_b32_e32 v14, 1.0
	s_waitcnt lgkmcnt(0)
	s_cmp_lg_u32 s6, 1
	s_cselect_b64 s[0:1], -1, 0
	s_cmp_eq_u32 s6, 1
	s_cselect_b64 s[4:5], -1, 0
	s_and_b64 vcc, exec, s[0:1]
	s_cbranch_vccnz .LBB13_17
; %bb.16:
	v_div_scale_f32 v13, s[2:3], v5, v5, 1.0
	v_div_scale_f32 v14, vcc, 1.0, v5, 1.0
	v_rcp_f32_e32 v31, v13
	v_fma_f32 v32, -v13, v31, 1.0
	v_fmac_f32_e32 v31, v32, v31
	v_mul_f32_e32 v32, v14, v31
	v_fma_f32 v33, -v13, v32, v14
	v_fmac_f32_e32 v32, v33, v31
	v_fma_f32 v13, -v13, v32, v14
	v_div_fmas_f32 v13, v13, v31, v32
	v_div_fixup_f32 v14, v13, v5, 1.0
.LBB13_17:
	s_mul_i32 s33, s33, s30
	v_add_u32_e32 v5, s33, v52
	v_mul_lo_u32 v5, v5, s31
	v_cmp_eq_u32_e32 vcc, 0, v0
	v_cvt_f32_f16_sdwa v0, v30 dst_sel:DWORD dst_unused:UNUSED_PAD src0_sel:WORD_1
	v_cvt_f32_f16_e32 v30, v30
	v_add_u32_e32 v5, s34, v5
	v_mul_lo_u32 v5, s6, v5
	v_cvt_f32_f16_sdwa v31, v27 dst_sel:DWORD dst_unused:UNUSED_PAD src0_sel:WORD_1
	v_cvt_f32_f16_e32 v27, v27
	v_mov_b32_e32 v35, 0
	v_add_u32_e32 v13, s7, v5
	v_lshl_add_u32 v34, v13, 8, v51
	v_lshlrev_b64 v[36:37], 2, v[34:35]
	s_and_b64 s[2:3], vcc, s[0:1]
	v_mul_f32_e32 v33, v14, v0
	v_mov_b32_e32 v0, s25
	v_add_co_u32_e32 v36, vcc, s24, v36
	v_mul_f32_e32 v32, v14, v30
	v_mul_f32_e32 v31, v14, v31
	;; [unrolled: 1-line block ×3, first 2 shown]
	v_addc_co_u32_e32 v37, vcc, v0, v37, vcc
	global_store_dwordx4 v[36:37], v[30:33], off
	v_cvt_f32_f16_sdwa v27, v28 dst_sel:DWORD dst_unused:UNUSED_PAD src0_sel:WORD_1
	v_cvt_f32_f16_e32 v31, v28
	v_cvt_f32_f16_sdwa v0, v29 dst_sel:DWORD dst_unused:UNUSED_PAD src0_sel:WORD_1
	v_cvt_f32_f16_e32 v5, v29
	v_add_u32_e32 v34, 0x80, v34
	v_mul_f32_e32 v28, v14, v27
	v_mul_f32_e32 v27, v14, v31
	v_lshlrev_b64 v[31:32], 2, v[34:35]
	v_mul_f32_e32 v30, v14, v0
	v_mov_b32_e32 v0, s25
	v_add_co_u32_e32 v31, vcc, s24, v31
	v_mul_f32_e32 v29, v14, v5
	v_addc_co_u32_e32 v32, vcc, v0, v32, vcc
	global_store_dwordx4 v[31:32], v[27:30], off
	s_and_saveexec_b64 s[0:1], s[2:3]
	s_cbranch_execz .LBB13_19
; %bb.18:
	v_ashrrev_i32_e32 v14, 31, v13
	v_lshlrev_b64 v[27:28], 3, v[13:14]
	v_mov_b32_e32 v0, s27
	v_add_co_u32_e32 v27, vcc, s26, v27
	v_addc_co_u32_e32 v28, vcc, v0, v28, vcc
	v_mov_b32_e32 v0, v1
	v_mov_b32_e32 v1, v9
	global_store_dwordx2 v[27:28], v[0:1], off
.LBB13_19:
	s_or_b64 exec, exec, s[0:1]
	v_cndmask_b32_e64 v0, 0, 1, s[4:5]
	v_cmp_ne_u32_e64 s[0:1], 1, v0
	s_andn2_b64 vcc, exec, s[4:5]
	v_mov_b32_e32 v1, 1.0
	s_cbranch_vccnz .LBB13_21
; %bb.20:
	v_div_scale_f32 v0, s[4:5], v6, v6, 1.0
	v_div_scale_f32 v1, vcc, 1.0, v6, 1.0
	v_rcp_f32_e32 v5, v0
	v_fma_f32 v9, -v0, v5, 1.0
	v_fmac_f32_e32 v5, v9, v5
	v_mul_f32_e32 v9, v1, v5
	v_fma_f32 v14, -v0, v9, v1
	v_fmac_f32_e32 v9, v14, v5
	v_fma_f32 v0, -v0, v9, v1
	v_div_fmas_f32 v0, v0, v5, v9
	v_div_fixup_f32 v1, v0, v6, 1.0
.LBB13_21:
	v_cvt_f32_f16_sdwa v6, v26 dst_sel:DWORD dst_unused:UNUSED_PAD src0_sel:WORD_1
	v_add_u32_e32 v0, s6, v13
	v_cvt_f32_f16_sdwa v13, v23 dst_sel:DWORD dst_unused:UNUSED_PAD src0_sel:WORD_1
	v_cvt_f32_f16_e32 v14, v23
	v_cvt_f32_f16_e32 v9, v26
	v_lshl_add_u32 v5, v0, 8, v51
	v_mul_f32_e32 v29, v1, v6
	v_mov_b32_e32 v6, 0
	v_mul_f32_e32 v27, v1, v13
	v_mul_f32_e32 v26, v1, v14
	v_lshlrev_b64 v[13:14], 2, v[5:6]
	v_mul_f32_e32 v28, v1, v9
	v_mov_b32_e32 v9, s25
	v_add_co_u32_e32 v13, vcc, s24, v13
	v_addc_co_u32_e32 v14, vcc, v9, v14, vcc
	global_store_dwordx4 v[13:14], v[26:29], off
	v_cvt_f32_f16_sdwa v9, v25 dst_sel:DWORD dst_unused:UNUSED_PAD src0_sel:WORD_1
	v_cvt_f32_f16_e32 v13, v25
	v_cvt_f32_f16_sdwa v14, v24 dst_sel:DWORD dst_unused:UNUSED_PAD src0_sel:WORD_1
	v_cvt_f32_f16_e32 v23, v24
	v_add_u32_e32 v5, 0x80, v5
	v_lshlrev_b64 v[5:6], 2, v[5:6]
	v_mul_f32_e32 v26, v1, v9
	v_mul_f32_e32 v25, v1, v13
	;; [unrolled: 1-line block ×4, first 2 shown]
	v_mov_b32_e32 v1, s25
	v_add_co_u32_e32 v5, vcc, s24, v5
	v_addc_co_u32_e32 v6, vcc, v1, v6, vcc
	global_store_dwordx4 v[5:6], v[23:26], off
	s_and_saveexec_b64 s[4:5], s[2:3]
	s_cbranch_execz .LBB13_23
; %bb.22:
	v_ashrrev_i32_e32 v1, 31, v0
	v_lshlrev_b64 v[5:6], 3, v[0:1]
	v_mov_b32_e32 v1, s27
	v_add_co_u32_e32 v5, vcc, s26, v5
	v_addc_co_u32_e32 v6, vcc, v1, v6, vcc
	v_mov_b32_e32 v9, v2
	global_store_dwordx2 v[5:6], v[9:10], off
.LBB13_23:
	s_or_b64 exec, exec, s[4:5]
	s_and_b64 vcc, exec, s[0:1]
	v_mov_b32_e32 v1, 1.0
	s_cbranch_vccnz .LBB13_25
; %bb.24:
	v_div_scale_f32 v1, s[4:5], v7, v7, 1.0
	v_div_scale_f32 v2, vcc, 1.0, v7, 1.0
	v_rcp_f32_e32 v5, v1
	v_fma_f32 v6, -v1, v5, 1.0
	v_fmac_f32_e32 v5, v6, v5
	v_mul_f32_e32 v6, v2, v5
	v_fma_f32 v9, -v1, v6, v2
	v_fmac_f32_e32 v6, v9, v5
	v_fma_f32 v1, -v1, v6, v2
	v_div_fmas_f32 v1, v1, v5, v6
	v_div_fixup_f32 v1, v1, v7, 1.0
.LBB13_25:
	v_cvt_f32_f16_e32 v6, v22
	v_cvt_f32_f16_e32 v9, v19
	v_add_u32_e32 v0, s6, v0
	v_cvt_f32_f16_sdwa v2, v22 dst_sel:DWORD dst_unused:UNUSED_PAD src0_sel:WORD_1
	v_lshl_add_u32 v5, v0, 8, v51
	v_cvt_f32_f16_sdwa v7, v19 dst_sel:DWORD dst_unused:UNUSED_PAD src0_sel:WORD_1
	v_mul_f32_e32 v24, v1, v6
	v_mov_b32_e32 v6, 0
	v_mul_f32_e32 v22, v1, v9
	v_lshlrev_b64 v[9:10], 2, v[5:6]
	v_mul_f32_e32 v25, v1, v2
	v_mov_b32_e32 v2, s25
	v_add_co_u32_e32 v9, vcc, s24, v9
	v_mul_f32_e32 v23, v1, v7
	v_addc_co_u32_e32 v10, vcc, v2, v10, vcc
	global_store_dwordx4 v[9:10], v[22:25], off
	v_cvt_f32_f16_sdwa v2, v21 dst_sel:DWORD dst_unused:UNUSED_PAD src0_sel:WORD_1
	v_cvt_f32_f16_e32 v7, v21
	v_cvt_f32_f16_sdwa v9, v20 dst_sel:DWORD dst_unused:UNUSED_PAD src0_sel:WORD_1
	v_cvt_f32_f16_e32 v10, v20
	v_add_u32_e32 v5, 0x80, v5
	v_mul_f32_e32 v22, v1, v2
	v_mul_f32_e32 v21, v1, v7
	;; [unrolled: 1-line block ×4, first 2 shown]
	v_lshlrev_b64 v[1:2], 2, v[5:6]
	v_mov_b32_e32 v5, s25
	v_add_co_u32_e32 v1, vcc, s24, v1
	v_addc_co_u32_e32 v2, vcc, v5, v2, vcc
	global_store_dwordx4 v[1:2], v[19:22], off
	s_and_saveexec_b64 s[4:5], s[2:3]
	s_cbranch_execz .LBB13_27
; %bb.26:
	v_ashrrev_i32_e32 v1, 31, v0
	v_lshlrev_b64 v[1:2], 3, v[0:1]
	v_mov_b32_e32 v5, s27
	v_add_co_u32_e32 v1, vcc, s26, v1
	v_addc_co_u32_e32 v2, vcc, v5, v2, vcc
	v_mov_b32_e32 v10, v3
	global_store_dwordx2 v[1:2], v[10:11], off
.LBB13_27:
	s_or_b64 exec, exec, s[4:5]
	s_and_b64 vcc, exec, s[0:1]
	v_mov_b32_e32 v1, 1.0
	s_cbranch_vccnz .LBB13_29
; %bb.28:
	v_div_scale_f32 v1, s[0:1], v8, v8, 1.0
	v_div_scale_f32 v2, vcc, 1.0, v8, 1.0
	v_rcp_f32_e32 v3, v1
	v_fma_f32 v5, -v1, v3, 1.0
	v_fmac_f32_e32 v3, v5, v3
	v_mul_f32_e32 v5, v2, v3
	v_fma_f32 v6, -v1, v5, v2
	v_fmac_f32_e32 v5, v6, v3
	v_fma_f32 v1, -v1, v5, v2
	v_div_fmas_f32 v1, v1, v3, v5
	v_div_fixup_f32 v1, v1, v8, 1.0
.LBB13_29:
	v_cvt_f32_f16_sdwa v3, v18 dst_sel:DWORD dst_unused:UNUSED_PAD src0_sel:WORD_1
	v_cvt_f32_f16_e32 v5, v18
	v_cvt_f32_f16_e32 v9, v17
	v_add_u32_e32 v0, s6, v0
	v_lshl_add_u32 v2, v0, 8, v51
	v_cvt_f32_f16_sdwa v6, v17 dst_sel:DWORD dst_unused:UNUSED_PAD src0_sel:WORD_1
	v_mul_f32_e32 v8, v1, v3
	v_mov_b32_e32 v3, 0
	v_mul_f32_e32 v7, v1, v5
	v_mul_f32_e32 v5, v1, v9
	v_lshlrev_b64 v[9:10], 2, v[2:3]
	v_mov_b32_e32 v11, s25
	v_add_co_u32_e32 v9, vcc, s24, v9
	v_mul_f32_e32 v6, v1, v6
	v_addc_co_u32_e32 v10, vcc, v11, v10, vcc
	global_store_dwordx4 v[9:10], v[5:8], off
	v_cvt_f32_f16_sdwa v9, v16 dst_sel:DWORD dst_unused:UNUSED_PAD src0_sel:WORD_1
	v_cvt_f32_f16_sdwa v5, v15 dst_sel:DWORD dst_unused:UNUSED_PAD src0_sel:WORD_1
	v_cvt_f32_f16_e32 v6, v15
	v_cvt_f32_f16_e32 v10, v16
	v_add_u32_e32 v2, 0x80, v2
	v_mul_f32_e32 v8, v1, v5
	v_mul_f32_e32 v7, v1, v6
	;; [unrolled: 1-line block ×4, first 2 shown]
	v_lshlrev_b64 v[1:2], 2, v[2:3]
	v_mov_b32_e32 v3, s25
	v_add_co_u32_e32 v1, vcc, s24, v1
	v_addc_co_u32_e32 v2, vcc, v3, v2, vcc
	global_store_dwordx4 v[1:2], v[5:8], off
	s_and_b64 exec, exec, s[2:3]
	s_cbranch_execz .LBB13_13
; %bb.30:
	v_ashrrev_i32_e32 v1, 31, v0
	v_lshlrev_b64 v[0:1], 3, v[0:1]
	v_mov_b32_e32 v2, s27
	v_add_co_u32_e32 v0, vcc, s26, v0
	v_addc_co_u32_e32 v1, vcc, v2, v1, vcc
	v_mov_b32_e32 v11, v4
	global_store_dwordx2 v[0:1], v[11:12], off
	s_endpgm
	.section	.rodata,"a",@progbits
	.p2align	6, 0x0
	.amdhsa_kernel _ZL15flash_attn_tileILi256ELi256ELi8ELi4ELb0EEvPKcS1_S1_S1_S1_PKiPfP15HIP_vector_typeIfLj2EEffffjfiS5_IjLj3EEiiiiiiiiiiiliiliiiiil
		.amdhsa_group_segment_fixed_size 27136
		.amdhsa_private_segment_fixed_size 16
		.amdhsa_kernarg_size 464
		.amdhsa_user_sgpr_count 6
		.amdhsa_user_sgpr_private_segment_buffer 1
		.amdhsa_user_sgpr_dispatch_ptr 0
		.amdhsa_user_sgpr_queue_ptr 0
		.amdhsa_user_sgpr_kernarg_segment_ptr 1
		.amdhsa_user_sgpr_dispatch_id 0
		.amdhsa_user_sgpr_flat_scratch_init 0
		.amdhsa_user_sgpr_private_segment_size 0
		.amdhsa_uses_dynamic_stack 0
		.amdhsa_system_sgpr_private_segment_wavefront_offset 1
		.amdhsa_system_sgpr_workgroup_id_x 1
		.amdhsa_system_sgpr_workgroup_id_y 1
		.amdhsa_system_sgpr_workgroup_id_z 1
		.amdhsa_system_sgpr_workgroup_info 0
		.amdhsa_system_vgpr_workitem_id 1
		.amdhsa_next_free_vgpr 128
		.amdhsa_next_free_sgpr 98
		.amdhsa_reserve_vcc 1
		.amdhsa_reserve_flat_scratch 0
		.amdhsa_float_round_mode_32 0
		.amdhsa_float_round_mode_16_64 0
		.amdhsa_float_denorm_mode_32 3
		.amdhsa_float_denorm_mode_16_64 3
		.amdhsa_dx10_clamp 1
		.amdhsa_ieee_mode 1
		.amdhsa_fp16_overflow 0
		.amdhsa_exception_fp_ieee_invalid_op 0
		.amdhsa_exception_fp_denorm_src 0
		.amdhsa_exception_fp_ieee_div_zero 0
		.amdhsa_exception_fp_ieee_overflow 0
		.amdhsa_exception_fp_ieee_underflow 0
		.amdhsa_exception_fp_ieee_inexact 0
		.amdhsa_exception_int_div_zero 0
	.end_amdhsa_kernel
	.section	.text._ZL15flash_attn_tileILi256ELi256ELi8ELi4ELb0EEvPKcS1_S1_S1_S1_PKiPfP15HIP_vector_typeIfLj2EEffffjfiS5_IjLj3EEiiiiiiiiiiiliiliiiiil,"axG",@progbits,_ZL15flash_attn_tileILi256ELi256ELi8ELi4ELb0EEvPKcS1_S1_S1_S1_PKiPfP15HIP_vector_typeIfLj2EEffffjfiS5_IjLj3EEiiiiiiiiiiiliiliiiiil,comdat
.Lfunc_end13:
	.size	_ZL15flash_attn_tileILi256ELi256ELi8ELi4ELb0EEvPKcS1_S1_S1_S1_PKiPfP15HIP_vector_typeIfLj2EEffffjfiS5_IjLj3EEiiiiiiiiiiiliiliiiiil, .Lfunc_end13-_ZL15flash_attn_tileILi256ELi256ELi8ELi4ELb0EEvPKcS1_S1_S1_S1_PKiPfP15HIP_vector_typeIfLj2EEffffjfiS5_IjLj3EEiiiiiiiiiiiliiliiiiil
                                        ; -- End function
	.set _ZL15flash_attn_tileILi256ELi256ELi8ELi4ELb0EEvPKcS1_S1_S1_S1_PKiPfP15HIP_vector_typeIfLj2EEffffjfiS5_IjLj3EEiiiiiiiiiiiliiliiiiil.num_vgpr, 128
	.set _ZL15flash_attn_tileILi256ELi256ELi8ELi4ELb0EEvPKcS1_S1_S1_S1_PKiPfP15HIP_vector_typeIfLj2EEffffjfiS5_IjLj3EEiiiiiiiiiiiliiliiiiil.num_agpr, 0
	.set _ZL15flash_attn_tileILi256ELi256ELi8ELi4ELb0EEvPKcS1_S1_S1_S1_PKiPfP15HIP_vector_typeIfLj2EEffffjfiS5_IjLj3EEiiiiiiiiiiiliiliiiiil.numbered_sgpr, 48
	.set _ZL15flash_attn_tileILi256ELi256ELi8ELi4ELb0EEvPKcS1_S1_S1_S1_PKiPfP15HIP_vector_typeIfLj2EEffffjfiS5_IjLj3EEiiiiiiiiiiiliiliiiiil.num_named_barrier, 0
	.set _ZL15flash_attn_tileILi256ELi256ELi8ELi4ELb0EEvPKcS1_S1_S1_S1_PKiPfP15HIP_vector_typeIfLj2EEffffjfiS5_IjLj3EEiiiiiiiiiiiliiliiiiil.private_seg_size, 16
	.set _ZL15flash_attn_tileILi256ELi256ELi8ELi4ELb0EEvPKcS1_S1_S1_S1_PKiPfP15HIP_vector_typeIfLj2EEffffjfiS5_IjLj3EEiiiiiiiiiiiliiliiiiil.uses_vcc, 1
	.set _ZL15flash_attn_tileILi256ELi256ELi8ELi4ELb0EEvPKcS1_S1_S1_S1_PKiPfP15HIP_vector_typeIfLj2EEffffjfiS5_IjLj3EEiiiiiiiiiiiliiliiiiil.uses_flat_scratch, 0
	.set _ZL15flash_attn_tileILi256ELi256ELi8ELi4ELb0EEvPKcS1_S1_S1_S1_PKiPfP15HIP_vector_typeIfLj2EEffffjfiS5_IjLj3EEiiiiiiiiiiiliiliiiiil.has_dyn_sized_stack, 0
	.set _ZL15flash_attn_tileILi256ELi256ELi8ELi4ELb0EEvPKcS1_S1_S1_S1_PKiPfP15HIP_vector_typeIfLj2EEffffjfiS5_IjLj3EEiiiiiiiiiiiliiliiiiil.has_recursion, 0
	.set _ZL15flash_attn_tileILi256ELi256ELi8ELi4ELb0EEvPKcS1_S1_S1_S1_PKiPfP15HIP_vector_typeIfLj2EEffffjfiS5_IjLj3EEiiiiiiiiiiiliiliiiiil.has_indirect_call, 0
	.section	.AMDGPU.csdata,"",@progbits
; Kernel info:
; codeLenInByte = 18536
; TotalNumSgprs: 52
; NumVgprs: 128
; ScratchSize: 16
; MemoryBound: 0
; FloatMode: 240
; IeeeMode: 1
; LDSByteSize: 27136 bytes/workgroup (compile time only)
; SGPRBlocks: 12
; VGPRBlocks: 31
; NumSGPRsForWavesPerEU: 102
; NumVGPRsForWavesPerEU: 128
; Occupancy: 2
; WaveLimiterHint : 1
; COMPUTE_PGM_RSRC2:SCRATCH_EN: 1
; COMPUTE_PGM_RSRC2:USER_SGPR: 6
; COMPUTE_PGM_RSRC2:TRAP_HANDLER: 0
; COMPUTE_PGM_RSRC2:TGID_X_EN: 1
; COMPUTE_PGM_RSRC2:TGID_Y_EN: 1
; COMPUTE_PGM_RSRC2:TGID_Z_EN: 1
; COMPUTE_PGM_RSRC2:TIDIG_COMP_CNT: 1
	.section	.text._ZL25flash_attn_mask_to_KV_maxILi8EEvPK7__half2Piiii,"axG",@progbits,_ZL25flash_attn_mask_to_KV_maxILi8EEvPK7__half2Piiii,comdat
	.globl	_ZL25flash_attn_mask_to_KV_maxILi8EEvPK7__half2Piiii ; -- Begin function _ZL25flash_attn_mask_to_KV_maxILi8EEvPK7__half2Piiii
	.p2align	8
	.type	_ZL25flash_attn_mask_to_KV_maxILi8EEvPK7__half2Piiii,@function
_ZL25flash_attn_mask_to_KV_maxILi8EEvPK7__half2Piiii: ; @_ZL25flash_attn_mask_to_KV_maxILi8EEvPK7__half2Piiii
; %bb.0:
	s_load_dwordx4 s[8:11], s[4:5], 0x0
	v_cmp_gt_u32_e32 vcc, 32, v0
	s_and_saveexec_b64 s[0:1], vcc
; %bb.1:
	v_lshlrev_b32_e32 v1, 2, v0
	v_mov_b32_e32 v2, 1
	ds_write_b32 v1, v2
; %bb.2:
	s_or_b64 exec, exec, s[0:1]
	s_load_dwordx4 s[12:15], s[4:5], 0x10
	s_load_dword s33, s[4:5], 0x20
	v_and_b32_e32 v1, 31, v0
	v_lshlrev_b32_e32 v6, 2, v1
	v_lshrrev_b32_e32 v5, 3, v0
	s_waitcnt lgkmcnt(0)
	s_mul_i32 s1, s6, s13
	s_mul_i32 s0, s14, s7
	s_lshl_b32 s1, s1, 3
	s_add_i32 s0, s0, s1
	s_ashr_i32 s1, s0, 31
	s_lshl_b64 s[0:1], s[0:1], 2
	s_add_u32 s40, s8, s0
	s_addc_u32 s41, s9, s1
	v_cmp_eq_u32_e64 s[0:1], 0, v1
	v_mbcnt_lo_u32_b32 v1, -1, 0
	s_lshl_b32 s12, s12, 8
	s_mov_b64 s[4:5], 0
	v_mov_b32_e32 v2, 0
	s_movk_i32 s42, 0x204
	v_mbcnt_hi_u32_b32 v7, -1, v1
	s_barrier
                                        ; implicit-def: $sgpr2_sgpr3
	s_branch .LBB14_5
.LBB14_3:                               ;   in Loop: Header=BB14_5 Depth=1
	s_or_b64 exec, exec, s[8:9]
	s_waitcnt lgkmcnt(0)
	s_barrier
	ds_read_b32 v10, v6
	s_waitcnt lgkmcnt(0)
	s_barrier
	ds_bpermute_b32 v1, v1, v10
	v_cmp_ne_u32_e32 vcc, 0, v10
	s_waitcnt lgkmcnt(0)
	v_cmp_ne_u32_e64 s[2:3], 0, v1
	s_and_b64 s[2:3], vcc, s[2:3]
	v_cndmask_b32_e64 v1, 0, 1, s[2:3]
	ds_bpermute_b32 v1, v3, v1
	s_waitcnt lgkmcnt(0)
	v_cmp_ne_u32_e32 vcc, 0, v1
	s_and_b64 s[2:3], vcc, s[2:3]
	v_cndmask_b32_e64 v1, 0, 1, s[2:3]
	ds_bpermute_b32 v1, v4, v1
	s_waitcnt lgkmcnt(0)
	v_cmp_ne_u32_e32 vcc, 0, v1
	s_and_b64 s[2:3], vcc, s[2:3]
	v_cndmask_b32_e64 v1, 0, 1, s[2:3]
	ds_bpermute_b32 v1, v8, v1
	s_waitcnt lgkmcnt(0)
	v_cmp_ne_u32_e32 vcc, 0, v1
	s_and_b64 s[2:3], vcc, s[2:3]
	v_cndmask_b32_e64 v1, 0, 1, s[2:3]
	ds_bpermute_b32 v1, v9, v1
	s_xor_b64 s[2:3], s[2:3], -1
	s_waitcnt lgkmcnt(0)
	v_cmp_eq_u32_e32 vcc, 0, v1
	s_or_b64 s[2:3], vcc, s[2:3]
.LBB14_4:                               ;   in Loop: Header=BB14_5 Depth=1
	s_and_b64 s[8:9], exec, s[2:3]
	s_or_b64 s[4:5], s[8:9], s[4:5]
	v_mov_b32_e32 v1, s12
	s_mov_b32 s12, s43
	s_andn2_b64 exec, exec, s[4:5]
	s_cbranch_execz .LBB14_36
.LBB14_5:                               ; =>This Inner Loop Header: Depth=1
	s_add_i32 s43, s12, 0xffffff00
	s_or_b64 s[2:3], s[2:3], exec
	s_cmp_lt_i32 s43, 0
	s_cbranch_scc1 .LBB14_4
; %bb.6:                                ;   in Loop: Header=BB14_5 Depth=1
	s_lshr_b32 s2, s43, 1
	v_add_u32_e32 v1, s2, v0
	v_lshlrev_b64 v[3:4], 2, v[1:2]
	v_mov_b32_e32 v8, s41
	v_add_co_u32_e32 v3, vcc, s40, v3
	v_addc_co_u32_e32 v4, vcc, v8, v4, vcc
	global_load_dword v3, v[3:4], off
	v_mov_b32_e32 v4, 0
	s_waitcnt vmcnt(0)
	v_cmp_class_f16_e64 s[2:3], v3, s42
	v_cmp_class_f16_sdwa s[8:9], v3, s42 src0_sel:WORD_1 src1_sel:DWORD
	s_and_b64 s[8:9], s[2:3], s[8:9]
	s_and_saveexec_b64 s[2:3], s[8:9]
	s_cbranch_execz .LBB14_34
; %bb.7:                                ;   in Loop: Header=BB14_5 Depth=1
	v_add_u32_e32 v3, s13, v1
	v_ashrrev_i32_e32 v4, 31, v3
	v_lshlrev_b64 v[8:9], 2, v[3:4]
	v_mov_b32_e32 v1, s41
	v_add_co_u32_e32 v8, vcc, s40, v8
	v_addc_co_u32_e32 v9, vcc, v1, v9, vcc
	global_load_dword v1, v[8:9], off
	v_mov_b32_e32 v4, 0
	s_waitcnt vmcnt(0)
	v_cmp_class_f16_e64 s[14:15], v1, s42
	s_and_saveexec_b64 s[8:9], s[14:15]
	s_cbranch_execz .LBB14_33
; %bb.8:                                ;   in Loop: Header=BB14_5 Depth=1
	v_cmp_class_f16_sdwa s[16:17], v1, s42 src0_sel:WORD_1 src1_sel:DWORD
	v_mov_b32_e32 v4, 0
	s_and_saveexec_b64 s[14:15], s[16:17]
	s_cbranch_execz .LBB14_32
; %bb.9:                                ;   in Loop: Header=BB14_5 Depth=1
	v_add_u32_e32 v3, s13, v3
	v_ashrrev_i32_e32 v4, 31, v3
	v_lshlrev_b64 v[8:9], 2, v[3:4]
	v_mov_b32_e32 v1, s41
	v_add_co_u32_e32 v8, vcc, s40, v8
	v_addc_co_u32_e32 v9, vcc, v1, v9, vcc
	global_load_dword v1, v[8:9], off
	v_mov_b32_e32 v4, 0
	s_waitcnt vmcnt(0)
	v_cmp_class_f16_e64 s[18:19], v1, s42
	s_and_saveexec_b64 s[16:17], s[18:19]
	s_cbranch_execz .LBB14_31
; %bb.10:                               ;   in Loop: Header=BB14_5 Depth=1
	v_cmp_class_f16_sdwa s[20:21], v1, s42 src0_sel:WORD_1 src1_sel:DWORD
	v_mov_b32_e32 v4, 0
	s_and_saveexec_b64 s[18:19], s[20:21]
	s_cbranch_execz .LBB14_30
; %bb.11:                               ;   in Loop: Header=BB14_5 Depth=1
	v_add_u32_e32 v3, s13, v3
	v_ashrrev_i32_e32 v4, 31, v3
	v_lshlrev_b64 v[8:9], 2, v[3:4]
	v_mov_b32_e32 v1, s41
	v_add_co_u32_e32 v8, vcc, s40, v8
	v_addc_co_u32_e32 v9, vcc, v1, v9, vcc
	global_load_dword v1, v[8:9], off
	v_mov_b32_e32 v4, 0
	s_waitcnt vmcnt(0)
	v_cmp_class_f16_e64 s[22:23], v1, s42
	s_and_saveexec_b64 s[20:21], s[22:23]
	s_cbranch_execz .LBB14_29
; %bb.12:                               ;   in Loop: Header=BB14_5 Depth=1
	v_cmp_class_f16_sdwa s[24:25], v1, s42 src0_sel:WORD_1 src1_sel:DWORD
	v_mov_b32_e32 v4, 0
	s_and_saveexec_b64 s[22:23], s[24:25]
	s_cbranch_execz .LBB14_28
; %bb.13:                               ;   in Loop: Header=BB14_5 Depth=1
	;; [unrolled: 18-line block ×5, first 2 shown]
	v_add_u32_e32 v3, s13, v3
	v_ashrrev_i32_e32 v4, 31, v3
	v_lshlrev_b64 v[3:4], 2, v[3:4]
	v_mov_b32_e32 v1, s41
	v_add_co_u32_e32 v3, vcc, s40, v3
	v_addc_co_u32_e32 v4, vcc, v1, v4, vcc
	global_load_dword v1, v[3:4], off
	v_mov_b32_e32 v4, 0
	s_waitcnt vmcnt(0)
	v_cmp_class_f16_e64 s[44:45], v1, s42
	s_and_saveexec_b64 s[38:39], s[44:45]
; %bb.20:                               ;   in Loop: Header=BB14_5 Depth=1
	v_cmp_class_f16_sdwa s[44:45], v1, s42 src0_sel:WORD_1 src1_sel:DWORD
	v_cndmask_b32_e64 v4, 0, 1, s[44:45]
; %bb.21:                               ;   in Loop: Header=BB14_5 Depth=1
	s_or_b64 exec, exec, s[38:39]
.LBB14_22:                              ;   in Loop: Header=BB14_5 Depth=1
	s_or_b64 exec, exec, s[36:37]
.LBB14_23:                              ;   in Loop: Header=BB14_5 Depth=1
	s_or_b64 exec, exec, s[34:35]
.LBB14_24:                              ;   in Loop: Header=BB14_5 Depth=1
	s_or_b64 exec, exec, s[30:31]
.LBB14_25:                              ;   in Loop: Header=BB14_5 Depth=1
	s_or_b64 exec, exec, s[28:29]
.LBB14_26:                              ;   in Loop: Header=BB14_5 Depth=1
	s_or_b64 exec, exec, s[26:27]
.LBB14_27:                              ;   in Loop: Header=BB14_5 Depth=1
	s_or_b64 exec, exec, s[24:25]
.LBB14_28:                              ;   in Loop: Header=BB14_5 Depth=1
	s_or_b64 exec, exec, s[22:23]
.LBB14_29:                              ;   in Loop: Header=BB14_5 Depth=1
	s_or_b64 exec, exec, s[20:21]
.LBB14_30:                              ;   in Loop: Header=BB14_5 Depth=1
	s_or_b64 exec, exec, s[18:19]
.LBB14_31:                              ;   in Loop: Header=BB14_5 Depth=1
	s_or_b64 exec, exec, s[16:17]
.LBB14_32:                              ;   in Loop: Header=BB14_5 Depth=1
	s_or_b64 exec, exec, s[14:15]
.LBB14_33:                              ;   in Loop: Header=BB14_5 Depth=1
	s_or_b64 exec, exec, s[8:9]
.LBB14_34:                              ;   in Loop: Header=BB14_5 Depth=1
	s_or_b64 exec, exec, s[2:3]
	v_and_b32_e32 v1, 0x60, v7
	v_add_u32_e32 v9, 32, v1
	v_xor_b32_e32 v1, 16, v7
	v_cmp_lt_i32_e32 vcc, v1, v9
	v_cndmask_b32_e32 v1, v7, v1, vcc
	v_lshlrev_b32_e32 v1, 2, v1
	ds_bpermute_b32 v3, v1, v4
	v_cmp_ne_u32_e32 vcc, 0, v4
	v_xor_b32_e32 v11, 1, v7
	s_waitcnt lgkmcnt(0)
	v_cmp_ne_u32_e64 s[2:3], 0, v3
	v_xor_b32_e32 v3, 8, v7
	s_and_b64 s[2:3], vcc, s[2:3]
	v_cmp_lt_i32_e32 vcc, v3, v9
	v_cndmask_b32_e32 v3, v7, v3, vcc
	v_cndmask_b32_e64 v4, 0, 1, s[2:3]
	v_lshlrev_b32_e32 v3, 2, v3
	ds_bpermute_b32 v4, v3, v4
	s_waitcnt lgkmcnt(0)
	v_cmp_ne_u32_e32 vcc, 0, v4
	v_xor_b32_e32 v4, 4, v7
	s_and_b64 s[2:3], vcc, s[2:3]
	v_cmp_lt_i32_e32 vcc, v4, v9
	v_cndmask_b32_e32 v4, v7, v4, vcc
	v_cndmask_b32_e64 v8, 0, 1, s[2:3]
	v_lshlrev_b32_e32 v4, 2, v4
	ds_bpermute_b32 v8, v4, v8
	s_waitcnt lgkmcnt(0)
	v_cmp_ne_u32_e32 vcc, 0, v8
	;; [unrolled: 9-line block ×3, first 2 shown]
	s_and_b64 s[2:3], vcc, s[2:3]
	v_cmp_lt_i32_e32 vcc, v11, v9
	v_cndmask_b32_e32 v9, v7, v11, vcc
	v_cndmask_b32_e64 v10, 0, 1, s[2:3]
	v_lshlrev_b32_e32 v9, 2, v9
	ds_bpermute_b32 v10, v9, v10
	s_and_saveexec_b64 s[8:9], s[0:1]
	s_cbranch_execz .LBB14_3
; %bb.35:                               ;   in Loop: Header=BB14_5 Depth=1
	s_waitcnt lgkmcnt(0)
	v_cmp_ne_u32_e32 vcc, 0, v10
	s_and_b64 s[2:3], vcc, s[2:3]
	v_cndmask_b32_e64 v10, 0, 1, s[2:3]
	ds_write_b32 v5, v10
	s_branch .LBB14_3
.LBB14_36:
	s_or_b64 exec, exec, s[4:5]
	v_cmp_eq_u32_e32 vcc, 0, v0
	s_and_saveexec_b64 s[0:1], vcc
	s_cbranch_execz .LBB14_38
; %bb.37:
	s_mul_i32 s0, s33, s7
	s_add_i32 s0, s0, s6
	s_ashr_i32 s1, s0, 31
	s_lshl_b64 s[0:1], s[0:1], 2
	s_add_u32 s0, s10, s0
	s_addc_u32 s1, s11, s1
	v_mov_b32_e32 v0, 0
	global_store_dword v0, v1, s[0:1]
.LBB14_38:
	s_endpgm
	.section	.rodata,"a",@progbits
	.p2align	6, 0x0
	.amdhsa_kernel _ZL25flash_attn_mask_to_KV_maxILi8EEvPK7__half2Piiii
		.amdhsa_group_segment_fixed_size 128
		.amdhsa_private_segment_fixed_size 0
		.amdhsa_kernarg_size 288
		.amdhsa_user_sgpr_count 6
		.amdhsa_user_sgpr_private_segment_buffer 1
		.amdhsa_user_sgpr_dispatch_ptr 0
		.amdhsa_user_sgpr_queue_ptr 0
		.amdhsa_user_sgpr_kernarg_segment_ptr 1
		.amdhsa_user_sgpr_dispatch_id 0
		.amdhsa_user_sgpr_flat_scratch_init 0
		.amdhsa_user_sgpr_private_segment_size 0
		.amdhsa_uses_dynamic_stack 0
		.amdhsa_system_sgpr_private_segment_wavefront_offset 0
		.amdhsa_system_sgpr_workgroup_id_x 1
		.amdhsa_system_sgpr_workgroup_id_y 1
		.amdhsa_system_sgpr_workgroup_id_z 0
		.amdhsa_system_sgpr_workgroup_info 0
		.amdhsa_system_vgpr_workitem_id 0
		.amdhsa_next_free_vgpr 12
		.amdhsa_next_free_sgpr 46
		.amdhsa_reserve_vcc 1
		.amdhsa_reserve_flat_scratch 0
		.amdhsa_float_round_mode_32 0
		.amdhsa_float_round_mode_16_64 0
		.amdhsa_float_denorm_mode_32 3
		.amdhsa_float_denorm_mode_16_64 3
		.amdhsa_dx10_clamp 1
		.amdhsa_ieee_mode 1
		.amdhsa_fp16_overflow 0
		.amdhsa_exception_fp_ieee_invalid_op 0
		.amdhsa_exception_fp_denorm_src 0
		.amdhsa_exception_fp_ieee_div_zero 0
		.amdhsa_exception_fp_ieee_overflow 0
		.amdhsa_exception_fp_ieee_underflow 0
		.amdhsa_exception_fp_ieee_inexact 0
		.amdhsa_exception_int_div_zero 0
	.end_amdhsa_kernel
	.section	.text._ZL25flash_attn_mask_to_KV_maxILi8EEvPK7__half2Piiii,"axG",@progbits,_ZL25flash_attn_mask_to_KV_maxILi8EEvPK7__half2Piiii,comdat
.Lfunc_end14:
	.size	_ZL25flash_attn_mask_to_KV_maxILi8EEvPK7__half2Piiii, .Lfunc_end14-_ZL25flash_attn_mask_to_KV_maxILi8EEvPK7__half2Piiii
                                        ; -- End function
	.set _ZL25flash_attn_mask_to_KV_maxILi8EEvPK7__half2Piiii.num_vgpr, 12
	.set _ZL25flash_attn_mask_to_KV_maxILi8EEvPK7__half2Piiii.num_agpr, 0
	.set _ZL25flash_attn_mask_to_KV_maxILi8EEvPK7__half2Piiii.numbered_sgpr, 46
	.set _ZL25flash_attn_mask_to_KV_maxILi8EEvPK7__half2Piiii.num_named_barrier, 0
	.set _ZL25flash_attn_mask_to_KV_maxILi8EEvPK7__half2Piiii.private_seg_size, 0
	.set _ZL25flash_attn_mask_to_KV_maxILi8EEvPK7__half2Piiii.uses_vcc, 1
	.set _ZL25flash_attn_mask_to_KV_maxILi8EEvPK7__half2Piiii.uses_flat_scratch, 0
	.set _ZL25flash_attn_mask_to_KV_maxILi8EEvPK7__half2Piiii.has_dyn_sized_stack, 0
	.set _ZL25flash_attn_mask_to_KV_maxILi8EEvPK7__half2Piiii.has_recursion, 0
	.set _ZL25flash_attn_mask_to_KV_maxILi8EEvPK7__half2Piiii.has_indirect_call, 0
	.section	.AMDGPU.csdata,"",@progbits
; Kernel info:
; codeLenInByte = 1360
; TotalNumSgprs: 50
; NumVgprs: 12
; ScratchSize: 0
; MemoryBound: 0
; FloatMode: 240
; IeeeMode: 1
; LDSByteSize: 128 bytes/workgroup (compile time only)
; SGPRBlocks: 6
; VGPRBlocks: 2
; NumSGPRsForWavesPerEU: 50
; NumVGPRsForWavesPerEU: 12
; Occupancy: 10
; WaveLimiterHint : 0
; COMPUTE_PGM_RSRC2:SCRATCH_EN: 0
; COMPUTE_PGM_RSRC2:USER_SGPR: 6
; COMPUTE_PGM_RSRC2:TRAP_HANDLER: 0
; COMPUTE_PGM_RSRC2:TGID_X_EN: 1
; COMPUTE_PGM_RSRC2:TGID_Y_EN: 1
; COMPUTE_PGM_RSRC2:TGID_Z_EN: 0
; COMPUTE_PGM_RSRC2:TIDIG_COMP_CNT: 0
	.section	.text._ZL33flash_attn_stream_k_fixup_uniformILi256ELi8ELi4EEvPfPK15HIP_vector_typeIfLj2EEiiiiiiS1_IjLj3EES5_S5_,"axG",@progbits,_ZL33flash_attn_stream_k_fixup_uniformILi256ELi8ELi4EEvPfPK15HIP_vector_typeIfLj2EEiiiiiiS1_IjLj3EES5_S5_,comdat
	.globl	_ZL33flash_attn_stream_k_fixup_uniformILi256ELi8ELi4EEvPfPK15HIP_vector_typeIfLj2EEiiiiiiS1_IjLj3EES5_S5_ ; -- Begin function _ZL33flash_attn_stream_k_fixup_uniformILi256ELi8ELi4EEvPfPK15HIP_vector_typeIfLj2EEiiiiiiS1_IjLj3EES5_S5_
	.p2align	8
	.type	_ZL33flash_attn_stream_k_fixup_uniformILi256ELi8ELi4EEvPfPK15HIP_vector_typeIfLj2EEiiiiiiS1_IjLj3EES5_S5_,@function
_ZL33flash_attn_stream_k_fixup_uniformILi256ELi8ELi4EEvPfPK15HIP_vector_typeIfLj2EEiiiiiiS1_IjLj3EES5_S5_: ; @_ZL33flash_attn_stream_k_fixup_uniformILi256ELi8ELi4EEvPfPK15HIP_vector_typeIfLj2EEiiiiiiS1_IjLj3EES5_S5_
; %bb.0:
	s_load_dwordx8 s[12:19], s[4:5], 0x1c
	s_load_dwordx2 s[10:11], s[4:5], 0x10
	s_load_dwordx4 s[0:3], s[4:5], 0x3c
	s_waitcnt lgkmcnt(0)
	s_mul_hi_u32 s9, s15, s6
	s_add_i32 s9, s6, s9
	s_lshr_b32 s9, s9, s16
	s_mul_i32 s15, s9, s17
	s_sub_i32 s15, s6, s15
	s_mul_hi_u32 s16, s15, s18
	s_add_i32 s16, s15, s16
	s_lshr_b32 s16, s16, s19
	s_mul_i32 s0, s16, s0
	s_sub_i32 s0, s15, s0
	s_mul_hi_u32 s1, s0, s1
	s_add_i32 s1, s0, s1
	s_lshr_b32 s1, s1, s2
	s_mul_i32 s2, s1, s3
	s_sub_i32 s17, s0, s2
	s_lshl_b32 s0, s17, 3
	s_lshl_b32 s15, s1, 2
	s_add_i32 s0, s0, s7
	s_cmp_lt_i32 s0, s10
	s_cselect_b64 s[0:1], -1, 0
	s_add_i32 s2, s15, s8
	s_cmp_lt_i32 s2, s13
	s_cselect_b64 s[2:3], -1, 0
	s_and_b64 s[0:1], s[0:1], s[2:3]
	s_andn2_b64 vcc, exec, s[0:1]
	s_cbranch_vccnz .LBB15_6
; %bb.1:
	s_load_dwordx4 s[0:3], s[4:5], 0x0
	s_mul_i32 s4, s9, s10
	s_add_i32 s4, s4, s7
	s_mul_i32 s4, s4, s11
	s_mul_i32 s16, s16, s13
	s_add_i32 s4, s4, s8
	s_add_i32 s4, s4, s16
	s_mul_i32 s5, s11, s17
	s_add_i32 s4, s4, s15
	s_lshl_b32 s5, s5, 11
	s_lshl_b32 s4, s4, 8
	s_add_i32 s5, s5, s4
	v_or_b32_e32 v1, s5, v0
	v_ashrrev_i32_e32 v2, 31, v1
	v_lshlrev_b64 v[1:2], 2, v[1:2]
	s_waitcnt lgkmcnt(0)
	v_mov_b32_e32 v3, s1
	v_add_co_u32_e32 v1, vcc, s0, v1
	v_addc_co_u32_e32 v2, vcc, v3, v2, vcc
	global_load_dword v8, v[1:2], off
	s_mul_i32 s9, s14, s6
	s_lshl_b32 s4, s7, 2
	s_add_i32 s11, s9, s14
	s_add_i32 s0, s4, s8
	s_lshl_b32 s1, s11, 5
	s_add_i32 s0, s0, s1
	s_sub_i32 s0, s0, 32
	s_ashr_i32 s1, s0, 31
	s_lshl_b64 s[0:1], s[0:1], 3
	s_add_u32 s0, s2, s0
	s_addc_u32 s1, s3, s1
	s_load_dword s5, s[0:1], 0x4
	s_add_i32 s10, s11, -2
	s_cmp_lt_i32 s10, s9
	s_cbranch_scc1 .LBB15_4
; %bb.2:
	s_lshl_b32 s16, s12, 7
	s_ashr_i32 s17, s16, 31
	s_lshl_b64 s[16:17], s[16:17], 2
	s_add_u32 s10, s2, s16
	s_addc_u32 s13, s3, s17
	s_add_i32 s6, s6, 1
	s_load_dword s0, s[0:1], 0x0
	s_mul_i32 s1, s14, s6
	s_lshl_b32 s7, s7, 10
	s_lshl_b32 s14, s8, 8
	s_lshl_b32 s6, s1, 13
	s_add_i32 s7, s14, s7
	s_lshl_b32 s1, s1, 5
	s_add_i32 s7, s7, s6
	s_add_i32 s1, s8, s1
	s_lshl_b32 s6, s12, 5
	s_add_i32 s1, s1, s6
	v_or_b32_e32 v0, s7, v0
	s_add_i32 s1, s1, s4
	s_add_i32 s11, s11, -1
	v_add_u32_e32 v3, 0xffffc000, v0
	s_sub_i32 s4, s1, 64
	s_waitcnt lgkmcnt(0)
	v_mov_b32_e32 v7, s5
	v_mov_b32_e32 v6, s0
	;; [unrolled: 1-line block ×3, first 2 shown]
	s_mov_b32 s6, 0x3fb8aa3b
	s_mov_b32 s7, 0xc2ce8ed0
	;; [unrolled: 1-line block ×3, first 2 shown]
	v_mov_b32_e32 v5, 0x7f800000
	s_mov_b32 s12, 0xc1a00000
.LBB15_3:                               ; =>This Inner Loop Header: Depth=1
	v_ashrrev_i32_e32 v4, 31, v3
	v_lshlrev_b64 v[9:10], 2, v[3:4]
	s_ashr_i32 s5, s4, 31
	v_add_co_u32_e32 v9, vcc, s10, v9
	v_addc_co_u32_e32 v10, vcc, v0, v10, vcc
	global_load_dword v4, v[9:10], off
	s_lshl_b64 s[0:1], s[4:5], 3
	s_add_u32 s0, s2, s0
	s_addc_u32 s1, s3, s1
	s_load_dwordx2 s[14:15], s[0:1], 0x0
	s_waitcnt vmcnt(1)
	v_mov_b32_e32 v9, v8
	v_max_f32_e32 v8, v6, v6
	v_mov_b32_e32 v10, v7
	s_add_i32 s11, s11, -1
	s_waitcnt lgkmcnt(0)
	v_max_f32_e64 v7, s14, s14
	v_max_f32_e32 v7, v8, v7
	v_sub_f32_e32 v11, s14, v7
	v_sub_f32_e32 v8, v6, v7
	v_mul_f32_e32 v12, 0x3fb8aa3b, v11
	v_mov_b32_e32 v6, v7
	v_mul_f32_e32 v7, 0x3fb8aa3b, v8
	v_fma_f32 v15, v11, s6, -v12
	v_rndne_f32_e32 v16, v12
	v_fma_f32 v13, v8, s6, -v7
	v_rndne_f32_e32 v14, v7
	v_fmac_f32_e32 v15, 0x32a5705f, v11
	v_sub_f32_e32 v12, v12, v16
	v_fmac_f32_e32 v13, 0x32a5705f, v8
	v_sub_f32_e32 v7, v7, v14
	v_add_f32_e32 v12, v12, v15
	v_cvt_i32_f32_e32 v16, v16
	v_add_f32_e32 v7, v7, v13
	v_exp_f32_e32 v12, v12
	v_cvt_i32_f32_e32 v14, v14
	v_exp_f32_e32 v7, v7
	v_cmp_ngt_f32_e32 vcc, s7, v11
	v_ldexp_f32 v12, v12, v16
	v_cmp_ngt_f32_e64 s[0:1], s7, v8
	v_ldexp_f32 v7, v7, v14
	v_cndmask_b32_e32 v12, 0, v12, vcc
	v_cmp_nlt_f32_e32 vcc, s8, v11
	v_cndmask_b32_e64 v7, 0, v7, s[0:1]
	v_cmp_nlt_f32_e64 s[0:1], s8, v8
	v_cndmask_b32_e32 v12, v5, v12, vcc
	v_cmp_le_f32_e32 vcc, s12, v11
	v_cndmask_b32_e64 v7, v5, v7, s[0:1]
	v_cmp_le_f32_e64 s[0:1], s12, v8
	v_cndmask_b32_e32 v8, 0, v12, vcc
	s_sub_i32 s4, s4, 32
	v_cndmask_b32_e64 v11, 0, v7, s[0:1]
	v_mul_f32_e32 v7, s15, v8
	v_add_u32_e32 v3, 0xffffe000, v3
	s_cmp_le_i32 s11, s9
	v_fmac_f32_e32 v7, v10, v11
	s_waitcnt vmcnt(0)
	v_mul_f32_e32 v8, v4, v8
	v_fmac_f32_e32 v8, v9, v11
	s_cbranch_scc0 .LBB15_3
	s_branch .LBB15_5
.LBB15_4:
	s_waitcnt lgkmcnt(0)
	v_mov_b32_e32 v7, s5
.LBB15_5:
	s_waitcnt vmcnt(0)
	v_div_scale_f32 v0, s[0:1], v7, v7, v8
	v_div_scale_f32 v3, vcc, v8, v7, v8
	v_rcp_f32_e32 v4, v0
	v_fma_f32 v5, -v0, v4, 1.0
	v_fmac_f32_e32 v4, v5, v4
	v_mul_f32_e32 v5, v3, v4
	v_fma_f32 v6, -v0, v5, v3
	v_fmac_f32_e32 v5, v6, v4
	v_fma_f32 v0, -v0, v5, v3
	v_div_fmas_f32 v0, v0, v4, v5
	v_div_fixup_f32 v0, v0, v7, v8
	global_store_dword v[1:2], v0, off
.LBB15_6:
	s_endpgm
	.section	.rodata,"a",@progbits
	.p2align	6, 0x0
	.amdhsa_kernel _ZL33flash_attn_stream_k_fixup_uniformILi256ELi8ELi4EEvPfPK15HIP_vector_typeIfLj2EEiiiiiiS1_IjLj3EES5_S5_
		.amdhsa_group_segment_fixed_size 0
		.amdhsa_private_segment_fixed_size 0
		.amdhsa_kernarg_size 76
		.amdhsa_user_sgpr_count 6
		.amdhsa_user_sgpr_private_segment_buffer 1
		.amdhsa_user_sgpr_dispatch_ptr 0
		.amdhsa_user_sgpr_queue_ptr 0
		.amdhsa_user_sgpr_kernarg_segment_ptr 1
		.amdhsa_user_sgpr_dispatch_id 0
		.amdhsa_user_sgpr_flat_scratch_init 0
		.amdhsa_user_sgpr_private_segment_size 0
		.amdhsa_uses_dynamic_stack 0
		.amdhsa_system_sgpr_private_segment_wavefront_offset 0
		.amdhsa_system_sgpr_workgroup_id_x 1
		.amdhsa_system_sgpr_workgroup_id_y 1
		.amdhsa_system_sgpr_workgroup_id_z 1
		.amdhsa_system_sgpr_workgroup_info 0
		.amdhsa_system_vgpr_workitem_id 0
		.amdhsa_next_free_vgpr 17
		.amdhsa_next_free_sgpr 20
		.amdhsa_reserve_vcc 1
		.amdhsa_reserve_flat_scratch 0
		.amdhsa_float_round_mode_32 0
		.amdhsa_float_round_mode_16_64 0
		.amdhsa_float_denorm_mode_32 3
		.amdhsa_float_denorm_mode_16_64 3
		.amdhsa_dx10_clamp 1
		.amdhsa_ieee_mode 1
		.amdhsa_fp16_overflow 0
		.amdhsa_exception_fp_ieee_invalid_op 0
		.amdhsa_exception_fp_denorm_src 0
		.amdhsa_exception_fp_ieee_div_zero 0
		.amdhsa_exception_fp_ieee_overflow 0
		.amdhsa_exception_fp_ieee_underflow 0
		.amdhsa_exception_fp_ieee_inexact 0
		.amdhsa_exception_int_div_zero 0
	.end_amdhsa_kernel
	.section	.text._ZL33flash_attn_stream_k_fixup_uniformILi256ELi8ELi4EEvPfPK15HIP_vector_typeIfLj2EEiiiiiiS1_IjLj3EES5_S5_,"axG",@progbits,_ZL33flash_attn_stream_k_fixup_uniformILi256ELi8ELi4EEvPfPK15HIP_vector_typeIfLj2EEiiiiiiS1_IjLj3EES5_S5_,comdat
.Lfunc_end15:
	.size	_ZL33flash_attn_stream_k_fixup_uniformILi256ELi8ELi4EEvPfPK15HIP_vector_typeIfLj2EEiiiiiiS1_IjLj3EES5_S5_, .Lfunc_end15-_ZL33flash_attn_stream_k_fixup_uniformILi256ELi8ELi4EEvPfPK15HIP_vector_typeIfLj2EEiiiiiiS1_IjLj3EES5_S5_
                                        ; -- End function
	.set _ZL33flash_attn_stream_k_fixup_uniformILi256ELi8ELi4EEvPfPK15HIP_vector_typeIfLj2EEiiiiiiS1_IjLj3EES5_S5_.num_vgpr, 17
	.set _ZL33flash_attn_stream_k_fixup_uniformILi256ELi8ELi4EEvPfPK15HIP_vector_typeIfLj2EEiiiiiiS1_IjLj3EES5_S5_.num_agpr, 0
	.set _ZL33flash_attn_stream_k_fixup_uniformILi256ELi8ELi4EEvPfPK15HIP_vector_typeIfLj2EEiiiiiiS1_IjLj3EES5_S5_.numbered_sgpr, 20
	.set _ZL33flash_attn_stream_k_fixup_uniformILi256ELi8ELi4EEvPfPK15HIP_vector_typeIfLj2EEiiiiiiS1_IjLj3EES5_S5_.num_named_barrier, 0
	.set _ZL33flash_attn_stream_k_fixup_uniformILi256ELi8ELi4EEvPfPK15HIP_vector_typeIfLj2EEiiiiiiS1_IjLj3EES5_S5_.private_seg_size, 0
	.set _ZL33flash_attn_stream_k_fixup_uniformILi256ELi8ELi4EEvPfPK15HIP_vector_typeIfLj2EEiiiiiiS1_IjLj3EES5_S5_.uses_vcc, 1
	.set _ZL33flash_attn_stream_k_fixup_uniformILi256ELi8ELi4EEvPfPK15HIP_vector_typeIfLj2EEiiiiiiS1_IjLj3EES5_S5_.uses_flat_scratch, 0
	.set _ZL33flash_attn_stream_k_fixup_uniformILi256ELi8ELi4EEvPfPK15HIP_vector_typeIfLj2EEiiiiiiS1_IjLj3EES5_S5_.has_dyn_sized_stack, 0
	.set _ZL33flash_attn_stream_k_fixup_uniformILi256ELi8ELi4EEvPfPK15HIP_vector_typeIfLj2EEiiiiiiS1_IjLj3EES5_S5_.has_recursion, 0
	.set _ZL33flash_attn_stream_k_fixup_uniformILi256ELi8ELi4EEvPfPK15HIP_vector_typeIfLj2EEiiiiiiS1_IjLj3EES5_S5_.has_indirect_call, 0
	.section	.AMDGPU.csdata,"",@progbits
; Kernel info:
; codeLenInByte = 856
; TotalNumSgprs: 24
; NumVgprs: 17
; ScratchSize: 0
; MemoryBound: 0
; FloatMode: 240
; IeeeMode: 1
; LDSByteSize: 0 bytes/workgroup (compile time only)
; SGPRBlocks: 2
; VGPRBlocks: 4
; NumSGPRsForWavesPerEU: 24
; NumVGPRsForWavesPerEU: 17
; Occupancy: 10
; WaveLimiterHint : 0
; COMPUTE_PGM_RSRC2:SCRATCH_EN: 0
; COMPUTE_PGM_RSRC2:USER_SGPR: 6
; COMPUTE_PGM_RSRC2:TRAP_HANDLER: 0
; COMPUTE_PGM_RSRC2:TGID_X_EN: 1
; COMPUTE_PGM_RSRC2:TGID_Y_EN: 1
; COMPUTE_PGM_RSRC2:TGID_Z_EN: 1
; COMPUTE_PGM_RSRC2:TIDIG_COMP_CNT: 0
	.section	.text._ZL33flash_attn_stream_k_fixup_generalILi256ELi8ELi4EEvPfPK15HIP_vector_typeIfLj2EEiiiiS1_IjLj3EES5_S5_S5_,"axG",@progbits,_ZL33flash_attn_stream_k_fixup_generalILi256ELi8ELi4EEvPfPK15HIP_vector_typeIfLj2EEiiiiS1_IjLj3EES5_S5_S5_,comdat
	.globl	_ZL33flash_attn_stream_k_fixup_generalILi256ELi8ELi4EEvPfPK15HIP_vector_typeIfLj2EEiiiiS1_IjLj3EES5_S5_S5_ ; -- Begin function _ZL33flash_attn_stream_k_fixup_generalILi256ELi8ELi4EEvPfPK15HIP_vector_typeIfLj2EEiiiiS1_IjLj3EES5_S5_S5_
	.p2align	8
	.type	_ZL33flash_attn_stream_k_fixup_generalILi256ELi8ELi4EEvPfPK15HIP_vector_typeIfLj2EEiiiiS1_IjLj3EES5_S5_S5_,@function
_ZL33flash_attn_stream_k_fixup_generalILi256ELi8ELi4EEvPfPK15HIP_vector_typeIfLj2EEiiiiS1_IjLj3EES5_S5_S5_: ; @_ZL33flash_attn_stream_k_fixup_generalILi256ELi8ELi4EEvPfPK15HIP_vector_typeIfLj2EEiiiiS1_IjLj3EES5_S5_S5_
; %bb.0:
	s_load_dwordx4 s[0:3], s[4:5], 0x10
	s_load_dword s22, s[4:5], 0x50
	s_mov_b32 s12, 0
	s_waitcnt lgkmcnt(0)
	s_mul_hi_i32 s13, s3, s6
	s_cmp_lg_u64 s[12:13], 0
	s_mul_i32 s9, s3, s6
	s_cbranch_scc0 .LBB16_20
; %bb.1:
	s_add_u32 s10, s22, 0
	s_addc_u32 s11, 0, 0
	s_xor_b64 s[10:11], s[10:11], 0
	v_cvt_f32_u32_e32 v1, s10
	v_cvt_f32_u32_e32 v2, s11
	s_sub_u32 s12, 0, s10
	s_subb_u32 s18, 0, s11
	v_madmk_f32 v1, v2, 0x4f800000, v1
	v_rcp_f32_e32 v1, v1
	v_mul_f32_e32 v1, 0x5f7ffffc, v1
	v_mul_f32_e32 v2, 0x2f800000, v1
	v_trunc_f32_e32 v2, v2
	v_madmk_f32 v1, v2, 0xcf800000, v1
	v_cvt_u32_f32_e32 v2, v2
	v_cvt_u32_f32_e32 v1, v1
	v_readfirstlane_b32 s19, v2
	v_readfirstlane_b32 s14, v1
	s_mul_i32 s15, s12, s19
	s_mul_hi_u32 s21, s12, s14
	s_mul_i32 s20, s18, s14
	s_add_i32 s15, s21, s15
	s_add_i32 s15, s15, s20
	s_mul_i32 s23, s12, s14
	s_mul_i32 s21, s14, s15
	s_mul_hi_u32 s24, s14, s23
	s_mul_hi_u32 s20, s14, s15
	s_add_u32 s21, s24, s21
	s_addc_u32 s20, 0, s20
	s_mul_hi_u32 s25, s19, s23
	s_mul_i32 s23, s19, s23
	s_add_u32 s21, s21, s23
	s_mul_hi_u32 s24, s19, s15
	s_addc_u32 s20, s20, s25
	s_addc_u32 s21, s24, 0
	s_mul_i32 s15, s19, s15
	s_add_u32 s15, s20, s15
	s_addc_u32 s20, 0, s21
	s_add_u32 s21, s14, s15
	s_cselect_b64 s[14:15], -1, 0
	s_cmp_lg_u64 s[14:15], 0
	s_addc_u32 s19, s19, s20
	s_mul_i32 s14, s12, s19
	s_mul_hi_u32 s15, s12, s21
	s_add_i32 s14, s15, s14
	s_mul_i32 s18, s18, s21
	s_add_i32 s14, s14, s18
	s_mul_i32 s12, s12, s21
	s_mul_hi_u32 s18, s19, s12
	s_mul_i32 s20, s19, s12
	s_mul_i32 s24, s21, s14
	s_mul_hi_u32 s12, s21, s12
	s_mul_hi_u32 s23, s21, s14
	s_add_u32 s12, s12, s24
	s_addc_u32 s23, 0, s23
	s_add_u32 s12, s12, s20
	s_mul_hi_u32 s15, s19, s14
	s_addc_u32 s12, s23, s18
	s_addc_u32 s15, s15, 0
	s_mul_i32 s14, s19, s14
	s_add_u32 s12, s12, s14
	s_addc_u32 s18, 0, s15
	s_add_u32 s20, s21, s12
	s_cselect_b64 s[14:15], -1, 0
	s_cmp_lg_u64 s[14:15], 0
	s_addc_u32 s18, s19, s18
	s_ashr_i32 s14, s13, 31
	s_add_u32 s12, s9, s14
	s_mov_b32 s15, s14
	s_addc_u32 s13, s13, s14
	s_xor_b64 s[12:13], s[12:13], s[14:15]
	s_mul_i32 s21, s12, s18
	s_mul_hi_u32 s23, s12, s20
	s_mul_hi_u32 s19, s12, s18
	s_add_u32 s21, s23, s21
	s_addc_u32 s19, 0, s19
	s_mul_hi_u32 s24, s13, s20
	s_mul_i32 s20, s13, s20
	s_add_u32 s20, s21, s20
	s_mul_hi_u32 s23, s13, s18
	s_addc_u32 s19, s19, s24
	s_addc_u32 s20, s23, 0
	s_mul_i32 s18, s13, s18
	s_add_u32 s23, s19, s18
	s_addc_u32 s24, 0, s20
	s_mul_i32 s18, s10, s24
	s_mul_hi_u32 s19, s10, s23
	s_add_i32 s18, s19, s18
	s_mul_i32 s19, s11, s23
	s_add_i32 s25, s18, s19
	s_sub_i32 s20, s13, s25
	s_mul_i32 s18, s10, s23
	s_sub_u32 s12, s12, s18
	s_cselect_b64 s[18:19], -1, 0
	s_cmp_lg_u64 s[18:19], 0
	s_subb_u32 s26, s20, s11
	s_sub_u32 s27, s12, s10
	s_cselect_b64 s[20:21], -1, 0
	s_cmp_lg_u64 s[20:21], 0
	s_subb_u32 s20, s26, 0
	s_cmp_ge_u32 s20, s11
	s_cselect_b32 s21, -1, 0
	s_cmp_ge_u32 s27, s10
	s_cselect_b32 s26, -1, 0
	s_cmp_eq_u32 s20, s11
	s_cselect_b32 s20, s26, s21
	s_add_u32 s21, s23, 1
	s_addc_u32 s26, s24, 0
	s_add_u32 s27, s23, 2
	s_addc_u32 s28, s24, 0
	s_cmp_lg_u32 s20, 0
	s_cselect_b32 s20, s27, s21
	s_cselect_b32 s21, s28, s26
	s_cmp_lg_u64 s[18:19], 0
	s_subb_u32 s13, s13, s25
	s_cmp_ge_u32 s13, s11
	s_cselect_b32 s18, -1, 0
	s_cmp_ge_u32 s12, s10
	s_cselect_b32 s10, -1, 0
	s_cmp_eq_u32 s13, s11
	s_cselect_b32 s10, s10, s18
	s_cmp_lg_u32 s10, 0
	s_cselect_b32 s11, s21, s24
	s_cselect_b32 s10, s20, s23
	s_xor_b64 s[12:13], s[14:15], 0
	s_xor_b64 s[10:11], s[10:11], s[12:13]
	s_sub_u32 s10, s10, s12
	s_load_dwordx4 s[12:15], s[4:5], 0x44
	s_cbranch_execnz .LBB16_3
.LBB16_2:
	v_cvt_f32_u32_e32 v1, s22
	s_sub_i32 s10, 0, s22
	v_rcp_iflag_f32_e32 v1, v1
	v_mul_f32_e32 v1, 0x4f7ffffe, v1
	v_cvt_u32_f32_e32 v1, v1
	v_readfirstlane_b32 s11, v1
	s_mul_i32 s10, s10, s11
	s_mul_hi_u32 s10, s11, s10
	s_add_i32 s11, s11, s10
	s_mul_hi_u32 s10, s9, s11
	s_waitcnt lgkmcnt(0)
	s_mul_i32 s15, s10, s22
	s_sub_i32 s9, s9, s15
	s_add_i32 s11, s10, 1
	s_sub_i32 s15, s9, s22
	s_cmp_ge_u32 s9, s22
	s_cselect_b32 s10, s11, s10
	s_cselect_b32 s9, s15, s9
	s_add_i32 s11, s10, 1
	s_cmp_ge_u32 s9, s22
	s_cselect_b32 s10, s11, s10
.LBB16_3:
	s_add_i32 s9, s6, 1
	s_mul_hi_i32 s21, s3, s9
	s_mov_b32 s20, 0
	s_cmp_lg_u64 s[20:21], 0
	s_mul_i32 s9, s3, s9
	s_cbranch_scc0 .LBB16_21
; %bb.4:
	s_add_u32 s16, s22, 0
	s_addc_u32 s17, 0, 0
	s_xor_b64 s[18:19], s[16:17], 0
	v_cvt_f32_u32_e32 v1, s18
	v_cvt_f32_u32_e32 v2, s19
	s_sub_u32 s11, 0, s18
	s_waitcnt lgkmcnt(0)
	s_subb_u32 s15, 0, s19
	v_madmk_f32 v1, v2, 0x4f800000, v1
	v_rcp_f32_e32 v1, v1
	v_mul_f32_e32 v1, 0x5f7ffffc, v1
	v_mul_f32_e32 v2, 0x2f800000, v1
	v_trunc_f32_e32 v2, v2
	v_madmk_f32 v1, v2, 0xcf800000, v1
	v_cvt_u32_f32_e32 v2, v2
	v_cvt_u32_f32_e32 v1, v1
	v_readfirstlane_b32 s20, v2
	v_readfirstlane_b32 s23, v1
	s_mul_i32 s24, s11, s20
	s_mul_hi_u32 s26, s11, s23
	s_mul_i32 s25, s15, s23
	s_add_i32 s24, s26, s24
	s_add_i32 s24, s24, s25
	s_mul_i32 s27, s11, s23
	s_mul_i32 s26, s23, s24
	s_mul_hi_u32 s28, s23, s27
	s_mul_hi_u32 s25, s23, s24
	s_add_u32 s26, s28, s26
	s_addc_u32 s25, 0, s25
	s_mul_hi_u32 s29, s20, s27
	s_mul_i32 s27, s20, s27
	s_add_u32 s26, s26, s27
	s_mul_hi_u32 s28, s20, s24
	s_addc_u32 s25, s25, s29
	s_addc_u32 s26, s28, 0
	s_mul_i32 s24, s20, s24
	s_add_u32 s24, s25, s24
	s_addc_u32 s26, 0, s26
	s_add_u32 s23, s23, s24
	s_cselect_b64 s[24:25], -1, 0
	s_cmp_lg_u64 s[24:25], 0
	s_addc_u32 s20, s20, s26
	s_mul_i32 s24, s11, s20
	s_mul_hi_u32 s25, s11, s23
	s_add_i32 s24, s25, s24
	s_mul_i32 s15, s15, s23
	s_add_i32 s24, s24, s15
	s_mul_i32 s11, s11, s23
	s_mul_hi_u32 s25, s20, s11
	s_mul_i32 s26, s20, s11
	s_mul_i32 s28, s23, s24
	s_mul_hi_u32 s11, s23, s11
	s_mul_hi_u32 s27, s23, s24
	s_add_u32 s11, s11, s28
	s_addc_u32 s27, 0, s27
	s_add_u32 s11, s11, s26
	s_mul_hi_u32 s15, s20, s24
	s_addc_u32 s11, s27, s25
	s_addc_u32 s15, s15, 0
	s_mul_i32 s24, s20, s24
	s_add_u32 s11, s11, s24
	s_addc_u32 s15, 0, s15
	s_add_u32 s11, s23, s11
	s_cselect_b64 s[24:25], -1, 0
	s_cmp_lg_u64 s[24:25], 0
	s_addc_u32 s15, s20, s15
	s_ashr_i32 s24, s21, 31
	s_add_u32 s20, s9, s24
	s_mov_b32 s25, s24
	s_addc_u32 s21, s21, s24
	s_xor_b64 s[20:21], s[20:21], s[24:25]
	s_mul_i32 s26, s20, s15
	s_mul_hi_u32 s27, s20, s11
	s_mul_hi_u32 s23, s20, s15
	s_add_u32 s26, s27, s26
	s_addc_u32 s23, 0, s23
	s_mul_hi_u32 s28, s21, s11
	s_mul_i32 s11, s21, s11
	s_add_u32 s11, s26, s11
	s_mul_hi_u32 s27, s21, s15
	s_addc_u32 s11, s23, s28
	s_addc_u32 s23, s27, 0
	s_mul_i32 s15, s21, s15
	s_add_u32 s11, s11, s15
	s_addc_u32 s15, 0, s23
	s_mul_i32 s23, s18, s15
	s_mul_hi_u32 s26, s18, s11
	s_add_i32 s23, s26, s23
	s_mul_i32 s26, s19, s11
	s_add_i32 s23, s23, s26
	s_sub_i32 s28, s21, s23
	s_mul_i32 s26, s18, s11
	s_sub_u32 s20, s20, s26
	s_cselect_b64 s[26:27], -1, 0
	s_cmp_lg_u64 s[26:27], 0
	s_subb_u32 s30, s28, s19
	s_sub_u32 s31, s20, s18
	s_cselect_b64 s[28:29], -1, 0
	s_cmp_lg_u64 s[28:29], 0
	s_subb_u32 s28, s30, 0
	s_cmp_ge_u32 s28, s19
	s_cselect_b32 s29, -1, 0
	s_cmp_ge_u32 s31, s18
	s_cselect_b32 s30, -1, 0
	s_cmp_eq_u32 s28, s19
	s_cselect_b32 s28, s30, s29
	s_add_u32 s29, s11, 1
	s_addc_u32 s30, s15, 0
	s_add_u32 s31, s11, 2
	s_addc_u32 s33, s15, 0
	s_cmp_lg_u32 s28, 0
	s_cselect_b32 s28, s31, s29
	s_cselect_b32 s29, s33, s30
	s_cmp_lg_u64 s[26:27], 0
	s_subb_u32 s21, s21, s23
	s_cmp_ge_u32 s21, s19
	s_cselect_b32 s23, -1, 0
	s_cmp_ge_u32 s20, s18
	s_cselect_b32 s18, -1, 0
	s_cmp_eq_u32 s21, s19
	s_cselect_b32 s18, s18, s23
	s_cmp_lg_u32 s18, 0
	s_cselect_b32 s19, s29, s15
	s_cselect_b32 s18, s28, s11
	s_xor_b64 s[20:21], s[24:25], 0
	s_xor_b64 s[18:19], s[18:19], s[20:21]
	s_sub_u32 s18, s18, s20
	s_cbranch_execnz .LBB16_6
.LBB16_5:
	v_cvt_f32_u32_e32 v1, s22
	s_sub_i32 s11, 0, s22
	v_rcp_iflag_f32_e32 v1, v1
	v_mul_f32_e32 v1, 0x4f7ffffe, v1
	v_cvt_u32_f32_e32 v1, v1
	s_waitcnt lgkmcnt(0)
	v_readfirstlane_b32 s15, v1
	s_mul_i32 s11, s11, s15
	s_mul_hi_u32 s11, s15, s11
	s_add_i32 s15, s15, s11
	s_mul_hi_u32 s11, s9, s15
	s_mul_i32 s16, s11, s22
	s_sub_i32 s9, s9, s16
	s_add_i32 s15, s11, 1
	s_sub_i32 s16, s9, s22
	s_cmp_ge_u32 s9, s22
	s_cselect_b32 s11, s15, s11
	s_cselect_b32 s9, s16, s9
	s_add_i32 s15, s11, 1
	s_cmp_ge_u32 s9, s22
	s_cselect_b32 s18, s15, s11
.LBB16_6:
	s_cmp_eq_u32 s10, s18
	s_waitcnt lgkmcnt(0)
	s_mul_hi_u32 s9, s10, s12
	s_cselect_b64 s[16:17], -1, 0
	s_add_i32 s9, s9, s10
	s_lshr_b32 s11, s9, s13
	s_mul_i32 s9, s11, s14
	s_cmp_eq_u32 s9, s10
	s_mul_hi_u32 s9, s18, s12
	s_cselect_b64 s[20:21], -1, 0
	s_add_i32 s9, s9, s18
	s_lshr_b32 s9, s9, s13
	s_cmp_eq_u32 s11, s9
	s_mul_i32 s9, s9, s14
	s_cselect_b64 s[24:25], -1, 0
	s_cmp_lg_u32 s9, s18
	s_cselect_b64 s[18:19], -1, 0
	s_and_b64 s[18:19], s[24:25], s[18:19]
	s_or_b64 s[16:17], s[16:17], s[20:21]
	s_or_b64 s[16:17], s[16:17], s[18:19]
	s_and_b64 vcc, exec, s[16:17]
	s_cbranch_vccnz .LBB16_23
; %bb.7:
	s_load_dwordx8 s[24:31], s[4:5], 0x20
	s_load_dword s15, s[4:5], 0x40
	s_waitcnt lgkmcnt(0)
	s_mul_hi_u32 s9, s10, s24
	s_add_i32 s9, s9, s10
	s_lshr_b32 s9, s9, s25
	s_mul_i32 s16, s9, s26
	s_sub_i32 s16, s10, s16
	s_mul_hi_u32 s17, s16, s27
	s_add_i32 s17, s16, s17
	s_lshr_b32 s23, s17, s28
	s_mul_i32 s17, s23, s29
	s_sub_i32 s16, s16, s17
	;; [unrolled: 5-line block ×3, first 2 shown]
	s_mul_hi_u32 s16, s15, s12
	s_add_i32 s15, s15, s16
	s_lshr_b32 s25, s15, s13
	s_lshl_b32 s15, s25, 3
	s_lshl_b32 s24, s17, 2
	s_add_i32 s15, s15, s7
	s_cmp_lt_i32 s15, s0
	s_cselect_b64 s[16:17], -1, 0
	s_add_i32 s15, s24, s8
	s_cmp_lt_i32 s15, s2
	s_cselect_b64 s[18:19], -1, 0
	s_and_b64 s[16:17], s[16:17], s[18:19]
	s_andn2_b64 vcc, exec, s[16:17]
	s_cbranch_vccnz .LBB16_23
; %bb.8:
	s_load_dwordx4 s[16:19], s[4:5], 0x0
	s_mov_b32 s4, 0
	s_lshl_b32 s15, s7, 2
	s_lshl_b32 s20, s22, 7
	s_mov_b32 s21, s4
	s_add_i32 s15, s15, s8
	s_lshl_b64 s[20:21], s[20:21], 2
	s_waitcnt lgkmcnt(0)
	s_add_u32 s20, s18, s20
	s_mul_i32 s0, s9, s0
	s_addc_u32 s21, s19, s21
	s_add_i32 s0, s0, s7
	s_mul_i32 s0, s0, s1
	s_mul_i32 s23, s23, s2
	s_add_i32 s0, s0, s8
	s_add_i32 s0, s0, s23
	s_mul_i32 s2, s1, s25
	s_add_i32 s0, s0, s24
	s_lshl_b32 s2, s2, 11
	s_lshl_b32 s0, s0, 8
	s_add_i32 s2, s2, s0
	v_or_b32_e32 v1, s2, v0
	v_ashrrev_i32_e32 v2, 31, v1
	v_lshlrev_b64 v[1:2], 2, v[1:2]
	v_mov_b32_e32 v3, s17
	v_add_co_u32_e32 v1, vcc, s16, v1
	v_addc_co_u32_e32 v2, vcc, v3, v2, vcc
	global_load_dword v3, v[1:2], off
	v_cvt_f32_u32_e32 v4, s22
	s_lshl_b32 s0, s6, 5
	s_add_i32 s0, s15, s0
	s_ashr_i32 s1, s0, 31
	s_lshl_b64 s[0:1], s[0:1], 3
	v_rcp_iflag_f32_e32 v4, v4
	s_add_u32 s0, s18, s0
	s_addc_u32 s1, s19, s1
	s_load_dwordx2 s[0:1], s[0:1], 0x0
	v_mul_f32_e32 v4, 0x4f7ffffe, v4
	v_cvt_u32_f32_e32 v4, v4
	s_add_i32 s24, s6, -1
	v_lshl_or_b32 v0, s15, 8, v0
	s_waitcnt lgkmcnt(0)
	v_mov_b32_e32 v6, s1
	v_mov_b32_e32 v7, s0
	s_mov_b32 s2, 0x3fb8aa3b
	s_mov_b32 s16, 0xc2ce8ed0
	;; [unrolled: 1-line block ×4, first 2 shown]
	v_mov_b32_e32 v5, 0x7f800000
	s_mul_hi_i32 s5, s24, s3
	s_cmp_lg_u64 s[4:5], 0
	s_mul_i32 s8, s24, s3
	s_cbranch_scc0 .LBB16_19
.LBB16_9:
	s_add_u32 s0, s22, 0
	s_addc_u32 s1, 0, 0
	s_xor_b64 s[0:1], s[0:1], 0
	v_cvt_f32_u32_e32 v8, s0
	v_cvt_f32_u32_e32 v9, s1
	s_sub_u32 s9, 0, s0
	s_subb_u32 s25, 0, s1
	v_mac_f32_e32 v8, 0x4f800000, v9
	v_rcp_f32_e32 v8, v8
	v_mul_f32_e32 v8, 0x5f7ffffc, v8
	v_mul_f32_e32 v9, 0x2f800000, v8
	v_trunc_f32_e32 v9, v9
	v_mac_f32_e32 v8, 0xcf800000, v9
	v_cvt_u32_f32_e32 v9, v9
	v_cvt_u32_f32_e32 v8, v8
	v_readfirstlane_b32 s26, v9
	v_readfirstlane_b32 s6, v8
	s_mul_i32 s7, s9, s26
	s_mul_hi_u32 s28, s9, s6
	s_mul_i32 s27, s25, s6
	s_add_i32 s7, s28, s7
	s_mul_i32 s29, s9, s6
	s_add_i32 s7, s7, s27
	s_mul_i32 s28, s6, s7
	s_mul_hi_u32 s30, s6, s29
	s_mul_hi_u32 s27, s6, s7
	s_add_u32 s28, s30, s28
	s_addc_u32 s27, 0, s27
	s_mul_hi_u32 s31, s26, s29
	s_mul_i32 s29, s26, s29
	s_add_u32 s28, s28, s29
	s_mul_hi_u32 s30, s26, s7
	s_addc_u32 s27, s27, s31
	s_addc_u32 s28, s30, 0
	s_mul_i32 s7, s26, s7
	s_add_u32 s7, s27, s7
	s_addc_u32 s27, 0, s28
	s_add_u32 s28, s6, s7
	s_cselect_b64 s[6:7], -1, 0
	s_cmp_lg_u64 s[6:7], 0
	s_addc_u32 s26, s26, s27
	s_mul_i32 s6, s9, s26
	s_mul_hi_u32 s7, s9, s28
	s_add_i32 s6, s7, s6
	s_mul_i32 s25, s25, s28
	s_add_i32 s6, s6, s25
	s_mul_i32 s9, s9, s28
	s_mul_hi_u32 s25, s26, s9
	s_mul_i32 s27, s26, s9
	s_mul_i32 s30, s28, s6
	s_mul_hi_u32 s9, s28, s9
	s_mul_hi_u32 s29, s28, s6
	s_add_u32 s9, s9, s30
	s_addc_u32 s29, 0, s29
	s_add_u32 s9, s9, s27
	s_mul_hi_u32 s7, s26, s6
	s_addc_u32 s9, s29, s25
	s_addc_u32 s7, s7, 0
	s_mul_i32 s6, s26, s6
	s_add_u32 s6, s9, s6
	s_addc_u32 s9, 0, s7
	s_add_u32 s25, s28, s6
	s_cselect_b64 s[6:7], -1, 0
	s_cmp_lg_u64 s[6:7], 0
	s_addc_u32 s9, s26, s9
	s_ashr_i32 s6, s5, 31
	s_add_u32 s26, s8, s6
	s_mov_b32 s7, s6
	s_addc_u32 s27, s5, s6
	s_xor_b64 s[26:27], s[26:27], s[6:7]
	s_mul_i32 s28, s26, s9
	s_mul_hi_u32 s29, s26, s25
	s_mul_hi_u32 s5, s26, s9
	s_add_u32 s28, s29, s28
	s_addc_u32 s5, 0, s5
	s_mul_hi_u32 s30, s27, s25
	s_mul_i32 s25, s27, s25
	s_add_u32 s25, s28, s25
	s_mul_hi_u32 s29, s27, s9
	s_addc_u32 s5, s5, s30
	s_addc_u32 s25, s29, 0
	s_mul_i32 s9, s27, s9
	s_add_u32 s5, s5, s9
	s_addc_u32 s9, 0, s25
	s_mul_i32 s25, s0, s9
	s_mul_hi_u32 s28, s0, s5
	s_add_i32 s25, s28, s25
	s_mul_i32 s28, s1, s5
	s_add_i32 s25, s25, s28
	s_sub_i32 s30, s27, s25
	s_mul_i32 s28, s0, s5
	s_sub_u32 s26, s26, s28
	s_cselect_b64 s[28:29], -1, 0
	s_cmp_lg_u64 s[28:29], 0
	s_subb_u32 s33, s30, s1
	s_sub_u32 s34, s26, s0
	s_cselect_b64 s[30:31], -1, 0
	s_cmp_lg_u64 s[30:31], 0
	s_subb_u32 s30, s33, 0
	s_cmp_ge_u32 s30, s1
	s_cselect_b32 s31, -1, 0
	s_cmp_ge_u32 s34, s0
	s_cselect_b32 s33, -1, 0
	s_cmp_eq_u32 s30, s1
	s_cselect_b32 s30, s33, s31
	s_add_u32 s31, s5, 1
	s_addc_u32 s33, s9, 0
	s_add_u32 s34, s5, 2
	s_addc_u32 s35, s9, 0
	s_cmp_lg_u32 s30, 0
	s_cselect_b32 s30, s34, s31
	s_cselect_b32 s31, s35, s33
	s_cmp_lg_u64 s[28:29], 0
	s_subb_u32 s25, s27, s25
	s_cmp_ge_u32 s25, s1
	s_cselect_b32 s27, -1, 0
	s_cmp_ge_u32 s26, s0
	s_cselect_b32 s0, -1, 0
	s_cmp_eq_u32 s25, s1
	s_cselect_b32 s0, s0, s27
	s_cmp_lg_u32 s0, 0
	s_cselect_b32 s1, s31, s9
	s_cselect_b32 s0, s30, s5
	s_xor_b64 s[6:7], s[6:7], 0
	s_xor_b64 s[0:1], s[0:1], s[6:7]
	s_sub_u32 s6, s0, s6
	s_cbranch_execnz .LBB16_11
.LBB16_10:
	s_sub_i32 s0, 0, s22
	v_readfirstlane_b32 s1, v4
	s_mul_i32 s0, s0, s1
	s_mul_hi_u32 s0, s1, s0
	s_add_i32 s1, s1, s0
	s_mul_hi_u32 s0, s8, s1
	s_mul_i32 s5, s0, s22
	s_sub_i32 s5, s8, s5
	s_add_i32 s1, s0, 1
	s_sub_i32 s6, s5, s22
	s_cmp_ge_u32 s5, s22
	s_cselect_b32 s0, s1, s0
	s_cselect_b32 s5, s6, s5
	s_add_i32 s1, s0, 1
	s_cmp_ge_u32 s5, s22
	s_cselect_b32 s6, s1, s0
.LBB16_11:
	s_cmp_lg_u32 s10, s6
	s_mov_b64 s[8:9], -1
                                        ; implicit-def: $sgpr0_sgpr1
                                        ; implicit-def: $vgpr10
                                        ; implicit-def: $vgpr8
                                        ; implicit-def: $vgpr9
                                        ; implicit-def: $sgpr5
                                        ; implicit-def: $sgpr7
	s_cbranch_scc1 .LBB16_14
; %bb.12:
	s_andn2_b64 vcc, exec, s[8:9]
	s_cbranch_vccz .LBB16_17
.LBB16_13:
	s_andn2_b64 vcc, exec, s[0:1]
	s_cbranch_vccnz .LBB16_18
	s_branch .LBB16_22
.LBB16_14:
	s_add_i32 s0, s24, s22
	s_lshl_b32 s0, s0, 5
	s_add_i32 s0, s0, s15
	s_mov_b32 s1, s4
	s_lshl_b64 s[0:1], s[0:1], 3
	s_add_u32 s8, s18, s0
	s_mul_hi_u32 s0, s6, s12
	s_addc_u32 s9, s19, s1
	s_add_i32 s0, s0, s6
	s_lshr_b32 s5, s0, s13
	s_mul_i32 s0, s5, s14
	s_cmp_eq_u32 s0, s6
	s_cselect_b64 s[0:1], -1, 0
	s_cmp_lt_u32 s5, s11
	s_cselect_b64 s[26:27], -1, 0
	s_or_b64 s[26:27], s[26:27], s[0:1]
	s_mov_b64 s[0:1], -1
	s_and_b64 vcc, exec, s[26:27]
	s_mov_b32 s5, s24
	s_mov_b32 s7, s10
	s_cbranch_vccnz .LBB16_16
; %bb.15:
	s_add_i32 s5, s24, -1
	s_mov_b64 s[0:1], 0
	s_mov_b32 s7, s6
.LBB16_16:
	v_lshl_add_u32 v8, s24, 13, v0
	v_ashrrev_i32_e32 v9, 31, v8
	v_lshlrev_b64 v[8:9], 2, v[8:9]
	v_mov_b32_e32 v10, s21
	v_add_co_u32_e32 v8, vcc, s20, v8
	v_addc_co_u32_e32 v9, vcc, v10, v9, vcc
	global_load_dword v10, v[8:9], off
	s_load_dwordx2 s[8:9], s[8:9], 0x0
	v_max_f32_e32 v8, v7, v7
	s_waitcnt lgkmcnt(0)
	v_max_f32_e64 v9, s8, s8
	v_max_f32_e32 v8, v8, v9
	v_sub_f32_e32 v9, v7, v8
	v_sub_f32_e32 v11, s8, v8
	v_mul_f32_e32 v12, 0x3fb8aa3b, v9
	v_mul_f32_e32 v13, 0x3fb8aa3b, v11
	v_fma_f32 v14, v9, s2, -v12
	v_rndne_f32_e32 v15, v12
	v_fma_f32 v16, v11, s2, -v13
	v_rndne_f32_e32 v17, v13
	v_fmac_f32_e32 v14, 0x32a5705f, v9
	v_sub_f32_e32 v12, v12, v15
	v_fmac_f32_e32 v16, 0x32a5705f, v11
	v_sub_f32_e32 v13, v13, v17
	v_add_f32_e32 v12, v12, v14
	v_cvt_i32_f32_e32 v15, v15
	v_add_f32_e32 v13, v13, v16
	v_exp_f32_e32 v12, v12
	v_cvt_i32_f32_e32 v17, v17
	v_exp_f32_e32 v13, v13
	v_cmp_ngt_f32_e32 vcc, s16, v9
	v_ldexp_f32 v12, v12, v15
	v_cndmask_b32_e32 v12, 0, v12, vcc
	v_ldexp_f32 v13, v13, v17
	v_cmp_ngt_f32_e32 vcc, s16, v11
	v_cndmask_b32_e32 v13, 0, v13, vcc
	v_cmp_nlt_f32_e32 vcc, s17, v9
	v_cndmask_b32_e32 v12, v5, v12, vcc
	v_cmp_nlt_f32_e32 vcc, s17, v11
	v_cndmask_b32_e32 v13, v5, v13, vcc
	v_cmp_le_f32_e32 vcc, s23, v9
	v_cndmask_b32_e32 v12, 0, v12, vcc
	v_cmp_le_f32_e32 vcc, s23, v11
	v_cndmask_b32_e32 v11, 0, v13, vcc
	v_mul_f32_e32 v9, s9, v11
	v_fmac_f32_e32 v9, v6, v12
	s_waitcnt vmcnt(0)
	v_mul_f32_e32 v10, v10, v11
	v_fmac_f32_e32 v10, v3, v12
	s_cbranch_execnz .LBB16_13
.LBB16_17:
	s_add_i32 s5, s24, -1
	s_mov_b32 s7, s10
	v_mov_b32_e32 v9, v6
	v_mov_b32_e32 v8, v7
	s_waitcnt vmcnt(0)
	v_mov_b32_e32 v10, v3
	s_cbranch_execz .LBB16_22
.LBB16_18:
	s_mov_b32 s10, s7
	s_mov_b32 s24, s5
	v_mov_b32_e32 v6, v9
	v_mov_b32_e32 v7, v8
	s_waitcnt vmcnt(0)
	v_mov_b32_e32 v3, v10
	s_mul_hi_i32 s5, s24, s3
	s_cmp_lg_u64 s[4:5], 0
	s_mul_i32 s8, s24, s3
	s_cbranch_scc1 .LBB16_9
.LBB16_19:
                                        ; implicit-def: $sgpr6_sgpr7
	s_branch .LBB16_10
.LBB16_20:
                                        ; implicit-def: $sgpr10_sgpr11
	s_load_dwordx4 s[12:15], s[4:5], 0x44
	s_branch .LBB16_2
.LBB16_21:
                                        ; implicit-def: $sgpr18_sgpr19
	s_branch .LBB16_5
.LBB16_22:
	v_div_scale_f32 v0, s[0:1], v9, v9, v10
	s_waitcnt vmcnt(0)
	v_div_scale_f32 v3, vcc, v10, v9, v10
	v_rcp_f32_e32 v4, v0
	v_fma_f32 v5, -v0, v4, 1.0
	v_fmac_f32_e32 v4, v5, v4
	v_mul_f32_e32 v5, v3, v4
	v_fma_f32 v6, -v0, v5, v3
	v_fmac_f32_e32 v5, v6, v4
	v_fma_f32 v0, -v0, v5, v3
	v_div_fmas_f32 v0, v0, v4, v5
	v_div_fixup_f32 v0, v0, v9, v10
	global_store_dword v[1:2], v0, off
.LBB16_23:
	s_endpgm
	.section	.rodata,"a",@progbits
	.p2align	6, 0x0
	.amdhsa_kernel _ZL33flash_attn_stream_k_fixup_generalILi256ELi8ELi4EEvPfPK15HIP_vector_typeIfLj2EEiiiiS1_IjLj3EES5_S5_S5_
		.amdhsa_group_segment_fixed_size 0
		.amdhsa_private_segment_fixed_size 0
		.amdhsa_kernarg_size 336
		.amdhsa_user_sgpr_count 6
		.amdhsa_user_sgpr_private_segment_buffer 1
		.amdhsa_user_sgpr_dispatch_ptr 0
		.amdhsa_user_sgpr_queue_ptr 0
		.amdhsa_user_sgpr_kernarg_segment_ptr 1
		.amdhsa_user_sgpr_dispatch_id 0
		.amdhsa_user_sgpr_flat_scratch_init 0
		.amdhsa_user_sgpr_private_segment_size 0
		.amdhsa_uses_dynamic_stack 0
		.amdhsa_system_sgpr_private_segment_wavefront_offset 0
		.amdhsa_system_sgpr_workgroup_id_x 1
		.amdhsa_system_sgpr_workgroup_id_y 1
		.amdhsa_system_sgpr_workgroup_id_z 1
		.amdhsa_system_sgpr_workgroup_info 0
		.amdhsa_system_vgpr_workitem_id 0
		.amdhsa_next_free_vgpr 18
		.amdhsa_next_free_sgpr 36
		.amdhsa_reserve_vcc 1
		.amdhsa_reserve_flat_scratch 0
		.amdhsa_float_round_mode_32 0
		.amdhsa_float_round_mode_16_64 0
		.amdhsa_float_denorm_mode_32 3
		.amdhsa_float_denorm_mode_16_64 3
		.amdhsa_dx10_clamp 1
		.amdhsa_ieee_mode 1
		.amdhsa_fp16_overflow 0
		.amdhsa_exception_fp_ieee_invalid_op 0
		.amdhsa_exception_fp_denorm_src 0
		.amdhsa_exception_fp_ieee_div_zero 0
		.amdhsa_exception_fp_ieee_overflow 0
		.amdhsa_exception_fp_ieee_underflow 0
		.amdhsa_exception_fp_ieee_inexact 0
		.amdhsa_exception_int_div_zero 0
	.end_amdhsa_kernel
	.section	.text._ZL33flash_attn_stream_k_fixup_generalILi256ELi8ELi4EEvPfPK15HIP_vector_typeIfLj2EEiiiiS1_IjLj3EES5_S5_S5_,"axG",@progbits,_ZL33flash_attn_stream_k_fixup_generalILi256ELi8ELi4EEvPfPK15HIP_vector_typeIfLj2EEiiiiS1_IjLj3EES5_S5_S5_,comdat
.Lfunc_end16:
	.size	_ZL33flash_attn_stream_k_fixup_generalILi256ELi8ELi4EEvPfPK15HIP_vector_typeIfLj2EEiiiiS1_IjLj3EES5_S5_S5_, .Lfunc_end16-_ZL33flash_attn_stream_k_fixup_generalILi256ELi8ELi4EEvPfPK15HIP_vector_typeIfLj2EEiiiiS1_IjLj3EES5_S5_S5_
                                        ; -- End function
	.set _ZL33flash_attn_stream_k_fixup_generalILi256ELi8ELi4EEvPfPK15HIP_vector_typeIfLj2EEiiiiS1_IjLj3EES5_S5_S5_.num_vgpr, 18
	.set _ZL33flash_attn_stream_k_fixup_generalILi256ELi8ELi4EEvPfPK15HIP_vector_typeIfLj2EEiiiiS1_IjLj3EES5_S5_S5_.num_agpr, 0
	.set _ZL33flash_attn_stream_k_fixup_generalILi256ELi8ELi4EEvPfPK15HIP_vector_typeIfLj2EEiiiiS1_IjLj3EES5_S5_S5_.numbered_sgpr, 36
	.set _ZL33flash_attn_stream_k_fixup_generalILi256ELi8ELi4EEvPfPK15HIP_vector_typeIfLj2EEiiiiS1_IjLj3EES5_S5_S5_.num_named_barrier, 0
	.set _ZL33flash_attn_stream_k_fixup_generalILi256ELi8ELi4EEvPfPK15HIP_vector_typeIfLj2EEiiiiS1_IjLj3EES5_S5_S5_.private_seg_size, 0
	.set _ZL33flash_attn_stream_k_fixup_generalILi256ELi8ELi4EEvPfPK15HIP_vector_typeIfLj2EEiiiiS1_IjLj3EES5_S5_S5_.uses_vcc, 1
	.set _ZL33flash_attn_stream_k_fixup_generalILi256ELi8ELi4EEvPfPK15HIP_vector_typeIfLj2EEiiiiS1_IjLj3EES5_S5_S5_.uses_flat_scratch, 0
	.set _ZL33flash_attn_stream_k_fixup_generalILi256ELi8ELi4EEvPfPK15HIP_vector_typeIfLj2EEiiiiS1_IjLj3EES5_S5_S5_.has_dyn_sized_stack, 0
	.set _ZL33flash_attn_stream_k_fixup_generalILi256ELi8ELi4EEvPfPK15HIP_vector_typeIfLj2EEiiiiS1_IjLj3EES5_S5_S5_.has_recursion, 0
	.set _ZL33flash_attn_stream_k_fixup_generalILi256ELi8ELi4EEvPfPK15HIP_vector_typeIfLj2EEiiiiS1_IjLj3EES5_S5_S5_.has_indirect_call, 0
	.section	.AMDGPU.csdata,"",@progbits
; Kernel info:
; codeLenInByte = 2940
; TotalNumSgprs: 40
; NumVgprs: 18
; ScratchSize: 0
; MemoryBound: 0
; FloatMode: 240
; IeeeMode: 1
; LDSByteSize: 0 bytes/workgroup (compile time only)
; SGPRBlocks: 4
; VGPRBlocks: 4
; NumSGPRsForWavesPerEU: 40
; NumVGPRsForWavesPerEU: 18
; Occupancy: 10
; WaveLimiterHint : 0
; COMPUTE_PGM_RSRC2:SCRATCH_EN: 0
; COMPUTE_PGM_RSRC2:USER_SGPR: 6
; COMPUTE_PGM_RSRC2:TRAP_HANDLER: 0
; COMPUTE_PGM_RSRC2:TGID_X_EN: 1
; COMPUTE_PGM_RSRC2:TGID_Y_EN: 1
; COMPUTE_PGM_RSRC2:TGID_Z_EN: 1
; COMPUTE_PGM_RSRC2:TIDIG_COMP_CNT: 0
	.section	.text._ZL15flash_attn_tileILi256ELi256ELi4ELi4ELb0EEvPKcS1_S1_S1_S1_PKiPfP15HIP_vector_typeIfLj2EEffffjfiS5_IjLj3EEiiiiiiiiiiiliiliiiiil,"axG",@progbits,_ZL15flash_attn_tileILi256ELi256ELi4ELi4ELb0EEvPKcS1_S1_S1_S1_PKiPfP15HIP_vector_typeIfLj2EEffffjfiS5_IjLj3EEiiiiiiiiiiiliiliiiiil,comdat
	.globl	_ZL15flash_attn_tileILi256ELi256ELi4ELi4ELb0EEvPKcS1_S1_S1_S1_PKiPfP15HIP_vector_typeIfLj2EEffffjfiS5_IjLj3EEiiiiiiiiiiiliiliiiiil ; -- Begin function _ZL15flash_attn_tileILi256ELi256ELi4ELi4ELb0EEvPKcS1_S1_S1_S1_PKiPfP15HIP_vector_typeIfLj2EEffffjfiS5_IjLj3EEiiiiiiiiiiiliiliiiiil
	.p2align	8
	.type	_ZL15flash_attn_tileILi256ELi256ELi4ELi4ELb0EEvPKcS1_S1_S1_S1_PKiPfP15HIP_vector_typeIfLj2EEffffjfiS5_IjLj3EEiiiiiiiiiiiliiliiiiil,@function
_ZL15flash_attn_tileILi256ELi256ELi4ELi4ELb0EEvPKcS1_S1_S1_S1_PKiPfP15HIP_vector_typeIfLj2EEffffjfiS5_IjLj3EEiiiiiiiiiiiliiliiiiil: ; @_ZL15flash_attn_tileILi256ELi256ELi4ELi4ELb0EEvPKcS1_S1_S1_S1_PKiPfP15HIP_vector_typeIfLj2EEffffjfiS5_IjLj3EEiiiiiiiiiiiliiliiiiil
; %bb.0:
	s_load_dwordx4 s[24:27], s[4:5], 0x5c
	s_load_dwordx2 s[28:29], s[4:5], 0x80
	s_mov_b64 s[30:31], 0
	s_waitcnt lgkmcnt(0)
	s_ashr_i32 s0, s27, 31
	s_lshr_b32 s0, s0, 30
	s_add_i32 s0, s27, s0
	s_ashr_i32 s0, s0, 2
	v_cvt_f32_u32_e32 v2, s0
	s_sub_i32 s1, 0, s0
	v_rcp_iflag_f32_e32 v2, v2
	v_mul_f32_e32 v2, 0x4f7ffffe, v2
	v_cvt_u32_f32_e32 v2, v2
	v_readfirstlane_b32 s2, v2
	s_mul_i32 s1, s1, s2
	s_mul_hi_u32 s1, s2, s1
	s_add_i32 s2, s2, s1
	s_mul_hi_u32 s1, s8, s2
	s_mul_i32 s2, s1, s0
	s_sub_i32 s2, s8, s2
	s_add_i32 s3, s1, 1
	s_sub_i32 s9, s2, s0
	s_cmp_ge_u32 s2, s0
	s_cselect_b32 s1, s3, s1
	s_cselect_b32 s2, s9, s2
	s_add_i32 s3, s1, 1
	s_cmp_ge_u32 s2, s0
	s_cselect_b32 s33, s3, s1
	s_abs_i32 s0, s29
	v_cvt_f32_u32_e32 v2, s0
	s_lshl_b32 s1, s8, 2
	s_mul_i32 s8, s33, s27
	s_xor_b32 s2, s27, s29
	v_rcp_iflag_f32_e32 v2, v2
	s_sub_i32 s9, 0, s0
	s_sub_i32 s29, s1, s8
	s_abs_i32 s3, s27
	v_mul_f32_e32 v2, 0x4f7ffffe, v2
	v_cvt_u32_f32_e32 v2, v2
	s_ashr_i32 s2, s2, 31
	v_readfirstlane_b32 s1, v2
	s_mul_i32 s9, s9, s1
	s_mul_hi_u32 s8, s1, s9
	s_add_i32 s1, s1, s8
	s_mul_hi_u32 s1, s3, s1
	s_mul_i32 s8, s1, s0
	s_sub_i32 s3, s3, s8
	s_add_i32 s9, s1, 1
	s_sub_i32 s8, s3, s0
	s_cmp_ge_u32 s3, s0
	s_cselect_b32 s1, s9, s1
	s_cselect_b32 s3, s8, s3
	s_add_i32 s8, s1, 1
	s_cmp_ge_u32 s3, s0
	s_cselect_b32 s0, s8, s1
	s_xor_b32 s0, s0, s2
	s_sub_i32 s35, s0, s2
	s_abs_i32 s34, s35
	v_cvt_f32_u32_e32 v2, s34
	s_load_dwordx16 s[8:23], s[4:5], 0x0
	s_load_dwordx2 s[0:1], s[4:5], 0xb8
	v_rcp_iflag_f32_e32 v2, v2
	s_waitcnt lgkmcnt(0)
	s_cmp_eq_u64 s[14:15], 0
	v_mul_f32_e32 v2, 0x4f7ffffe, v2
	v_cvt_u32_f32_e32 v2, v2
	v_readfirstlane_b32 s36, v2
	s_cbranch_scc1 .LBB17_2
; %bb.1:
	s_abs_i32 s0, s0
	v_cvt_f32_u32_e32 v2, s0
	s_sub_i32 s37, 0, s0
	s_abs_i32 s31, s33
	s_ashr_i32 s30, s33, 31
	v_rcp_iflag_f32_e32 v2, v2
	s_load_dwordx2 s[2:3], s[4:5], 0xc8
	v_mul_f32_e32 v2, 0x4f7ffffe, v2
	v_cvt_u32_f32_e32 v2, v2
	v_readfirstlane_b32 s38, v2
	s_mul_i32 s37, s37, s38
	s_mul_hi_u32 s37, s38, s37
	s_add_i32 s38, s38, s37
	s_mul_hi_u32 s37, s31, s38
	s_mul_i32 s37, s37, s0
	s_sub_i32 s31, s31, s37
	s_sub_i32 s37, s31, s0
	s_cmp_ge_u32 s31, s0
	s_cselect_b32 s31, s37, s31
	s_sub_i32 s37, s31, s0
	s_cmp_ge_u32 s31, s0
	s_cselect_b32 s0, s37, s31
	s_xor_b32 s0, s0, s30
	s_sub_i32 s0, s0, s30
	s_ashr_i32 s30, s0, 31
	s_waitcnt lgkmcnt(0)
	s_mul_hi_u32 s31, s2, s0
	s_mul_i32 s30, s2, s30
	s_mul_i32 s3, s3, s0
	s_add_i32 s30, s31, s30
	s_add_i32 s3, s30, s3
	s_mul_i32 s0, s2, s0
	s_add_u32 s30, s14, s0
	s_addc_u32 s31, s15, s3
.LBB17_2:
	v_lshrrev_b32_e32 v2, 1, v1
	s_load_dwordx4 s[40:43], s[4:5], 0x70
	v_lshl_add_u32 v22, s6, 2, v2
	v_mul_hi_u32 v2, s24, v22
	v_lshlrev_b32_e32 v8, 4, v0
	s_waitcnt lgkmcnt(0)
	s_mul_i32 s0, s33, s42
	v_add_u32_e32 v2, v22, v2
	s_ashr_i32 s3, s0, 31
	v_lshrrev_b32_e32 v2, s25, v2
	s_mul_i32 s2, s29, s41
	s_add_u32 s0, s8, s0
	v_mul_lo_u32 v2, v2, s26
	s_addc_u32 s3, s9, s3
	s_ashr_i32 s8, s2, 31
	s_add_u32 s0, s0, s2
	s_addc_u32 s14, s3, s8
	s_ashr_i32 s3, s41, 31
	s_mov_b32 s2, s41
	s_ashr_i32 s41, s40, 31
	v_sub_u32_e32 v2, v22, v2
	s_lshr_b64 s[8:9], s[40:41], 2
	v_mad_u64_u32 v[4:5], s[8:9], s8, v2, 0
	s_lshr_b32 s8, s41, 2
	v_mov_b32_e32 v3, v5
	v_mad_u64_u32 v[5:6], s[8:9], s8, v2, v[3:4]
	v_lshlrev_b32_e32 v3, 1, v1
	v_or_b32_e32 v21, 1, v3
	v_lshlrev_b64 v[4:5], 2, v[4:5]
	s_lshr_b64 s[8:9], s[2:3], 2
	v_and_b32_e32 v10, 3, v21
	v_mov_b32_e32 v6, s14
	v_add_co_u32_e32 v7, vcc, s0, v4
	v_and_b32_e32 v23, 2, v3
	s_lshr_b32 s0, s3, 2
	v_mad_u64_u32 v[13:14], s[2:3], s8, v10, 0
	v_addc_co_u32_e32 v6, vcc, v6, v5, vcc
	v_mul_lo_u32 v9, s0, v23
	v_mad_u64_u32 v[4:5], s[2:3], s8, v23, 0
	v_add_co_u32_e32 v17, vcc, v7, v8
	v_addc_co_u32_e32 v18, vcc, 0, v6, vcc
	v_mov_b32_e32 v6, v14
	v_or_b32_e32 v5, v5, v9
	v_mad_u64_u32 v[14:15], s[2:3], s0, v10, v[6:7]
	v_lshlrev_b64 v[4:5], 2, v[4:5]
	s_load_dword s0, s[4:5], 0x40
	v_add_co_u32_e32 v15, vcc, v17, v4
	v_addc_co_u32_e32 v16, vcc, v18, v5, vcc
	v_lshlrev_b64 v[13:14], 2, v[13:14]
	global_load_dwordx4 v[5:8], v[15:16], off
	global_load_dwordx4 v[9:12], v[15:16], off offset:512
	v_add_co_u32_e32 v24, vcc, v17, v13
	v_addc_co_u32_e32 v25, vcc, v18, v14, vcc
	global_load_dwordx4 v[13:16], v[24:25], off
	global_load_dwordx4 v[17:20], v[24:25], off offset:512
	v_lshlrev_b32_e32 v25, 3, v0
	v_lshlrev_b32_e32 v4, 10, v1
	v_add_u32_e32 v24, 0x2200, v25
	v_add_u32_e32 v26, v24, v4
	v_lshl_add_u32 v21, v21, 9, v24
	s_cmp_eq_u64 s[18:19], 0
	s_waitcnt vmcnt(3) lgkmcnt(0)
	v_fma_mixlo_f16 v5, s0, v5, 0
	v_fma_mixlo_f16 v6, s0, v6, 0
	v_fma_mixlo_f16 v7, s0, v7, 0
	v_fma_mixlo_f16 v8, s0, v8, 0
	s_waitcnt vmcnt(2)
	v_fma_mixlo_f16 v9, s0, v9, 0
	v_fma_mixlo_f16 v10, s0, v10, 0
	;; [unrolled: 1-line block ×4, first 2 shown]
	v_lshlrev_b32_e32 v6, 16, v6
	v_and_b32_e32 v5, 0xffff, v5
	v_lshlrev_b32_e32 v8, 16, v8
	v_and_b32_e32 v7, 0xffff, v7
	v_lshlrev_b32_e32 v10, 16, v10
	v_and_b32_e32 v9, 0xffff, v9
	v_lshlrev_b32_e32 v12, 16, v12
	v_and_b32_e32 v11, 0xffff, v11
	v_or_b32_e32 v5, v6, v5
	v_or3_b32 v6, v8, v7, 0
	v_or_b32_e32 v7, v10, v9
	s_waitcnt vmcnt(1)
	v_fma_mixlo_f16 v13, s0, v13, 0
	v_fma_mixlo_f16 v14, s0, v14, 0
	s_waitcnt vmcnt(0)
	v_fma_mixlo_f16 v17, s0, v17, 0
	v_fma_mixlo_f16 v18, s0, v18, 0
	v_or3_b32 v8, v12, v11, 0
	v_or3_b32 v5, 0, 0, v5
	;; [unrolled: 1-line block ×3, first 2 shown]
	v_fma_mixlo_f16 v15, s0, v15, 0
	v_fma_mixlo_f16 v16, s0, v16, 0
	v_lshlrev_b32_e32 v14, 16, v14
	v_and_b32_e32 v13, 0xffff, v13
	v_lshlrev_b32_e32 v18, 16, v18
	v_and_b32_e32 v17, 0xffff, v17
	ds_write2_b64 v26, v[5:6], v[7:8] offset1:32
	v_fma_mixlo_f16 v5, s0, v19, 0
	v_fma_mixlo_f16 v6, s0, v20, 0
	v_lshlrev_b32_e32 v16, 16, v16
	v_and_b32_e32 v15, 0xffff, v15
	v_or_b32_e32 v9, v14, v13
	v_or_b32_e32 v11, v18, v17
	v_lshlrev_b32_e32 v6, 16, v6
	v_and_b32_e32 v5, 0xffff, v5
	v_or3_b32 v10, v16, v15, 0
	v_or3_b32 v9, 0, 0, v9
	v_or3_b32 v6, v6, v5, 0
	v_or3_b32 v5, 0, 0, v11
	ds_write2_b64 v21, v[9:10], v[5:6] offset1:32
	s_waitcnt lgkmcnt(0)
	s_barrier
	s_cbranch_scc1 .LBB17_4
; %bb.3:
	s_load_dword s0, s[4:5], 0xd0
	s_mov_b32 s3, 0
	s_waitcnt lgkmcnt(0)
	s_mul_i32 s0, s0, s33
	s_add_i32 s2, s0, s6
	s_lshl_b64 s[2:3], s[2:3], 2
	s_add_u32 s2, s18, s2
	s_addc_u32 s3, s19, s3
	s_load_dword s28, s[2:3], 0x0
.LBB17_4:
	s_lshl_b32 s6, s7, 5
	v_lshlrev_b32_e32 v24, 2, v0
	s_waitcnt lgkmcnt(0)
	s_cmp_lt_i32 s6, s28
	v_mbcnt_lo_u32_b32 v10, -1, 0
	s_cbranch_scc1 .LBB17_7
; %bb.5:
	v_mbcnt_hi_u32_b32 v26, -1, v10
	v_and_b32_e32 v5, 0x60, v26
	v_add_u32_e32 v27, 32, v5
	v_xor_b32_e32 v32, 16, v26
	v_xor_b32_e32 v31, 8, v26
	;; [unrolled: 1-line block ×5, first 2 shown]
	s_cbranch_execz .LBB17_8
; %bb.6:
	v_mov_b32_e32 v52, 0
	v_mov_b32_e32 v18, 0
	;; [unrolled: 1-line block ×12, first 2 shown]
	s_branch .LBB17_10
.LBB17_7:
                                        ; implicit-def: $vgpr26
                                        ; implicit-def: $vgpr27
                                        ; implicit-def: $vgpr32
                                        ; implicit-def: $vgpr31
                                        ; implicit-def: $vgpr30
                                        ; implicit-def: $vgpr29
                                        ; implicit-def: $vgpr28
.LBB17_8:
	s_sub_i32 s0, 0, s34
	s_mul_i32 s0, s0, s36
	s_mul_hi_u32 s0, s36, s0
	s_add_i32 s0, s36, s0
	s_load_dwordx2 s[2:3], s[4:5], 0x8c
	s_load_dwordx4 s[36:39], s[4:5], 0x98
	s_ashr_i32 s24, s35, 31
	s_abs_i32 s18, s29
	s_ashr_i32 s19, s29, 31
	s_waitcnt lgkmcnt(0)
	s_ashr_i32 s15, s2, 2
	s_ashr_i32 s2, s33, 31
	s_mul_hi_u32 s25, s36, s33
	s_mul_i32 s35, s36, s2
	s_add_i32 s25, s25, s35
	s_mul_i32 s35, s37, s33
	s_ashr_i32 s14, s38, 2
	s_ashr_i32 s1, s1, 1
	s_add_i32 s25, s25, s35
	s_mul_i32 s35, s36, s33
	s_mul_hi_u32 s0, s18, s0
	s_add_u32 s10, s10, s35
	s_addc_u32 s11, s11, s25
	s_xor_b32 s19, s19, s24
	s_mul_i32 s24, s0, s34
	s_sub_i32 s18, s18, s24
	s_add_i32 s24, s0, 1
	s_sub_i32 s25, s18, s34
	s_cmp_ge_u32 s18, s34
	s_cselect_b32 s0, s24, s0
	s_cselect_b32 s18, s25, s18
	s_add_i32 s24, s0, 1
	s_cmp_ge_u32 s18, s34
	s_load_dwordx2 s[8:9], s[4:5], 0xa8
	s_cselect_b32 s0, s24, s0
	s_xor_b32 s0, s0, s19
	s_sub_i32 s0, s0, s19
	s_mul_i32 s3, s0, s3
	s_ashr_i32 s19, s3, 31
	s_add_u32 s18, s10, s3
	s_waitcnt lgkmcnt(0)
	s_mul_hi_u32 s3, s8, s33
	s_mul_i32 s2, s8, s2
	s_addc_u32 s19, s11, s19
	s_add_i32 s2, s3, s2
	s_mul_i32 s3, s9, s33
	s_add_i32 s2, s2, s3
	s_mul_i32 s3, s8, s33
	s_add_u32 s3, s12, s3
	s_mul_i32 s0, s0, s39
	s_addc_u32 s2, s13, s2
	s_ashr_i32 s8, s0, 31
	v_lshrrev_b32_e32 v5, 4, v0
	v_and_b32_e32 v9, 60, v24
	s_add_u32 s12, s3, s0
	v_add_u32_e32 v3, v5, v3
	v_lshlrev_b32_e32 v5, 2, v9
	s_movk_i32 s0, 0x110
	v_mul_lo_u32 v7, s15, v3
	v_mad_u32_u24 v33, v3, s0, v5
	v_mad_u64_u32 v[5:6], s[0:1], v2, s1, v[0:1]
	v_mul_lo_u32 v2, s14, v1
	v_lshl_add_u32 v11, s15, 4, v7
	v_mov_b32_e32 v3, 0x4200
	s_addc_u32 s13, s2, s8
	v_lshl_add_u32 v15, s14, 3, v2
	v_ashrrev_i32_e32 v8, 31, v7
	v_ashrrev_i32_e32 v12, 31, v11
	v_lshl_add_u32 v37, v1, 7, v3
	v_lshlrev_b32_e32 v38, 2, v24
	v_ashrrev_i32_e32 v3, 31, v2
	v_ashrrev_i32_e32 v16, 31, v15
	v_mbcnt_hi_u32_b32 v26, -1, v10
	v_lshl_add_u32 v39, v1, 9, v38
	s_add_u32 s10, s4, 0xd0
	v_lshlrev_b64 v[6:7], 2, v[7:8]
	v_lshlrev_b32_e32 v41, 2, v9
	v_lshlrev_b64 v[8:9], 2, v[11:12]
	v_and_b32_e32 v1, 0x60, v26
	v_lshlrev_b64 v[10:11], 2, v[2:3]
	v_lshlrev_b64 v[12:13], 2, v[15:16]
	v_mov_b32_e32 v43, 0
	v_add_u32_e32 v34, 0x1100, v33
	v_mul_u32_u24_e32 v35, 0x110, v0
	v_add_u32_e32 v36, 0x2200, v4
	v_add_u32_e32 v40, 0x1000, v39
	s_addc_u32 s11, s5, 0
	v_mov_b32_e32 v14, 0xfeffffff
	v_mov_b32_e32 v42, s31
	v_add_u32_e32 v27, 32, v1
	v_xor_b32_e32 v32, 16, v26
	v_xor_b32_e32 v31, 8, v26
	;; [unrolled: 1-line block ×5, first 2 shown]
	s_mov_b32 s24, 0x3fb8aa3b
	s_mov_b32 s25, 0xc2ce8ed0
	;; [unrolled: 1-line block ×3, first 2 shown]
	v_mov_b32_e32 v44, 0x7f800000
	s_mov_b32 s34, 0x10001
	v_add_u32_e32 v45, v37, v24
	v_add_u32_e32 v46, 0x800, v25
	;; [unrolled: 1-line block ×4, first 2 shown]
	v_mov_b32_e32 v50, 0
	v_mov_b32_e32 v51, 0
	;; [unrolled: 1-line block ×10, first 2 shown]
.LBB17_9:                               ; =>This Inner Loop Header: Depth=1
	s_mul_hi_i32 s1, s6, s15
	s_mul_i32 s0, s6, s15
	v_add_u32_e32 v1, s6, v5
	v_cmp_lt_i32_e32 vcc, v32, v27
	s_lshl_b64 s[0:1], s[0:1], 2
	v_ashrrev_i32_e32 v2, 31, v1
	v_cndmask_b32_e32 v3, v26, v32, vcc
	v_cmp_lt_i32_e32 vcc, v31, v27
	s_add_u32 s8, s18, s0
	v_lshlrev_b64 v[1:2], 1, v[1:2]
	v_cndmask_b32_e32 v4, v26, v31, vcc
	v_cmp_lt_i32_e32 vcc, v30, v27
	s_addc_u32 s0, s19, s1
	v_mov_b32_e32 v58, v14
	v_cndmask_b32_e32 v14, v26, v30, vcc
	v_cmp_lt_i32_e32 vcc, v29, v27
	v_lshlrev_b32_e32 v66, 2, v3
	v_lshlrev_b32_e32 v65, 2, v4
	v_mov_b32_e32 v3, s0
	v_mov_b32_e32 v4, s0
	v_add_co_u32_e64 v1, s[0:1], s30, v1
	v_mov_b32_e32 v57, v15
	v_cndmask_b32_e32 v15, v26, v29, vcc
	v_addc_co_u32_e64 v2, s[0:1], v42, v2, s[0:1]
	v_cmp_lt_i32_e32 vcc, v28, v27
	v_lshlrev_b32_e32 v63, 2, v15
	v_add_co_u32_e64 v15, s[0:1], s8, v6
	v_cndmask_b32_e32 v16, v26, v28, vcc
	v_lshlrev_b32_e32 v64, 2, v14
	v_add_co_u32_e32 v14, vcc, s8, v8
	v_addc_co_u32_e64 v3, s[0:1], v3, v7, s[0:1]
	v_addc_co_u32_e32 v4, vcc, v4, v9, vcc
	v_add_co_u32_e64 v81, s[0:1], v15, v41
	v_add_co_u32_e32 v14, vcc, v14, v41
	v_addc_co_u32_e64 v82, s[0:1], 0, v3, s[0:1]
	v_addc_co_u32_e32 v15, vcc, 0, v4, vcc
	global_load_dwordx4 v[69:72], v[81:82], off
	global_load_dwordx4 v[73:76], v[14:15], off
	s_mul_hi_i32 s3, s6, s14
	s_mul_i32 s2, s6, s14
	s_lshl_b64 s[2:3], s[2:3], 2
	s_add_u32 s2, s12, s2
	s_addc_u32 s3, s13, s3
	v_lshlrev_b32_e32 v62, 2, v16
	s_or_b32 s8, s6, 16
	v_mov_b32_e32 v3, s3
	v_add_co_u32_e32 v4, vcc, s2, v10
	v_mov_b32_e32 v16, s3
	v_add_co_u32_e64 v17, s[0:1], s2, v12
	s_mul_hi_i32 s3, s8, s14
	s_mul_i32 s2, s8, s14
	v_addc_co_u32_e32 v3, vcc, v3, v11, vcc
	v_addc_co_u32_e64 v16, vcc, v16, v13, s[0:1]
	v_add_co_u32_e64 v20, s[0:1], v4, v38
	s_lshl_b64 s[2:3], s[2:3], 2
	v_addc_co_u32_e64 v21, s[0:1], 0, v3, s[0:1]
	v_mov_b32_e32 v61, v18
	v_add_co_u32_e32 v18, vcc, v17, v38
	s_add_u32 s0, s12, s2
	v_mov_b32_e32 v56, v19
	v_addc_co_u32_e32 v19, vcc, 0, v16, vcc
	s_addc_u32 s1, s13, s3
	v_mov_b32_e32 v3, s1
	v_mov_b32_e32 v4, s1
	v_add_co_u32_e32 v16, vcc, s0, v12
	v_add_co_u32_e64 v17, s[0:1], s0, v10
	v_addc_co_u32_e64 v77, s[0:1], v3, v11, s[0:1]
	v_addc_co_u32_e32 v4, vcc, v4, v13, vcc
	v_add_co_u32_e32 v3, vcc, v16, v38
	v_add_co_u32_e64 v16, s[0:1], v17, v38
	v_addc_co_u32_e64 v17, s[0:1], 0, v77, s[0:1]
	s_waitcnt vmcnt(1)
	ds_write_b128 v33, v[69:72]
	s_waitcnt vmcnt(0)
	ds_write_b128 v34, v[73:76]
	s_waitcnt lgkmcnt(0)
	s_barrier
	ds_read_b128 v[69:72], v35
	ds_read_b128 v[73:76], v36
	ds_read_b128 v[77:80], v36 offset:512
	v_mov_b32_e32 v59, 0
	s_waitcnt lgkmcnt(1)
	;;#ASMSTART
	v_dot2_f32_f16 v59, v69, v73, v59
	;;#ASMEND
	;;#ASMSTART
	v_dot2_f32_f16 v59, v70, v74, v59
	;;#ASMEND
	v_mov_b32_e32 v60, 0
	;;#ASMSTART
	v_dot2_f32_f16 v59, v71, v75, v59
	;;#ASMEND
	;;#ASMSTART
	v_dot2_f32_f16 v59, v72, v76, v59
	;;#ASMEND
	s_waitcnt lgkmcnt(0)
	;;#ASMSTART
	v_dot2_f32_f16 v60, v69, v77, v60
	;;#ASMEND
	;;#ASMSTART
	v_dot2_f32_f16 v60, v70, v78, v60
	;;#ASMEND
	;;#ASMSTART
	v_dot2_f32_f16 v60, v71, v79, v60
	;;#ASMEND
	;;#ASMSTART
	v_dot2_f32_f16 v60, v72, v80, v60
	;;#ASMEND
	ds_read_b128 v[69:72], v35 offset:16
	ds_read_b128 v[73:76], v36 offset:16
	ds_read_b128 v[77:80], v36 offset:528
	s_waitcnt lgkmcnt(1)
	;;#ASMSTART
	v_dot2_f32_f16 v59, v69, v73, v59
	;;#ASMEND
	;;#ASMSTART
	v_dot2_f32_f16 v59, v70, v74, v59
	;;#ASMEND
	;;#ASMSTART
	v_dot2_f32_f16 v59, v71, v75, v59
	;;#ASMEND
	;;#ASMSTART
	v_dot2_f32_f16 v59, v72, v76, v59
	;;#ASMEND
	s_waitcnt lgkmcnt(0)
	;;#ASMSTART
	v_dot2_f32_f16 v60, v69, v77, v60
	;;#ASMEND
	;;#ASMSTART
	v_dot2_f32_f16 v60, v70, v78, v60
	;;#ASMEND
	;;#ASMSTART
	v_dot2_f32_f16 v60, v71, v79, v60
	;;#ASMEND
	;;#ASMSTART
	v_dot2_f32_f16 v60, v72, v80, v60
	;;#ASMEND
	ds_read_b128 v[69:72], v35 offset:32
	ds_read_b128 v[73:76], v36 offset:32
	ds_read_b128 v[77:80], v36 offset:544
	s_waitcnt lgkmcnt(1)
	;;#ASMSTART
	v_dot2_f32_f16 v59, v69, v73, v59
	;;#ASMEND
	;;#ASMSTART
	v_dot2_f32_f16 v59, v70, v74, v59
	;;#ASMEND
	;; [unrolled: 29-line block ×15, first 2 shown]
	;;#ASMSTART
	v_dot2_f32_f16 v59, v71, v75, v59
	;;#ASMEND
	;;#ASMSTART
	v_dot2_f32_f16 v59, v72, v76, v59
	;;#ASMEND
	s_waitcnt lgkmcnt(0)
	;;#ASMSTART
	v_dot2_f32_f16 v60, v69, v77, v60
	;;#ASMEND
	;;#ASMSTART
	v_dot2_f32_f16 v60, v70, v78, v60
	;;#ASMEND
	;; [unrolled: 3-line block ×4, first 2 shown]
	s_barrier
	global_load_dwordx4 v[69:72], v[81:82], off offset:256
	global_load_dwordx4 v[73:76], v[14:15], off offset:256
	v_max_f32_e32 v67, v58, v58
	v_max_f32_e32 v68, v57, v57
	v_addc_co_u32_e32 v4, vcc, 0, v4, vcc
	s_waitcnt vmcnt(1)
	ds_write_b128 v33, v[69:72]
	s_waitcnt vmcnt(0)
	ds_write_b128 v34, v[73:76]
	s_waitcnt lgkmcnt(0)
	s_barrier
	ds_read_b128 v[69:72], v35
	ds_read_b128 v[73:76], v36 offset:256
	ds_read_b128 v[77:80], v36 offset:768
	s_waitcnt lgkmcnt(1)
	;;#ASMSTART
	v_dot2_f32_f16 v59, v69, v73, v59
	;;#ASMEND
	;;#ASMSTART
	v_dot2_f32_f16 v59, v70, v74, v59
	;;#ASMEND
	;;#ASMSTART
	v_dot2_f32_f16 v59, v71, v75, v59
	;;#ASMEND
	;;#ASMSTART
	v_dot2_f32_f16 v59, v72, v76, v59
	;;#ASMEND
	s_waitcnt lgkmcnt(0)
	;;#ASMSTART
	v_dot2_f32_f16 v60, v69, v77, v60
	;;#ASMEND
	;;#ASMSTART
	v_dot2_f32_f16 v60, v70, v78, v60
	;;#ASMEND
	;;#ASMSTART
	v_dot2_f32_f16 v60, v71, v79, v60
	;;#ASMEND
	;;#ASMSTART
	v_dot2_f32_f16 v60, v72, v80, v60
	;;#ASMEND
	ds_read_b128 v[69:72], v35 offset:16
	ds_read_b128 v[73:76], v36 offset:272
	ds_read_b128 v[77:80], v36 offset:784
	s_waitcnt lgkmcnt(1)
	;;#ASMSTART
	v_dot2_f32_f16 v59, v69, v73, v59
	;;#ASMEND
	;;#ASMSTART
	v_dot2_f32_f16 v59, v70, v74, v59
	;;#ASMEND
	;;#ASMSTART
	v_dot2_f32_f16 v59, v71, v75, v59
	;;#ASMEND
	;;#ASMSTART
	v_dot2_f32_f16 v59, v72, v76, v59
	;;#ASMEND
	s_waitcnt lgkmcnt(0)
	;;#ASMSTART
	v_dot2_f32_f16 v60, v69, v77, v60
	;;#ASMEND
	;;#ASMSTART
	v_dot2_f32_f16 v60, v70, v78, v60
	;;#ASMEND
	;;#ASMSTART
	v_dot2_f32_f16 v60, v71, v79, v60
	;;#ASMEND
	;;#ASMSTART
	v_dot2_f32_f16 v60, v72, v80, v60
	;;#ASMEND
	ds_read_b128 v[69:72], v35 offset:32
	;; [unrolled: 29-line block ×15, first 2 shown]
	ds_read_b128 v[73:76], v36 offset:496
	ds_read_b128 v[77:80], v36 offset:1008
	s_waitcnt lgkmcnt(1)
	;;#ASMSTART
	v_dot2_f32_f16 v59, v69, v73, v59
	;;#ASMEND
	;;#ASMSTART
	v_dot2_f32_f16 v59, v70, v74, v59
	;;#ASMEND
	;; [unrolled: 3-line block ×4, first 2 shown]
	s_waitcnt lgkmcnt(0)
	;;#ASMSTART
	v_dot2_f32_f16 v60, v69, v77, v60
	;;#ASMEND
	;;#ASMSTART
	v_dot2_f32_f16 v60, v70, v78, v60
	;;#ASMEND
	;; [unrolled: 3-line block ×4, first 2 shown]
	global_load_ushort v1, v[1:2], off
	s_waitcnt vmcnt(0)
	s_barrier
	global_load_dwordx4 v[69:72], v[20:21], off
	global_load_dwordx4 v[73:76], v[18:19], off
	v_cvt_f32_f16_e32 v1, v1
	v_add_f32_e32 v2, v59, v1
	v_add_f32_e32 v1, v60, v1
	;; [unrolled: 1-line block ×4, first 2 shown]
	v_max_f32_e32 v14, v67, v14
	v_max_f32_e32 v15, v68, v15
	ds_bpermute_b32 v18, v66, v14
	ds_bpermute_b32 v19, v66, v15
	s_waitcnt lgkmcnt(1)
	v_max_f32_e32 v18, v18, v18
	s_waitcnt lgkmcnt(0)
	v_max_f32_e32 v19, v19, v19
	v_max_f32_e32 v14, v14, v18
	v_max_f32_e32 v15, v15, v19
	ds_bpermute_b32 v18, v65, v14
	ds_bpermute_b32 v19, v65, v15
	s_waitcnt lgkmcnt(1)
	v_max_f32_e32 v18, v18, v18
	s_waitcnt lgkmcnt(0)
	v_max_f32_e32 v19, v19, v19
	;; [unrolled: 8-line block ×5, first 2 shown]
	v_max_f32_e32 v14, v14, v18
	v_max_f32_e32 v15, v15, v19
	v_sub_f32_e32 v18, v58, v14
	v_sub_f32_e32 v2, v2, v14
	;; [unrolled: 1-line block ×4, first 2 shown]
	v_mul_f32_e32 v20, 0x3fb8aa3b, v18
	v_mul_f32_e32 v21, 0x3fb8aa3b, v2
	;; [unrolled: 1-line block ×4, first 2 shown]
	v_fma_f32 v59, v18, s24, -v20
	v_rndne_f32_e32 v60, v20
	v_fma_f32 v62, v2, s24, -v21
	v_rndne_f32_e32 v63, v21
	;; [unrolled: 2-line block ×4, first 2 shown]
	v_fmac_f32_e32 v59, 0x32a5705f, v18
	v_sub_f32_e32 v20, v20, v60
	v_fmac_f32_e32 v62, 0x32a5705f, v2
	v_sub_f32_e32 v21, v21, v63
	;; [unrolled: 2-line block ×4, first 2 shown]
	v_add_f32_e32 v20, v20, v59
	v_add_f32_e32 v21, v21, v62
	;; [unrolled: 1-line block ×4, first 2 shown]
	v_cvt_i32_f32_e32 v60, v60
	v_cvt_i32_f32_e32 v63, v63
	;; [unrolled: 1-line block ×4, first 2 shown]
	v_exp_f32_e32 v20, v20
	v_exp_f32_e32 v21, v21
	;; [unrolled: 1-line block ×4, first 2 shown]
	v_ldexp_f32 v20, v20, v60
	v_ldexp_f32 v21, v21, v63
	v_cmp_ngt_f32_e32 vcc, s25, v2
	v_ldexp_f32 v57, v57, v65
	v_cmp_ngt_f32_e64 s[0:1], s25, v19
	v_ldexp_f32 v58, v58, v67
	v_cmp_ngt_f32_e64 s[2:3], s25, v1
	v_cmp_ngt_f32_e64 s[8:9], s25, v18
	v_cndmask_b32_e64 v20, 0, v20, s[8:9]
	v_cndmask_b32_e32 v21, 0, v21, vcc
	v_cmp_nlt_f32_e32 vcc, s31, v2
	v_cndmask_b32_e64 v2, 0, v57, s[0:1]
	v_cndmask_b32_e64 v57, 0, v58, s[2:3]
	v_cmp_nlt_f32_e64 s[2:3], s31, v1
	v_cmp_nlt_f32_e64 s[8:9], s31, v18
	;; [unrolled: 1-line block ×3, first 2 shown]
	v_cndmask_b32_e64 v1, v44, v20, s[8:9]
	v_cndmask_b32_e32 v19, v44, v21, vcc
	v_cndmask_b32_e64 v18, v44, v57, s[2:3]
	v_cndmask_b32_e64 v2, v44, v2, s[0:1]
	v_cvt_f16_f32_e32 v20, v19
	v_fmac_f32_e32 v19, v56, v1
	v_cvt_f16_f32_e32 v1, v1
	v_cvt_f16_f32_e32 v21, v18
	;; [unrolled: 1-line block ×3, first 2 shown]
	v_fmac_f32_e32 v18, v61, v2
	v_mul_u32_u24_e32 v1, 0x10001, v1
	v_pack_b32_f16 v20, v20, v21
	v_mul_u32_u24_e32 v2, 0x10001, v56
	v_pk_mul_f16 v21, v55, v1
	v_pk_mul_f16 v77, v53, v1
	;; [unrolled: 1-line block ×3, first 2 shown]
	ds_write_b32 v45, v20
	s_waitcnt vmcnt(1)
	ds_write_b128 v39, v[69:72]
	s_waitcnt vmcnt(0)
	ds_write_b128 v40, v[73:76]
	s_waitcnt lgkmcnt(0)
	s_barrier
	ds_read2_b64 v[53:56], v25 offset1:32
	ds_read_b128 v[57:60], v37
	ds_read_b128 v[61:64], v37 offset:16
	ds_read_b128 v[65:68], v37 offset:32
	;; [unrolled: 1-line block ×3, first 2 shown]
	ds_read2_b64 v[73:76], v25 offset0:64 offset1:96
	v_pk_mul_f16 v51, v51, v2
	v_pk_mul_f16 v50, v50, v2
	;; [unrolled: 1-line block ×3, first 2 shown]
	s_waitcnt lgkmcnt(4)
	v_mul_u32_u24_sdwa v20, v57, s34 dst_sel:DWORD dst_unused:UNUSED_PAD src0_sel:WORD_0 src1_sel:DWORD
	v_mul_u32_u24_sdwa v57, v57, s34 dst_sel:DWORD dst_unused:UNUSED_PAD src0_sel:WORD_1 src1_sel:DWORD
	v_pk_mul_f16 v79, v53, v20
	v_pk_mul_f16 v81, v53, v57
	v_pk_fma_f16 v21, v54, v20, v21
	v_pk_fma_f16 v51, v54, v57, v51
	v_pk_fma_f16 v82, v55, v20, v77
	v_pk_fma_f16 v50, v55, v57, v50
	v_pk_fma_f16 v20, v56, v20, v78
	v_pk_fma_f16 v43, v56, v57, v43
	ds_read2_b64 v[53:56], v25 offset0:128 offset1:160
	v_pk_fma_f16 v1, v52, v1, v79
	ds_read2_b64 v[77:80], v25 offset0:192 offset1:224
	v_mul_u32_u24_sdwa v52, v58, s34 dst_sel:DWORD dst_unused:UNUSED_PAD src0_sel:WORD_0 src1_sel:DWORD
	v_pk_fma_f16 v2, v49, v2, v81
	v_mul_u32_u24_sdwa v49, v58, s34 dst_sel:DWORD dst_unused:UNUSED_PAD src0_sel:WORD_1 src1_sel:DWORD
	s_waitcnt lgkmcnt(2)
	v_pk_fma_f16 v21, v74, v52, v21
	v_pk_fma_f16 v74, v74, v49, v51
	;; [unrolled: 1-line block ×8, first 2 shown]
	ds_read2_b64 v[49:52], v46 offset1:32
	v_mul_u32_u24_sdwa v58, v59, s34 dst_sel:DWORD dst_unused:UNUSED_PAD src0_sel:WORD_0 src1_sel:DWORD
	v_mul_u32_u24_sdwa v73, v59, s34 dst_sel:DWORD dst_unused:UNUSED_PAD src0_sel:WORD_1 src1_sel:DWORD
	v_mul_u32_u24_sdwa v76, v60, s34 dst_sel:DWORD dst_unused:UNUSED_PAD src0_sel:WORD_0 src1_sel:DWORD
	v_mul_u32_u24_sdwa v81, v60, s34 dst_sel:DWORD dst_unused:UNUSED_PAD src0_sel:WORD_1 src1_sel:DWORD
	s_waitcnt lgkmcnt(2)
	v_pk_fma_f16 v21, v54, v58, v21
	v_pk_fma_f16 v82, v55, v58, v57
	;; [unrolled: 1-line block ×4, first 2 shown]
	ds_read2_b64 v[57:60], v46 offset0:64 offset1:96
	v_pk_fma_f16 v74, v54, v73, v74
	v_pk_fma_f16 v75, v55, v73, v75
	;; [unrolled: 1-line block ×4, first 2 shown]
	ds_read2_b64 v[53:56], v46 offset0:128 offset1:160
	s_waitcnt lgkmcnt(3)
	v_pk_fma_f16 v21, v78, v76, v21
	v_pk_fma_f16 v78, v78, v81, v74
	;; [unrolled: 1-line block ×8, first 2 shown]
	ds_read2_b64 v[73:76], v46 offset0:192 offset1:224
	v_mul_u32_u24_sdwa v77, v61, s34 dst_sel:DWORD dst_unused:UNUSED_PAD src0_sel:WORD_0 src1_sel:DWORD
	v_mul_u32_u24_sdwa v61, v61, s34 dst_sel:DWORD dst_unused:UNUSED_PAD src0_sel:WORD_1 src1_sel:DWORD
	s_waitcnt lgkmcnt(3)
	v_pk_fma_f16 v21, v50, v77, v21
	v_pk_fma_f16 v78, v50, v61, v78
	;; [unrolled: 1-line block ×8, first 2 shown]
	ds_read2_b64 v[49:52], v47 offset1:32
	v_mul_u32_u24_sdwa v61, v62, s34 dst_sel:DWORD dst_unused:UNUSED_PAD src0_sel:WORD_0 src1_sel:DWORD
	v_mul_u32_u24_sdwa v62, v62, s34 dst_sel:DWORD dst_unused:UNUSED_PAD src0_sel:WORD_1 src1_sel:DWORD
	s_waitcnt lgkmcnt(3)
	v_pk_fma_f16 v21, v58, v61, v21
	v_pk_fma_f16 v77, v58, v62, v78
	;; [unrolled: 1-line block ×8, first 2 shown]
	ds_read2_b64 v[57:60], v47 offset0:64 offset1:96
	v_mul_u32_u24_sdwa v61, v63, s34 dst_sel:DWORD dst_unused:UNUSED_PAD src0_sel:WORD_0 src1_sel:DWORD
	v_mul_u32_u24_sdwa v80, v63, s34 dst_sel:DWORD dst_unused:UNUSED_PAD src0_sel:WORD_1 src1_sel:DWORD
	v_mul_u32_u24_sdwa v81, v64, s34 dst_sel:DWORD dst_unused:UNUSED_PAD src0_sel:WORD_0 src1_sel:DWORD
	v_mul_u32_u24_sdwa v82, v64, s34 dst_sel:DWORD dst_unused:UNUSED_PAD src0_sel:WORD_1 src1_sel:DWORD
	s_waitcnt lgkmcnt(3)
	v_pk_fma_f16 v21, v54, v61, v21
	v_pk_fma_f16 v78, v55, v61, v78
	;; [unrolled: 1-line block ×4, first 2 shown]
	ds_read2_b64 v[61:64], v47 offset0:128 offset1:160
	v_pk_fma_f16 v77, v54, v80, v77
	v_pk_fma_f16 v79, v55, v80, v79
	;; [unrolled: 1-line block ×4, first 2 shown]
	s_waitcnt lgkmcnt(3)
	v_pk_fma_f16 v21, v74, v81, v21
	v_pk_fma_f16 v77, v74, v82, v77
	v_pk_fma_f16 v78, v75, v81, v78
	v_pk_fma_f16 v79, v75, v82, v79
	v_pk_fma_f16 v20, v76, v81, v20
	v_pk_fma_f16 v43, v76, v82, v43
	v_pk_fma_f16 v1, v73, v81, v1
	v_pk_fma_f16 v2, v73, v82, v2
	v_mul_u32_u24_sdwa v80, v65, s34 dst_sel:DWORD dst_unused:UNUSED_PAD src0_sel:WORD_0 src1_sel:DWORD
	v_mul_u32_u24_sdwa v65, v65, s34 dst_sel:DWORD dst_unused:UNUSED_PAD src0_sel:WORD_1 src1_sel:DWORD
	s_waitcnt lgkmcnt(2)
	v_pk_fma_f16 v21, v50, v80, v21
	v_pk_fma_f16 v77, v50, v65, v77
	v_pk_fma_f16 v78, v51, v80, v78
	v_pk_fma_f16 v79, v51, v65, v79
	v_pk_fma_f16 v20, v52, v80, v20
	v_pk_fma_f16 v43, v52, v65, v43
	v_pk_fma_f16 v1, v49, v80, v1
	v_pk_fma_f16 v2, v49, v65, v2
	v_mul_u32_u24_sdwa v65, v66, s34 dst_sel:DWORD dst_unused:UNUSED_PAD src0_sel:WORD_0 src1_sel:DWORD
	v_mul_u32_u24_sdwa v66, v66, s34 dst_sel:DWORD dst_unused:UNUSED_PAD src0_sel:WORD_1 src1_sel:DWORD
	;; [unrolled: 11-line block ×3, first 2 shown]
	ds_read2_b64 v[53:56], v47 offset0:192 offset1:224
	ds_read2_b64 v[73:76], v48 offset1:32
	ds_read2_b64 v[49:52], v48 offset0:64 offset1:96
	ds_read2_b64 v[57:60], v48 offset0:128 offset1:160
	s_waitcnt lgkmcnt(4)
	v_pk_fma_f16 v21, v62, v65, v21
	v_pk_fma_f16 v67, v62, v66, v77
	;; [unrolled: 1-line block ×8, first 2 shown]
	ds_read2_b64 v[61:64], v48 offset0:192 offset1:224
	s_waitcnt lgkmcnt(0)
	s_barrier
	global_load_dwordx4 v[77:80], v[16:17], off
	s_nop 0
	global_load_dwordx4 v[1:4], v[3:4], off
	v_mul_u32_u24_sdwa v16, v68, s34 dst_sel:DWORD dst_unused:UNUSED_PAD src0_sel:WORD_0 src1_sel:DWORD
	v_mul_u32_u24_sdwa v17, v68, s34 dst_sel:DWORD dst_unused:UNUSED_PAD src0_sel:WORD_1 src1_sel:DWORD
	v_mul_u32_u24_sdwa v68, v69, s34 dst_sel:DWORD dst_unused:UNUSED_PAD src0_sel:WORD_0 src1_sel:DWORD
	v_pk_fma_f16 v21, v54, v16, v21
	v_pk_fma_f16 v81, v55, v16, v81
	v_pk_fma_f16 v20, v56, v16, v20
	v_pk_fma_f16 v16, v53, v16, v65
	v_mul_u32_u24_sdwa v65, v69, s34 dst_sel:DWORD dst_unused:UNUSED_PAD src0_sel:WORD_1 src1_sel:DWORD
	v_pk_fma_f16 v54, v54, v17, v67
	v_pk_fma_f16 v55, v55, v17, v82
	;; [unrolled: 1-line block ×4, first 2 shown]
	v_mul_u32_u24_sdwa v53, v70, s34 dst_sel:DWORD dst_unused:UNUSED_PAD src0_sel:WORD_0 src1_sel:DWORD
	v_mul_u32_u24_sdwa v56, v70, s34 dst_sel:DWORD dst_unused:UNUSED_PAD src0_sel:WORD_1 src1_sel:DWORD
	v_mul_u32_u24_sdwa v66, v71, s34 dst_sel:DWORD dst_unused:UNUSED_PAD src0_sel:WORD_0 src1_sel:DWORD
	v_mul_u32_u24_sdwa v67, v71, s34 dst_sel:DWORD dst_unused:UNUSED_PAD src0_sel:WORD_1 src1_sel:DWORD
	v_pk_fma_f16 v21, v74, v68, v21
	v_pk_fma_f16 v54, v74, v65, v54
	;; [unrolled: 1-line block ×16, first 2 shown]
	v_mul_u32_u24_sdwa v69, v72, s34 dst_sel:DWORD dst_unused:UNUSED_PAD src0_sel:WORD_0 src1_sel:DWORD
	v_mul_u32_u24_sdwa v70, v72, s34 dst_sel:DWORD dst_unused:UNUSED_PAD src0_sel:WORD_1 src1_sel:DWORD
	v_pk_fma_f16 v21, v58, v66, v21
	v_pk_fma_f16 v49, v58, v67, v50
	;; [unrolled: 1-line block ×16, first 2 shown]
	s_waitcnt vmcnt(1)
	ds_write_b128 v39, v[77:80]
	s_waitcnt vmcnt(0)
	ds_write_b128 v40, v[1:4]
	s_waitcnt lgkmcnt(0)
	s_barrier
	ds_read2_b64 v[49:52], v25 offset1:32
	ds_read_b128 v[53:56], v37 offset:64
	ds_read_b128 v[57:60], v37 offset:80
	;; [unrolled: 1-line block ×4, first 2 shown]
	ds_read2_b64 v[65:68], v25 offset0:64 offset1:96
	ds_read2_b64 v[69:72], v25 offset0:128 offset1:160
	ds_read2_b64 v[73:76], v25 offset0:192 offset1:224
	s_waitcnt lgkmcnt(6)
	v_mul_u32_u24_sdwa v77, v53, s34 dst_sel:DWORD dst_unused:UNUSED_PAD src0_sel:WORD_0 src1_sel:DWORD
	v_mul_u32_u24_sdwa v53, v53, s34 dst_sel:DWORD dst_unused:UNUSED_PAD src0_sel:WORD_1 src1_sel:DWORD
	v_pk_fma_f16 v16, v49, v77, v16
	v_pk_fma_f16 v17, v49, v53, v17
	;; [unrolled: 1-line block ×8, first 2 shown]
	ds_read2_b64 v[49:52], v46 offset1:32
	v_mul_u32_u24_sdwa v53, v54, s34 dst_sel:DWORD dst_unused:UNUSED_PAD src0_sel:WORD_0 src1_sel:DWORD
	v_mul_u32_u24_sdwa v54, v54, s34 dst_sel:DWORD dst_unused:UNUSED_PAD src0_sel:WORD_1 src1_sel:DWORD
	s_waitcnt lgkmcnt(3)
	v_pk_fma_f16 v16, v65, v53, v16
	v_pk_fma_f16 v17, v65, v54, v17
	;; [unrolled: 1-line block ×8, first 2 shown]
	ds_read2_b64 v[65:68], v46 offset0:64 offset1:96
	v_mul_u32_u24_sdwa v53, v55, s34 dst_sel:DWORD dst_unused:UNUSED_PAD src0_sel:WORD_0 src1_sel:DWORD
	v_mul_u32_u24_sdwa v80, v55, s34 dst_sel:DWORD dst_unused:UNUSED_PAD src0_sel:WORD_1 src1_sel:DWORD
	v_mul_u32_u24_sdwa v81, v56, s34 dst_sel:DWORD dst_unused:UNUSED_PAD src0_sel:WORD_0 src1_sel:DWORD
	v_mul_u32_u24_sdwa v82, v56, s34 dst_sel:DWORD dst_unused:UNUSED_PAD src0_sel:WORD_1 src1_sel:DWORD
	s_waitcnt lgkmcnt(3)
	v_pk_fma_f16 v16, v69, v53, v16
	v_pk_fma_f16 v21, v70, v53, v21
	;; [unrolled: 1-line block ×4, first 2 shown]
	ds_read2_b64 v[53:56], v46 offset0:128 offset1:160
	v_pk_fma_f16 v17, v69, v80, v17
	v_pk_fma_f16 v77, v70, v80, v77
	;; [unrolled: 1-line block ×4, first 2 shown]
	ds_read2_b64 v[69:72], v46 offset0:192 offset1:224
	s_waitcnt lgkmcnt(4)
	v_pk_fma_f16 v16, v73, v81, v16
	v_pk_fma_f16 v17, v73, v82, v17
	;; [unrolled: 1-line block ×8, first 2 shown]
	ds_read2_b64 v[73:76], v47 offset1:32
	v_mul_u32_u24_sdwa v80, v57, s34 dst_sel:DWORD dst_unused:UNUSED_PAD src0_sel:WORD_0 src1_sel:DWORD
	v_mul_u32_u24_sdwa v57, v57, s34 dst_sel:DWORD dst_unused:UNUSED_PAD src0_sel:WORD_1 src1_sel:DWORD
	s_waitcnt lgkmcnt(4)
	v_pk_fma_f16 v16, v49, v80, v16
	v_pk_fma_f16 v17, v49, v57, v17
	;; [unrolled: 1-line block ×8, first 2 shown]
	ds_read2_b64 v[49:52], v47 offset0:64 offset1:96
	v_mul_u32_u24_sdwa v57, v58, s34 dst_sel:DWORD dst_unused:UNUSED_PAD src0_sel:WORD_0 src1_sel:DWORD
	v_mul_u32_u24_sdwa v58, v58, s34 dst_sel:DWORD dst_unused:UNUSED_PAD src0_sel:WORD_1 src1_sel:DWORD
	s_waitcnt lgkmcnt(4)
	v_pk_fma_f16 v16, v65, v57, v16
	v_pk_fma_f16 v17, v65, v58, v17
	;; [unrolled: 1-line block ×8, first 2 shown]
	v_mul_u32_u24_sdwa v57, v59, s34 dst_sel:DWORD dst_unused:UNUSED_PAD src0_sel:WORD_0 src1_sel:DWORD
	v_mul_u32_u24_sdwa v80, v59, s34 dst_sel:DWORD dst_unused:UNUSED_PAD src0_sel:WORD_1 src1_sel:DWORD
	ds_read2_b64 v[65:68], v47 offset0:128 offset1:160
	v_mul_u32_u24_sdwa v81, v60, s34 dst_sel:DWORD dst_unused:UNUSED_PAD src0_sel:WORD_0 src1_sel:DWORD
	v_mul_u32_u24_sdwa v82, v60, s34 dst_sel:DWORD dst_unused:UNUSED_PAD src0_sel:WORD_1 src1_sel:DWORD
	s_waitcnt lgkmcnt(4)
	v_pk_fma_f16 v16, v53, v57, v16
	v_pk_fma_f16 v21, v54, v57, v21
	;; [unrolled: 1-line block ×8, first 2 shown]
	ds_read2_b64 v[57:60], v47 offset0:192 offset1:224
	v_mul_u32_u24_sdwa v80, v61, s34 dst_sel:DWORD dst_unused:UNUSED_PAD src0_sel:WORD_0 src1_sel:DWORD
	s_waitcnt lgkmcnt(4)
	v_pk_fma_f16 v16, v69, v81, v16
	v_pk_fma_f16 v21, v70, v81, v21
	;; [unrolled: 1-line block ×4, first 2 shown]
	v_mul_u32_u24_sdwa v81, v61, s34 dst_sel:DWORD dst_unused:UNUSED_PAD src0_sel:WORD_1 src1_sel:DWORD
	v_pk_fma_f16 v17, v69, v82, v17
	v_pk_fma_f16 v69, v70, v82, v77
	;; [unrolled: 1-line block ×4, first 2 shown]
	ds_read2_b64 v[53:56], v48 offset1:32
	v_mul_u32_u24_sdwa v77, v62, s34 dst_sel:DWORD dst_unused:UNUSED_PAD src0_sel:WORD_0 src1_sel:DWORD
	v_mul_u32_u24_sdwa v79, v62, s34 dst_sel:DWORD dst_unused:UNUSED_PAD src0_sel:WORD_1 src1_sel:DWORD
	s_waitcnt lgkmcnt(4)
	v_pk_fma_f16 v16, v73, v80, v16
	v_pk_fma_f16 v21, v74, v80, v21
	;; [unrolled: 1-line block ×8, first 2 shown]
	v_mul_u32_u24_sdwa v82, v63, s34 dst_sel:DWORD dst_unused:UNUSED_PAD src0_sel:WORD_0 src1_sel:DWORD
	v_mul_u32_u24_sdwa v83, v63, s34 dst_sel:DWORD dst_unused:UNUSED_PAD src0_sel:WORD_1 src1_sel:DWORD
	v_mul_u32_u24_sdwa v84, v64, s34 dst_sel:DWORD dst_unused:UNUSED_PAD src0_sel:WORD_0 src1_sel:DWORD
	v_mul_u32_u24_sdwa v85, v64, s34 dst_sel:DWORD dst_unused:UNUSED_PAD src0_sel:WORD_1 src1_sel:DWORD
	ds_read2_b64 v[61:64], v48 offset0:64 offset1:96
	ds_read2_b64 v[69:72], v48 offset0:128 offset1:160
	v_mul_u32_u24_sdwa v75, v1, s34 dst_sel:DWORD dst_unused:UNUSED_PAD src0_sel:WORD_0 src1_sel:DWORD
	s_waitcnt lgkmcnt(5)
	v_pk_fma_f16 v16, v49, v77, v16
	v_pk_fma_f16 v21, v50, v77, v21
	;; [unrolled: 1-line block ×4, first 2 shown]
	v_mul_u32_u24_sdwa v77, v1, s34 dst_sel:DWORD dst_unused:UNUSED_PAD src0_sel:WORD_1 src1_sel:DWORD
	v_pk_fma_f16 v17, v49, v79, v17
	v_pk_fma_f16 v49, v50, v79, v73
	;; [unrolled: 1-line block ×4, first 2 shown]
	v_mul_u32_u24_sdwa v51, v2, s34 dst_sel:DWORD dst_unused:UNUSED_PAD src0_sel:WORD_0 src1_sel:DWORD
	v_mul_u32_u24_sdwa v52, v2, s34 dst_sel:DWORD dst_unused:UNUSED_PAD src0_sel:WORD_1 src1_sel:DWORD
	v_mul_u32_u24_sdwa v73, v3, s34 dst_sel:DWORD dst_unused:UNUSED_PAD src0_sel:WORD_0 src1_sel:DWORD
	v_mul_u32_u24_sdwa v74, v3, s34 dst_sel:DWORD dst_unused:UNUSED_PAD src0_sel:WORD_1 src1_sel:DWORD
	;; [unrolled: 2-line block ×3, first 2 shown]
	ds_read2_b64 v[1:4], v48 offset0:192 offset1:224
	s_waitcnt lgkmcnt(0)
	s_barrier
	s_load_dword s0, s[10:11], 0x4
	v_pk_fma_f16 v16, v65, v82, v16
	v_pk_fma_f16 v21, v66, v82, v21
	;; [unrolled: 1-line block ×24, first 2 shown]
	s_waitcnt lgkmcnt(0)
	s_lshl_b32 s0, s0, 5
	v_pk_fma_f16 v16, v61, v51, v16
	v_pk_fma_f16 v17, v61, v52, v17
	;; [unrolled: 1-line block ×8, first 2 shown]
	s_add_i32 s6, s0, s6
	v_pk_fma_f16 v16, v69, v73, v16
	v_pk_fma_f16 v17, v69, v74, v17
	;; [unrolled: 1-line block ×8, first 2 shown]
	s_cmp_ge_i32 s6, s28
	v_pk_fma_f16 v52, v1, v78, v16
	v_pk_fma_f16 v49, v1, v79, v17
	;; [unrolled: 1-line block ×8, first 2 shown]
	s_cbranch_scc0 .LBB17_9
.LBB17_10:
	v_cmp_lt_i32_e32 vcc, v32, v27
	v_cndmask_b32_e32 v1, v26, v32, vcc
	v_lshlrev_b32_e32 v1, 2, v1
	ds_bpermute_b32 v2, v1, v19
	ds_bpermute_b32 v1, v1, v18
	v_cmp_lt_i32_e32 vcc, v31, v27
	v_cndmask_b32_e32 v3, v26, v31, vcc
	v_lshlrev_b32_e32 v3, 2, v3
	s_waitcnt lgkmcnt(1)
	v_add_f32_e32 v2, v19, v2
	s_waitcnt lgkmcnt(0)
	v_add_f32_e32 v1, v18, v1
	ds_bpermute_b32 v4, v3, v2
	ds_bpermute_b32 v3, v3, v1
	v_cmp_lt_i32_e32 vcc, v30, v27
	v_cndmask_b32_e32 v5, v26, v30, vcc
	v_lshlrev_b32_e32 v5, 2, v5
	s_waitcnt lgkmcnt(1)
	v_add_f32_e32 v2, v2, v4
	s_waitcnt lgkmcnt(0)
	v_add_f32_e32 v1, v1, v3
	;; [unrolled: 9-line block ×4, first 2 shown]
	ds_bpermute_b32 v4, v5, v2
	ds_bpermute_b32 v5, v5, v3
	s_cmp_lg_u64 s[16:17], 0
	s_cselect_b64 s[0:1], -1, 0
	s_cmp_eq_u32 s7, 0
	s_cselect_b64 s[2:3], -1, 0
	s_and_b64 s[0:1], s[2:3], s[0:1]
	s_waitcnt lgkmcnt(1)
	v_add_f32_e32 v1, v2, v4
	s_waitcnt lgkmcnt(0)
	v_add_f32_e32 v2, v3, v5
	s_and_b64 vcc, exec, s[0:1]
	s_cbranch_vccz .LBB17_13
; %bb.11:
	v_add_u32_e32 v3, s29, v23
	v_ashrrev_i32_e32 v4, 31, v3
	v_lshlrev_b64 v[3:4], 2, v[3:4]
	v_mov_b32_e32 v5, s17
	v_add_co_u32_e32 v3, vcc, s16, v3
	v_addc_co_u32_e32 v4, vcc, v5, v4, vcc
	global_load_dwordx2 v[3:4], v[3:4], off
	v_max_f32_e32 v5, v14, v14
	v_max_f32_e32 v6, v15, v15
	s_mov_b32 s0, 0x3fb8aa3b
	s_mov_b32 s1, 0xc2ce8ed0
	;; [unrolled: 1-line block ×3, first 2 shown]
	v_mov_b32_e32 v7, 0x7f800000
	s_waitcnt vmcnt(0)
	v_max_f32_e32 v8, v3, v3
	v_max_f32_e32 v9, v4, v4
	;; [unrolled: 1-line block ×4, first 2 shown]
	v_sub_f32_e32 v8, v14, v5
	v_sub_f32_e32 v9, v15, v6
	v_mov_b32_e32 v15, v6
	v_sub_f32_e32 v3, v3, v5
	v_mov_b32_e32 v14, v5
	v_mul_f32_e32 v5, 0x3fb8aa3b, v8
	v_sub_f32_e32 v4, v4, v6
	v_mul_f32_e32 v6, 0x3fb8aa3b, v3
	v_fma_f32 v12, v8, s0, -v5
	v_rndne_f32_e32 v13, v5
	v_mul_f32_e32 v10, 0x3fb8aa3b, v9
	v_fma_f32 v16, v3, s0, -v6
	v_rndne_f32_e32 v17, v6
	v_fmac_f32_e32 v12, 0x32a5705f, v8
	v_sub_f32_e32 v5, v5, v13
	v_mul_f32_e32 v11, 0x3fb8aa3b, v4
	v_fma_f32 v18, v9, s0, -v10
	v_rndne_f32_e32 v19, v10
	v_fmac_f32_e32 v16, 0x32a5705f, v3
	v_sub_f32_e32 v6, v6, v17
	v_add_f32_e32 v5, v5, v12
	v_fma_f32 v20, v4, s0, -v11
	v_rndne_f32_e32 v21, v11
	v_cvt_i32_f32_e32 v13, v13
	v_fmac_f32_e32 v18, 0x32a5705f, v9
	v_sub_f32_e32 v10, v10, v19
	v_add_f32_e32 v6, v6, v16
	v_exp_f32_e32 v5, v5
	v_cvt_i32_f32_e32 v17, v17
	v_fmac_f32_e32 v20, 0x32a5705f, v4
	v_sub_f32_e32 v11, v11, v21
	v_add_f32_e32 v10, v10, v18
	v_exp_f32_e32 v6, v6
	v_cvt_i32_f32_e32 v19, v19
	v_add_f32_e32 v11, v11, v20
	v_exp_f32_e32 v10, v10
	v_cvt_i32_f32_e32 v21, v21
	v_exp_f32_e32 v11, v11
	v_ldexp_f32 v5, v5, v13
	v_cmp_ngt_f32_e32 vcc, s1, v8
	v_ldexp_f32 v6, v6, v17
	v_cndmask_b32_e32 v5, 0, v5, vcc
	v_cmp_ngt_f32_e32 vcc, s1, v3
	v_ldexp_f32 v10, v10, v19
	v_cndmask_b32_e32 v6, 0, v6, vcc
	;; [unrolled: 3-line block ×3, first 2 shown]
	v_cmp_ngt_f32_e32 vcc, s1, v4
	v_cndmask_b32_e32 v11, 0, v11, vcc
	v_cmp_nlt_f32_e32 vcc, s2, v8
	v_cndmask_b32_e32 v5, v7, v5, vcc
	v_cmp_nlt_f32_e32 vcc, s2, v3
	v_cndmask_b32_e32 v3, v7, v6, vcc
	v_cmp_nlt_f32_e32 vcc, s2, v9
	v_cndmask_b32_e32 v6, v7, v10, vcc
	v_cmp_nlt_f32_e32 vcc, s2, v4
	v_cndmask_b32_e32 v4, v7, v11, vcc
	v_fmac_f32_e32 v3, v1, v5
	v_cvt_f16_f32_e32 v5, v5
	v_cvt_f16_f32_e32 v7, v6
	v_fmac_f32_e32 v4, v2, v6
	v_mov_b32_e32 v1, v3
	v_mul_u32_u24_e32 v2, 0x10001, v5
	v_mul_u32_u24_e32 v5, 0x10001, v7
	v_pk_mul_f16 v52, v52, v2
	v_pk_mul_f16 v55, v55, v2
	;; [unrolled: 1-line block ×8, first 2 shown]
	v_mov_b32_e32 v2, v4
	v_cmp_gt_i32_e32 vcc, s26, v22
	s_and_saveexec_b64 s[0:1], vcc
	s_cbranch_execnz .LBB17_14
.LBB17_12:
	s_endpgm
.LBB17_13:
	v_mov_b32_e32 v4, v2
	v_mov_b32_e32 v3, v1
	v_cmp_gt_i32_e32 vcc, s26, v22
	s_and_saveexec_b64 s[0:1], vcc
	s_cbranch_execz .LBB17_12
.LBB17_14:
	s_load_dword s6, s[4:5], 0xd4
	v_mov_b32_e32 v5, 1.0
	s_waitcnt lgkmcnt(0)
	s_cmp_lg_u32 s6, 1
	s_cselect_b64 s[0:1], -1, 0
	s_cmp_eq_u32 s6, 1
	s_cselect_b64 s[2:3], -1, 0
	s_and_b64 vcc, exec, s[0:1]
	s_cbranch_vccnz .LBB17_16
; %bb.15:
	v_div_scale_f32 v5, s[4:5], v1, v1, 1.0
	v_div_scale_f32 v6, vcc, 1.0, v1, 1.0
	v_rcp_f32_e32 v7, v5
	v_fma_f32 v8, -v5, v7, 1.0
	v_fmac_f32_e32 v7, v8, v7
	v_mul_f32_e32 v8, v6, v7
	v_fma_f32 v9, -v5, v8, v6
	v_fmac_f32_e32 v8, v9, v7
	v_fma_f32 v5, -v5, v8, v6
	v_div_fmas_f32 v5, v5, v7, v8
	v_div_fixup_f32 v5, v5, v1, 1.0
.LBB17_16:
	s_mul_i32 s33, s33, s26
	v_add_u32_e32 v1, s33, v22
	v_mul_lo_u32 v1, v1, s27
	v_cmp_eq_u32_e32 vcc, 0, v0
	v_cvt_f32_f16_sdwa v6, v55 dst_sel:DWORD dst_unused:UNUSED_PAD src0_sel:WORD_1
	v_cvt_f32_f16_e32 v11, v52
	v_add3_u32 v0, s29, v23, v1
	v_mul_lo_u32 v0, s6, v0
	v_cvt_f32_f16_e32 v7, v55
	v_cvt_f32_f16_sdwa v1, v52 dst_sel:DWORD dst_unused:UNUSED_PAD src0_sel:WORD_1
	v_mul_f32_e32 v9, v5, v6
	v_add_u32_e32 v0, s7, v0
	v_lshl_add_u32 v10, v0, 8, v24
	v_mul_f32_e32 v6, v5, v11
	v_mov_b32_e32 v11, 0
	v_lshlrev_b64 v[12:13], 2, v[10:11]
	s_and_b64 s[0:1], vcc, s[0:1]
	v_mul_f32_e32 v8, v5, v7
	v_mul_f32_e32 v7, v5, v1
	v_mov_b32_e32 v1, s21
	v_add_co_u32_e32 v12, vcc, s20, v12
	v_addc_co_u32_e32 v13, vcc, v1, v13, vcc
	global_store_dwordx4 v[12:13], v[6:9], off
	v_cvt_f32_f16_sdwa v1, v54 dst_sel:DWORD dst_unused:UNUSED_PAD src0_sel:WORD_1
	v_cvt_f32_f16_e32 v6, v54
	v_cvt_f32_f16_sdwa v9, v53 dst_sel:DWORD dst_unused:UNUSED_PAD src0_sel:WORD_1
	v_cvt_f32_f16_e32 v12, v53
	v_add_u32_e32 v10, 0x80, v10
	v_mul_f32_e32 v7, v5, v6
	v_mul_f32_e32 v6, v5, v9
	v_lshlrev_b64 v[9:10], 2, v[10:11]
	v_mul_f32_e32 v8, v5, v1
	v_mov_b32_e32 v1, s21
	v_add_co_u32_e32 v9, vcc, s20, v9
	v_mul_f32_e32 v5, v5, v12
	v_addc_co_u32_e32 v10, vcc, v1, v10, vcc
	global_store_dwordx4 v[9:10], v[5:8], off
	s_and_saveexec_b64 s[4:5], s[0:1]
	s_cbranch_execz .LBB17_18
; %bb.17:
	v_ashrrev_i32_e32 v1, 31, v0
	v_lshlrev_b64 v[5:6], 3, v[0:1]
	v_mov_b32_e32 v1, s23
	v_add_co_u32_e32 v5, vcc, s22, v5
	v_addc_co_u32_e32 v6, vcc, v1, v6, vcc
	v_mov_b32_e32 v7, v14
	v_mov_b32_e32 v8, v3
	global_store_dwordx2 v[5:6], v[7:8], off
.LBB17_18:
	s_or_b64 exec, exec, s[4:5]
	s_andn2_b64 vcc, exec, s[2:3]
	v_mov_b32_e32 v1, 1.0
	s_cbranch_vccnz .LBB17_20
; %bb.19:
	v_div_scale_f32 v1, s[2:3], v2, v2, 1.0
	v_div_scale_f32 v3, vcc, 1.0, v2, 1.0
	v_rcp_f32_e32 v5, v1
	v_fma_f32 v6, -v1, v5, 1.0
	v_fmac_f32_e32 v5, v6, v5
	v_mul_f32_e32 v6, v3, v5
	v_fma_f32 v7, -v1, v6, v3
	v_fmac_f32_e32 v6, v7, v5
	v_fma_f32 v1, -v1, v6, v3
	v_div_fmas_f32 v1, v1, v5, v6
	v_div_fixup_f32 v1, v1, v2, 1.0
.LBB17_20:
	v_cvt_f32_f16_sdwa v3, v51 dst_sel:DWORD dst_unused:UNUSED_PAD src0_sel:WORD_1
	v_cvt_f32_f16_e32 v5, v51
	v_cvt_f32_f16_e32 v9, v49
	v_add_u32_e32 v0, s6, v0
	v_lshl_add_u32 v2, v0, 8, v24
	v_cvt_f32_f16_sdwa v6, v49 dst_sel:DWORD dst_unused:UNUSED_PAD src0_sel:WORD_1
	v_mul_f32_e32 v8, v1, v3
	v_mov_b32_e32 v3, 0
	v_mul_f32_e32 v7, v1, v5
	v_mul_f32_e32 v5, v1, v9
	v_lshlrev_b64 v[9:10], 2, v[2:3]
	v_mov_b32_e32 v11, s21
	v_add_co_u32_e32 v9, vcc, s20, v9
	v_mul_f32_e32 v6, v1, v6
	v_addc_co_u32_e32 v10, vcc, v11, v10, vcc
	global_store_dwordx4 v[9:10], v[5:8], off
	v_cvt_f32_f16_sdwa v9, v50 dst_sel:DWORD dst_unused:UNUSED_PAD src0_sel:WORD_1
	v_cvt_f32_f16_sdwa v5, v43 dst_sel:DWORD dst_unused:UNUSED_PAD src0_sel:WORD_1
	v_cvt_f32_f16_e32 v6, v43
	v_cvt_f32_f16_e32 v10, v50
	v_add_u32_e32 v2, 0x80, v2
	v_mul_f32_e32 v8, v1, v5
	v_mul_f32_e32 v7, v1, v6
	;; [unrolled: 1-line block ×4, first 2 shown]
	v_lshlrev_b64 v[1:2], 2, v[2:3]
	v_mov_b32_e32 v3, s21
	v_add_co_u32_e32 v1, vcc, s20, v1
	v_addc_co_u32_e32 v2, vcc, v3, v2, vcc
	global_store_dwordx4 v[1:2], v[5:8], off
	s_and_b64 exec, exec, s[0:1]
	s_cbranch_execz .LBB17_12
; %bb.21:
	v_ashrrev_i32_e32 v1, 31, v0
	v_lshlrev_b64 v[0:1], 3, v[0:1]
	v_mov_b32_e32 v2, s23
	v_add_co_u32_e32 v0, vcc, s22, v0
	v_addc_co_u32_e32 v1, vcc, v2, v1, vcc
	v_mov_b32_e32 v3, v15
	global_store_dwordx2 v[0:1], v[3:4], off
	s_endpgm
	.section	.rodata,"a",@progbits
	.p2align	6, 0x0
	.amdhsa_kernel _ZL15flash_attn_tileILi256ELi256ELi4ELi4ELb0EEvPKcS1_S1_S1_S1_PKiPfP15HIP_vector_typeIfLj2EEffffjfiS5_IjLj3EEiiiiiiiiiiiliiliiiiil
		.amdhsa_group_segment_fixed_size 17920
		.amdhsa_private_segment_fixed_size 0
		.amdhsa_kernarg_size 464
		.amdhsa_user_sgpr_count 6
		.amdhsa_user_sgpr_private_segment_buffer 1
		.amdhsa_user_sgpr_dispatch_ptr 0
		.amdhsa_user_sgpr_queue_ptr 0
		.amdhsa_user_sgpr_kernarg_segment_ptr 1
		.amdhsa_user_sgpr_dispatch_id 0
		.amdhsa_user_sgpr_flat_scratch_init 0
		.amdhsa_user_sgpr_private_segment_size 0
		.amdhsa_uses_dynamic_stack 0
		.amdhsa_system_sgpr_private_segment_wavefront_offset 0
		.amdhsa_system_sgpr_workgroup_id_x 1
		.amdhsa_system_sgpr_workgroup_id_y 1
		.amdhsa_system_sgpr_workgroup_id_z 1
		.amdhsa_system_sgpr_workgroup_info 0
		.amdhsa_system_vgpr_workitem_id 1
		.amdhsa_next_free_vgpr 86
		.amdhsa_next_free_sgpr 98
		.amdhsa_reserve_vcc 1
		.amdhsa_reserve_flat_scratch 0
		.amdhsa_float_round_mode_32 0
		.amdhsa_float_round_mode_16_64 0
		.amdhsa_float_denorm_mode_32 3
		.amdhsa_float_denorm_mode_16_64 3
		.amdhsa_dx10_clamp 1
		.amdhsa_ieee_mode 1
		.amdhsa_fp16_overflow 0
		.amdhsa_exception_fp_ieee_invalid_op 0
		.amdhsa_exception_fp_denorm_src 0
		.amdhsa_exception_fp_ieee_div_zero 0
		.amdhsa_exception_fp_ieee_overflow 0
		.amdhsa_exception_fp_ieee_underflow 0
		.amdhsa_exception_fp_ieee_inexact 0
		.amdhsa_exception_int_div_zero 0
	.end_amdhsa_kernel
	.section	.text._ZL15flash_attn_tileILi256ELi256ELi4ELi4ELb0EEvPKcS1_S1_S1_S1_PKiPfP15HIP_vector_typeIfLj2EEffffjfiS5_IjLj3EEiiiiiiiiiiiliiliiiiil,"axG",@progbits,_ZL15flash_attn_tileILi256ELi256ELi4ELi4ELb0EEvPKcS1_S1_S1_S1_PKiPfP15HIP_vector_typeIfLj2EEffffjfiS5_IjLj3EEiiiiiiiiiiiliiliiiiil,comdat
.Lfunc_end17:
	.size	_ZL15flash_attn_tileILi256ELi256ELi4ELi4ELb0EEvPKcS1_S1_S1_S1_PKiPfP15HIP_vector_typeIfLj2EEffffjfiS5_IjLj3EEiiiiiiiiiiiliiliiiiil, .Lfunc_end17-_ZL15flash_attn_tileILi256ELi256ELi4ELi4ELb0EEvPKcS1_S1_S1_S1_PKiPfP15HIP_vector_typeIfLj2EEffffjfiS5_IjLj3EEiiiiiiiiiiiliiliiiiil
                                        ; -- End function
	.set _ZL15flash_attn_tileILi256ELi256ELi4ELi4ELb0EEvPKcS1_S1_S1_S1_PKiPfP15HIP_vector_typeIfLj2EEffffjfiS5_IjLj3EEiiiiiiiiiiiliiliiiiil.num_vgpr, 86
	.set _ZL15flash_attn_tileILi256ELi256ELi4ELi4ELb0EEvPKcS1_S1_S1_S1_PKiPfP15HIP_vector_typeIfLj2EEffffjfiS5_IjLj3EEiiiiiiiiiiiliiliiiiil.num_agpr, 0
	.set _ZL15flash_attn_tileILi256ELi256ELi4ELi4ELb0EEvPKcS1_S1_S1_S1_PKiPfP15HIP_vector_typeIfLj2EEffffjfiS5_IjLj3EEiiiiiiiiiiiliiliiiiil.numbered_sgpr, 44
	.set _ZL15flash_attn_tileILi256ELi256ELi4ELi4ELb0EEvPKcS1_S1_S1_S1_PKiPfP15HIP_vector_typeIfLj2EEffffjfiS5_IjLj3EEiiiiiiiiiiiliiliiiiil.num_named_barrier, 0
	.set _ZL15flash_attn_tileILi256ELi256ELi4ELi4ELb0EEvPKcS1_S1_S1_S1_PKiPfP15HIP_vector_typeIfLj2EEffffjfiS5_IjLj3EEiiiiiiiiiiiliiliiiiil.private_seg_size, 0
	.set _ZL15flash_attn_tileILi256ELi256ELi4ELi4ELb0EEvPKcS1_S1_S1_S1_PKiPfP15HIP_vector_typeIfLj2EEffffjfiS5_IjLj3EEiiiiiiiiiiiliiliiiiil.uses_vcc, 1
	.set _ZL15flash_attn_tileILi256ELi256ELi4ELi4ELb0EEvPKcS1_S1_S1_S1_PKiPfP15HIP_vector_typeIfLj2EEffffjfiS5_IjLj3EEiiiiiiiiiiiliiliiiiil.uses_flat_scratch, 0
	.set _ZL15flash_attn_tileILi256ELi256ELi4ELi4ELb0EEvPKcS1_S1_S1_S1_PKiPfP15HIP_vector_typeIfLj2EEffffjfiS5_IjLj3EEiiiiiiiiiiiliiliiiiil.has_dyn_sized_stack, 0
	.set _ZL15flash_attn_tileILi256ELi256ELi4ELi4ELb0EEvPKcS1_S1_S1_S1_PKiPfP15HIP_vector_typeIfLj2EEffffjfiS5_IjLj3EEiiiiiiiiiiiliiliiiiil.has_recursion, 0
	.set _ZL15flash_attn_tileILi256ELi256ELi4ELi4ELb0EEvPKcS1_S1_S1_S1_PKiPfP15HIP_vector_typeIfLj2EEffffjfiS5_IjLj3EEiiiiiiiiiiiliiliiiiil.has_indirect_call, 0
	.section	.AMDGPU.csdata,"",@progbits
; Kernel info:
; codeLenInByte = 10660
; TotalNumSgprs: 48
; NumVgprs: 86
; ScratchSize: 0
; MemoryBound: 0
; FloatMode: 240
; IeeeMode: 1
; LDSByteSize: 17920 bytes/workgroup (compile time only)
; SGPRBlocks: 12
; VGPRBlocks: 21
; NumSGPRsForWavesPerEU: 102
; NumVGPRsForWavesPerEU: 86
; Occupancy: 2
; WaveLimiterHint : 1
; COMPUTE_PGM_RSRC2:SCRATCH_EN: 0
; COMPUTE_PGM_RSRC2:USER_SGPR: 6
; COMPUTE_PGM_RSRC2:TRAP_HANDLER: 0
; COMPUTE_PGM_RSRC2:TGID_X_EN: 1
; COMPUTE_PGM_RSRC2:TGID_Y_EN: 1
; COMPUTE_PGM_RSRC2:TGID_Z_EN: 1
; COMPUTE_PGM_RSRC2:TIDIG_COMP_CNT: 1
	.section	.text._ZL33flash_attn_stream_k_fixup_uniformILi256ELi4ELi4EEvPfPK15HIP_vector_typeIfLj2EEiiiiiiS1_IjLj3EES5_S5_,"axG",@progbits,_ZL33flash_attn_stream_k_fixup_uniformILi256ELi4ELi4EEvPfPK15HIP_vector_typeIfLj2EEiiiiiiS1_IjLj3EES5_S5_,comdat
	.globl	_ZL33flash_attn_stream_k_fixup_uniformILi256ELi4ELi4EEvPfPK15HIP_vector_typeIfLj2EEiiiiiiS1_IjLj3EES5_S5_ ; -- Begin function _ZL33flash_attn_stream_k_fixup_uniformILi256ELi4ELi4EEvPfPK15HIP_vector_typeIfLj2EEiiiiiiS1_IjLj3EES5_S5_
	.p2align	8
	.type	_ZL33flash_attn_stream_k_fixup_uniformILi256ELi4ELi4EEvPfPK15HIP_vector_typeIfLj2EEiiiiiiS1_IjLj3EES5_S5_,@function
_ZL33flash_attn_stream_k_fixup_uniformILi256ELi4ELi4EEvPfPK15HIP_vector_typeIfLj2EEiiiiiiS1_IjLj3EES5_S5_: ; @_ZL33flash_attn_stream_k_fixup_uniformILi256ELi4ELi4EEvPfPK15HIP_vector_typeIfLj2EEiiiiiiS1_IjLj3EES5_S5_
; %bb.0:
	s_load_dwordx8 s[12:19], s[4:5], 0x1c
	s_load_dwordx2 s[10:11], s[4:5], 0x10
	s_load_dwordx4 s[0:3], s[4:5], 0x3c
	s_waitcnt lgkmcnt(0)
	s_mul_hi_u32 s9, s15, s6
	s_add_i32 s9, s6, s9
	s_lshr_b32 s9, s9, s16
	s_mul_i32 s15, s9, s17
	s_sub_i32 s15, s6, s15
	s_mul_hi_u32 s16, s15, s18
	s_add_i32 s16, s15, s16
	s_lshr_b32 s16, s16, s19
	s_mul_i32 s0, s16, s0
	s_sub_i32 s0, s15, s0
	;; [unrolled: 5-line block ×3, first 2 shown]
	s_lshl_b32 s0, s17, 2
	s_lshl_b32 s15, s1, 2
	s_add_i32 s0, s0, s7
	s_cmp_lt_i32 s0, s10
	s_cselect_b64 s[0:1], -1, 0
	s_add_i32 s2, s15, s8
	s_cmp_lt_i32 s2, s13
	s_cselect_b64 s[2:3], -1, 0
	s_and_b64 s[0:1], s[0:1], s[2:3]
	s_andn2_b64 vcc, exec, s[0:1]
	s_cbranch_vccnz .LBB18_6
; %bb.1:
	s_load_dwordx4 s[0:3], s[4:5], 0x0
	s_mul_i32 s4, s9, s10
	s_add_i32 s4, s4, s7
	s_mul_i32 s4, s4, s11
	s_mul_i32 s16, s16, s13
	s_add_i32 s4, s4, s8
	s_add_i32 s4, s4, s16
	s_mul_i32 s5, s11, s17
	s_add_i32 s4, s4, s15
	s_lshl_b32 s5, s5, 10
	s_lshl_b32 s4, s4, 8
	s_add_i32 s5, s5, s4
	v_or_b32_e32 v1, s5, v0
	v_ashrrev_i32_e32 v2, 31, v1
	v_lshlrev_b64 v[1:2], 2, v[1:2]
	s_waitcnt lgkmcnt(0)
	v_mov_b32_e32 v3, s1
	v_add_co_u32_e32 v1, vcc, s0, v1
	v_addc_co_u32_e32 v2, vcc, v3, v2, vcc
	global_load_dword v8, v[1:2], off
	s_mul_i32 s9, s14, s6
	s_lshl_b32 s4, s7, 2
	s_add_i32 s11, s9, s14
	s_add_i32 s0, s4, s8
	s_lshl_b32 s1, s11, 4
	s_add_i32 s0, s0, s1
	s_add_i32 s0, s0, -16
	s_ashr_i32 s1, s0, 31
	s_lshl_b64 s[0:1], s[0:1], 3
	s_add_u32 s0, s2, s0
	s_addc_u32 s1, s3, s1
	s_load_dword s5, s[0:1], 0x4
	s_add_i32 s10, s11, -2
	s_cmp_lt_i32 s10, s9
	s_cbranch_scc1 .LBB18_4
; %bb.2:
	s_lshl_b32 s16, s12, 6
	s_ashr_i32 s17, s16, 31
	s_lshl_b64 s[16:17], s[16:17], 2
	s_add_u32 s10, s2, s16
	s_addc_u32 s13, s3, s17
	s_add_i32 s6, s6, 1
	s_load_dword s0, s[0:1], 0x0
	s_mul_i32 s1, s14, s6
	s_lshl_b32 s7, s7, 10
	s_lshl_b32 s14, s8, 8
	s_lshl_b32 s6, s1, 12
	s_add_i32 s7, s14, s7
	s_lshl_b32 s1, s1, 4
	s_add_i32 s7, s7, s6
	s_add_i32 s1, s8, s1
	s_lshl_b32 s6, s12, 4
	s_add_i32 s1, s1, s6
	v_or_b32_e32 v0, s7, v0
	s_add_i32 s1, s1, s4
	s_add_i32 s11, s11, -1
	v_add_u32_e32 v3, 0xffffe000, v0
	s_sub_i32 s4, s1, 32
	s_waitcnt lgkmcnt(0)
	v_mov_b32_e32 v7, s5
	v_mov_b32_e32 v6, s0
	;; [unrolled: 1-line block ×3, first 2 shown]
	s_mov_b32 s6, 0x3fb8aa3b
	s_mov_b32 s7, 0xc2ce8ed0
	s_mov_b32 s8, 0x42b17218
	v_mov_b32_e32 v5, 0x7f800000
	s_mov_b32 s12, 0xc1a00000
.LBB18_3:                               ; =>This Inner Loop Header: Depth=1
	v_ashrrev_i32_e32 v4, 31, v3
	v_lshlrev_b64 v[9:10], 2, v[3:4]
	s_ashr_i32 s5, s4, 31
	v_add_co_u32_e32 v9, vcc, s10, v9
	v_addc_co_u32_e32 v10, vcc, v0, v10, vcc
	global_load_dword v4, v[9:10], off
	s_lshl_b64 s[0:1], s[4:5], 3
	s_add_u32 s0, s2, s0
	s_addc_u32 s1, s3, s1
	s_load_dwordx2 s[14:15], s[0:1], 0x0
	s_waitcnt vmcnt(1)
	v_mov_b32_e32 v9, v8
	v_max_f32_e32 v8, v6, v6
	v_mov_b32_e32 v10, v7
	s_add_i32 s11, s11, -1
	s_waitcnt lgkmcnt(0)
	v_max_f32_e64 v7, s14, s14
	v_max_f32_e32 v7, v8, v7
	v_sub_f32_e32 v11, s14, v7
	v_sub_f32_e32 v8, v6, v7
	v_mul_f32_e32 v12, 0x3fb8aa3b, v11
	v_mov_b32_e32 v6, v7
	v_mul_f32_e32 v7, 0x3fb8aa3b, v8
	v_fma_f32 v15, v11, s6, -v12
	v_rndne_f32_e32 v16, v12
	v_fma_f32 v13, v8, s6, -v7
	v_rndne_f32_e32 v14, v7
	v_fmac_f32_e32 v15, 0x32a5705f, v11
	v_sub_f32_e32 v12, v12, v16
	v_fmac_f32_e32 v13, 0x32a5705f, v8
	v_sub_f32_e32 v7, v7, v14
	v_add_f32_e32 v12, v12, v15
	v_cvt_i32_f32_e32 v16, v16
	v_add_f32_e32 v7, v7, v13
	v_exp_f32_e32 v12, v12
	v_cvt_i32_f32_e32 v14, v14
	v_exp_f32_e32 v7, v7
	v_cmp_ngt_f32_e32 vcc, s7, v11
	v_ldexp_f32 v12, v12, v16
	v_cmp_ngt_f32_e64 s[0:1], s7, v8
	v_ldexp_f32 v7, v7, v14
	v_cndmask_b32_e32 v12, 0, v12, vcc
	v_cmp_nlt_f32_e32 vcc, s8, v11
	v_cndmask_b32_e64 v7, 0, v7, s[0:1]
	v_cmp_nlt_f32_e64 s[0:1], s8, v8
	v_cndmask_b32_e32 v12, v5, v12, vcc
	v_cmp_le_f32_e32 vcc, s12, v11
	v_cndmask_b32_e64 v7, v5, v7, s[0:1]
	v_cmp_le_f32_e64 s[0:1], s12, v8
	v_cndmask_b32_e32 v8, 0, v12, vcc
	s_add_i32 s4, s4, -16
	v_cndmask_b32_e64 v11, 0, v7, s[0:1]
	v_mul_f32_e32 v7, s15, v8
	v_add_u32_e32 v3, 0xfffff000, v3
	s_cmp_le_i32 s11, s9
	v_fmac_f32_e32 v7, v10, v11
	s_waitcnt vmcnt(0)
	v_mul_f32_e32 v8, v4, v8
	v_fmac_f32_e32 v8, v9, v11
	s_cbranch_scc0 .LBB18_3
	s_branch .LBB18_5
.LBB18_4:
	s_waitcnt lgkmcnt(0)
	v_mov_b32_e32 v7, s5
.LBB18_5:
	s_waitcnt vmcnt(0)
	v_div_scale_f32 v0, s[0:1], v7, v7, v8
	v_div_scale_f32 v3, vcc, v8, v7, v8
	v_rcp_f32_e32 v4, v0
	v_fma_f32 v5, -v0, v4, 1.0
	v_fmac_f32_e32 v4, v5, v4
	v_mul_f32_e32 v5, v3, v4
	v_fma_f32 v6, -v0, v5, v3
	v_fmac_f32_e32 v5, v6, v4
	v_fma_f32 v0, -v0, v5, v3
	v_div_fmas_f32 v0, v0, v4, v5
	v_div_fixup_f32 v0, v0, v7, v8
	global_store_dword v[1:2], v0, off
.LBB18_6:
	s_endpgm
	.section	.rodata,"a",@progbits
	.p2align	6, 0x0
	.amdhsa_kernel _ZL33flash_attn_stream_k_fixup_uniformILi256ELi4ELi4EEvPfPK15HIP_vector_typeIfLj2EEiiiiiiS1_IjLj3EES5_S5_
		.amdhsa_group_segment_fixed_size 0
		.amdhsa_private_segment_fixed_size 0
		.amdhsa_kernarg_size 76
		.amdhsa_user_sgpr_count 6
		.amdhsa_user_sgpr_private_segment_buffer 1
		.amdhsa_user_sgpr_dispatch_ptr 0
		.amdhsa_user_sgpr_queue_ptr 0
		.amdhsa_user_sgpr_kernarg_segment_ptr 1
		.amdhsa_user_sgpr_dispatch_id 0
		.amdhsa_user_sgpr_flat_scratch_init 0
		.amdhsa_user_sgpr_private_segment_size 0
		.amdhsa_uses_dynamic_stack 0
		.amdhsa_system_sgpr_private_segment_wavefront_offset 0
		.amdhsa_system_sgpr_workgroup_id_x 1
		.amdhsa_system_sgpr_workgroup_id_y 1
		.amdhsa_system_sgpr_workgroup_id_z 1
		.amdhsa_system_sgpr_workgroup_info 0
		.amdhsa_system_vgpr_workitem_id 0
		.amdhsa_next_free_vgpr 17
		.amdhsa_next_free_sgpr 20
		.amdhsa_reserve_vcc 1
		.amdhsa_reserve_flat_scratch 0
		.amdhsa_float_round_mode_32 0
		.amdhsa_float_round_mode_16_64 0
		.amdhsa_float_denorm_mode_32 3
		.amdhsa_float_denorm_mode_16_64 3
		.amdhsa_dx10_clamp 1
		.amdhsa_ieee_mode 1
		.amdhsa_fp16_overflow 0
		.amdhsa_exception_fp_ieee_invalid_op 0
		.amdhsa_exception_fp_denorm_src 0
		.amdhsa_exception_fp_ieee_div_zero 0
		.amdhsa_exception_fp_ieee_overflow 0
		.amdhsa_exception_fp_ieee_underflow 0
		.amdhsa_exception_fp_ieee_inexact 0
		.amdhsa_exception_int_div_zero 0
	.end_amdhsa_kernel
	.section	.text._ZL33flash_attn_stream_k_fixup_uniformILi256ELi4ELi4EEvPfPK15HIP_vector_typeIfLj2EEiiiiiiS1_IjLj3EES5_S5_,"axG",@progbits,_ZL33flash_attn_stream_k_fixup_uniformILi256ELi4ELi4EEvPfPK15HIP_vector_typeIfLj2EEiiiiiiS1_IjLj3EES5_S5_,comdat
.Lfunc_end18:
	.size	_ZL33flash_attn_stream_k_fixup_uniformILi256ELi4ELi4EEvPfPK15HIP_vector_typeIfLj2EEiiiiiiS1_IjLj3EES5_S5_, .Lfunc_end18-_ZL33flash_attn_stream_k_fixup_uniformILi256ELi4ELi4EEvPfPK15HIP_vector_typeIfLj2EEiiiiiiS1_IjLj3EES5_S5_
                                        ; -- End function
	.set _ZL33flash_attn_stream_k_fixup_uniformILi256ELi4ELi4EEvPfPK15HIP_vector_typeIfLj2EEiiiiiiS1_IjLj3EES5_S5_.num_vgpr, 17
	.set _ZL33flash_attn_stream_k_fixup_uniformILi256ELi4ELi4EEvPfPK15HIP_vector_typeIfLj2EEiiiiiiS1_IjLj3EES5_S5_.num_agpr, 0
	.set _ZL33flash_attn_stream_k_fixup_uniformILi256ELi4ELi4EEvPfPK15HIP_vector_typeIfLj2EEiiiiiiS1_IjLj3EES5_S5_.numbered_sgpr, 20
	.set _ZL33flash_attn_stream_k_fixup_uniformILi256ELi4ELi4EEvPfPK15HIP_vector_typeIfLj2EEiiiiiiS1_IjLj3EES5_S5_.num_named_barrier, 0
	.set _ZL33flash_attn_stream_k_fixup_uniformILi256ELi4ELi4EEvPfPK15HIP_vector_typeIfLj2EEiiiiiiS1_IjLj3EES5_S5_.private_seg_size, 0
	.set _ZL33flash_attn_stream_k_fixup_uniformILi256ELi4ELi4EEvPfPK15HIP_vector_typeIfLj2EEiiiiiiS1_IjLj3EES5_S5_.uses_vcc, 1
	.set _ZL33flash_attn_stream_k_fixup_uniformILi256ELi4ELi4EEvPfPK15HIP_vector_typeIfLj2EEiiiiiiS1_IjLj3EES5_S5_.uses_flat_scratch, 0
	.set _ZL33flash_attn_stream_k_fixup_uniformILi256ELi4ELi4EEvPfPK15HIP_vector_typeIfLj2EEiiiiiiS1_IjLj3EES5_S5_.has_dyn_sized_stack, 0
	.set _ZL33flash_attn_stream_k_fixup_uniformILi256ELi4ELi4EEvPfPK15HIP_vector_typeIfLj2EEiiiiiiS1_IjLj3EES5_S5_.has_recursion, 0
	.set _ZL33flash_attn_stream_k_fixup_uniformILi256ELi4ELi4EEvPfPK15HIP_vector_typeIfLj2EEiiiiiiS1_IjLj3EES5_S5_.has_indirect_call, 0
	.section	.AMDGPU.csdata,"",@progbits
; Kernel info:
; codeLenInByte = 856
; TotalNumSgprs: 24
; NumVgprs: 17
; ScratchSize: 0
; MemoryBound: 0
; FloatMode: 240
; IeeeMode: 1
; LDSByteSize: 0 bytes/workgroup (compile time only)
; SGPRBlocks: 2
; VGPRBlocks: 4
; NumSGPRsForWavesPerEU: 24
; NumVGPRsForWavesPerEU: 17
; Occupancy: 10
; WaveLimiterHint : 0
; COMPUTE_PGM_RSRC2:SCRATCH_EN: 0
; COMPUTE_PGM_RSRC2:USER_SGPR: 6
; COMPUTE_PGM_RSRC2:TRAP_HANDLER: 0
; COMPUTE_PGM_RSRC2:TGID_X_EN: 1
; COMPUTE_PGM_RSRC2:TGID_Y_EN: 1
; COMPUTE_PGM_RSRC2:TGID_Z_EN: 1
; COMPUTE_PGM_RSRC2:TIDIG_COMP_CNT: 0
	.section	.text._ZL33flash_attn_stream_k_fixup_generalILi256ELi4ELi4EEvPfPK15HIP_vector_typeIfLj2EEiiiiS1_IjLj3EES5_S5_S5_,"axG",@progbits,_ZL33flash_attn_stream_k_fixup_generalILi256ELi4ELi4EEvPfPK15HIP_vector_typeIfLj2EEiiiiS1_IjLj3EES5_S5_S5_,comdat
	.globl	_ZL33flash_attn_stream_k_fixup_generalILi256ELi4ELi4EEvPfPK15HIP_vector_typeIfLj2EEiiiiS1_IjLj3EES5_S5_S5_ ; -- Begin function _ZL33flash_attn_stream_k_fixup_generalILi256ELi4ELi4EEvPfPK15HIP_vector_typeIfLj2EEiiiiS1_IjLj3EES5_S5_S5_
	.p2align	8
	.type	_ZL33flash_attn_stream_k_fixup_generalILi256ELi4ELi4EEvPfPK15HIP_vector_typeIfLj2EEiiiiS1_IjLj3EES5_S5_S5_,@function
_ZL33flash_attn_stream_k_fixup_generalILi256ELi4ELi4EEvPfPK15HIP_vector_typeIfLj2EEiiiiS1_IjLj3EES5_S5_S5_: ; @_ZL33flash_attn_stream_k_fixup_generalILi256ELi4ELi4EEvPfPK15HIP_vector_typeIfLj2EEiiiiS1_IjLj3EES5_S5_S5_
; %bb.0:
	s_load_dwordx4 s[0:3], s[4:5], 0x10
	s_load_dword s22, s[4:5], 0x50
	s_mov_b32 s12, 0
	s_waitcnt lgkmcnt(0)
	s_mul_hi_i32 s13, s3, s6
	s_cmp_lg_u64 s[12:13], 0
	s_mul_i32 s9, s3, s6
	s_cbranch_scc0 .LBB19_20
; %bb.1:
	s_add_u32 s10, s22, 0
	s_addc_u32 s11, 0, 0
	s_xor_b64 s[10:11], s[10:11], 0
	v_cvt_f32_u32_e32 v1, s10
	v_cvt_f32_u32_e32 v2, s11
	s_sub_u32 s12, 0, s10
	s_subb_u32 s18, 0, s11
	v_madmk_f32 v1, v2, 0x4f800000, v1
	v_rcp_f32_e32 v1, v1
	v_mul_f32_e32 v1, 0x5f7ffffc, v1
	v_mul_f32_e32 v2, 0x2f800000, v1
	v_trunc_f32_e32 v2, v2
	v_madmk_f32 v1, v2, 0xcf800000, v1
	v_cvt_u32_f32_e32 v2, v2
	v_cvt_u32_f32_e32 v1, v1
	v_readfirstlane_b32 s19, v2
	v_readfirstlane_b32 s14, v1
	s_mul_i32 s15, s12, s19
	s_mul_hi_u32 s21, s12, s14
	s_mul_i32 s20, s18, s14
	s_add_i32 s15, s21, s15
	s_add_i32 s15, s15, s20
	s_mul_i32 s23, s12, s14
	s_mul_i32 s21, s14, s15
	s_mul_hi_u32 s24, s14, s23
	s_mul_hi_u32 s20, s14, s15
	s_add_u32 s21, s24, s21
	s_addc_u32 s20, 0, s20
	s_mul_hi_u32 s25, s19, s23
	s_mul_i32 s23, s19, s23
	s_add_u32 s21, s21, s23
	s_mul_hi_u32 s24, s19, s15
	s_addc_u32 s20, s20, s25
	s_addc_u32 s21, s24, 0
	s_mul_i32 s15, s19, s15
	s_add_u32 s15, s20, s15
	s_addc_u32 s20, 0, s21
	s_add_u32 s21, s14, s15
	s_cselect_b64 s[14:15], -1, 0
	s_cmp_lg_u64 s[14:15], 0
	s_addc_u32 s19, s19, s20
	s_mul_i32 s14, s12, s19
	s_mul_hi_u32 s15, s12, s21
	s_add_i32 s14, s15, s14
	s_mul_i32 s18, s18, s21
	s_add_i32 s14, s14, s18
	s_mul_i32 s12, s12, s21
	s_mul_hi_u32 s18, s19, s12
	s_mul_i32 s20, s19, s12
	s_mul_i32 s24, s21, s14
	s_mul_hi_u32 s12, s21, s12
	s_mul_hi_u32 s23, s21, s14
	s_add_u32 s12, s12, s24
	s_addc_u32 s23, 0, s23
	s_add_u32 s12, s12, s20
	s_mul_hi_u32 s15, s19, s14
	s_addc_u32 s12, s23, s18
	s_addc_u32 s15, s15, 0
	s_mul_i32 s14, s19, s14
	s_add_u32 s12, s12, s14
	s_addc_u32 s18, 0, s15
	s_add_u32 s20, s21, s12
	s_cselect_b64 s[14:15], -1, 0
	s_cmp_lg_u64 s[14:15], 0
	s_addc_u32 s18, s19, s18
	s_ashr_i32 s14, s13, 31
	s_add_u32 s12, s9, s14
	s_mov_b32 s15, s14
	s_addc_u32 s13, s13, s14
	s_xor_b64 s[12:13], s[12:13], s[14:15]
	s_mul_i32 s21, s12, s18
	s_mul_hi_u32 s23, s12, s20
	s_mul_hi_u32 s19, s12, s18
	s_add_u32 s21, s23, s21
	s_addc_u32 s19, 0, s19
	s_mul_hi_u32 s24, s13, s20
	s_mul_i32 s20, s13, s20
	s_add_u32 s20, s21, s20
	s_mul_hi_u32 s23, s13, s18
	s_addc_u32 s19, s19, s24
	s_addc_u32 s20, s23, 0
	s_mul_i32 s18, s13, s18
	s_add_u32 s23, s19, s18
	s_addc_u32 s24, 0, s20
	s_mul_i32 s18, s10, s24
	s_mul_hi_u32 s19, s10, s23
	s_add_i32 s18, s19, s18
	s_mul_i32 s19, s11, s23
	s_add_i32 s25, s18, s19
	s_sub_i32 s20, s13, s25
	s_mul_i32 s18, s10, s23
	s_sub_u32 s12, s12, s18
	s_cselect_b64 s[18:19], -1, 0
	s_cmp_lg_u64 s[18:19], 0
	s_subb_u32 s26, s20, s11
	s_sub_u32 s27, s12, s10
	s_cselect_b64 s[20:21], -1, 0
	s_cmp_lg_u64 s[20:21], 0
	s_subb_u32 s20, s26, 0
	s_cmp_ge_u32 s20, s11
	s_cselect_b32 s21, -1, 0
	s_cmp_ge_u32 s27, s10
	s_cselect_b32 s26, -1, 0
	s_cmp_eq_u32 s20, s11
	s_cselect_b32 s20, s26, s21
	s_add_u32 s21, s23, 1
	s_addc_u32 s26, s24, 0
	s_add_u32 s27, s23, 2
	s_addc_u32 s28, s24, 0
	s_cmp_lg_u32 s20, 0
	s_cselect_b32 s20, s27, s21
	s_cselect_b32 s21, s28, s26
	s_cmp_lg_u64 s[18:19], 0
	s_subb_u32 s13, s13, s25
	s_cmp_ge_u32 s13, s11
	s_cselect_b32 s18, -1, 0
	s_cmp_ge_u32 s12, s10
	s_cselect_b32 s10, -1, 0
	s_cmp_eq_u32 s13, s11
	s_cselect_b32 s10, s10, s18
	s_cmp_lg_u32 s10, 0
	s_cselect_b32 s11, s21, s24
	s_cselect_b32 s10, s20, s23
	s_xor_b64 s[12:13], s[14:15], 0
	s_xor_b64 s[10:11], s[10:11], s[12:13]
	s_sub_u32 s10, s10, s12
	s_load_dwordx4 s[12:15], s[4:5], 0x44
	s_cbranch_execnz .LBB19_3
.LBB19_2:
	v_cvt_f32_u32_e32 v1, s22
	s_sub_i32 s10, 0, s22
	v_rcp_iflag_f32_e32 v1, v1
	v_mul_f32_e32 v1, 0x4f7ffffe, v1
	v_cvt_u32_f32_e32 v1, v1
	v_readfirstlane_b32 s11, v1
	s_mul_i32 s10, s10, s11
	s_mul_hi_u32 s10, s11, s10
	s_add_i32 s11, s11, s10
	s_mul_hi_u32 s10, s9, s11
	s_waitcnt lgkmcnt(0)
	s_mul_i32 s15, s10, s22
	s_sub_i32 s9, s9, s15
	s_add_i32 s11, s10, 1
	s_sub_i32 s15, s9, s22
	s_cmp_ge_u32 s9, s22
	s_cselect_b32 s10, s11, s10
	s_cselect_b32 s9, s15, s9
	s_add_i32 s11, s10, 1
	s_cmp_ge_u32 s9, s22
	s_cselect_b32 s10, s11, s10
.LBB19_3:
	s_add_i32 s9, s6, 1
	s_mul_hi_i32 s21, s3, s9
	s_mov_b32 s20, 0
	s_cmp_lg_u64 s[20:21], 0
	s_mul_i32 s9, s3, s9
	s_cbranch_scc0 .LBB19_21
; %bb.4:
	s_add_u32 s16, s22, 0
	s_addc_u32 s17, 0, 0
	s_xor_b64 s[18:19], s[16:17], 0
	v_cvt_f32_u32_e32 v1, s18
	v_cvt_f32_u32_e32 v2, s19
	s_sub_u32 s11, 0, s18
	s_waitcnt lgkmcnt(0)
	s_subb_u32 s15, 0, s19
	v_madmk_f32 v1, v2, 0x4f800000, v1
	v_rcp_f32_e32 v1, v1
	v_mul_f32_e32 v1, 0x5f7ffffc, v1
	v_mul_f32_e32 v2, 0x2f800000, v1
	v_trunc_f32_e32 v2, v2
	v_madmk_f32 v1, v2, 0xcf800000, v1
	v_cvt_u32_f32_e32 v2, v2
	v_cvt_u32_f32_e32 v1, v1
	v_readfirstlane_b32 s20, v2
	v_readfirstlane_b32 s23, v1
	s_mul_i32 s24, s11, s20
	s_mul_hi_u32 s26, s11, s23
	s_mul_i32 s25, s15, s23
	s_add_i32 s24, s26, s24
	s_add_i32 s24, s24, s25
	s_mul_i32 s27, s11, s23
	s_mul_i32 s26, s23, s24
	s_mul_hi_u32 s28, s23, s27
	s_mul_hi_u32 s25, s23, s24
	s_add_u32 s26, s28, s26
	s_addc_u32 s25, 0, s25
	s_mul_hi_u32 s29, s20, s27
	s_mul_i32 s27, s20, s27
	s_add_u32 s26, s26, s27
	s_mul_hi_u32 s28, s20, s24
	s_addc_u32 s25, s25, s29
	s_addc_u32 s26, s28, 0
	s_mul_i32 s24, s20, s24
	s_add_u32 s24, s25, s24
	s_addc_u32 s26, 0, s26
	s_add_u32 s23, s23, s24
	s_cselect_b64 s[24:25], -1, 0
	s_cmp_lg_u64 s[24:25], 0
	s_addc_u32 s20, s20, s26
	s_mul_i32 s24, s11, s20
	s_mul_hi_u32 s25, s11, s23
	s_add_i32 s24, s25, s24
	s_mul_i32 s15, s15, s23
	s_add_i32 s24, s24, s15
	s_mul_i32 s11, s11, s23
	s_mul_hi_u32 s25, s20, s11
	s_mul_i32 s26, s20, s11
	s_mul_i32 s28, s23, s24
	s_mul_hi_u32 s11, s23, s11
	s_mul_hi_u32 s27, s23, s24
	s_add_u32 s11, s11, s28
	s_addc_u32 s27, 0, s27
	s_add_u32 s11, s11, s26
	s_mul_hi_u32 s15, s20, s24
	s_addc_u32 s11, s27, s25
	s_addc_u32 s15, s15, 0
	s_mul_i32 s24, s20, s24
	s_add_u32 s11, s11, s24
	s_addc_u32 s15, 0, s15
	s_add_u32 s11, s23, s11
	s_cselect_b64 s[24:25], -1, 0
	s_cmp_lg_u64 s[24:25], 0
	s_addc_u32 s15, s20, s15
	s_ashr_i32 s24, s21, 31
	s_add_u32 s20, s9, s24
	s_mov_b32 s25, s24
	s_addc_u32 s21, s21, s24
	s_xor_b64 s[20:21], s[20:21], s[24:25]
	s_mul_i32 s26, s20, s15
	s_mul_hi_u32 s27, s20, s11
	s_mul_hi_u32 s23, s20, s15
	s_add_u32 s26, s27, s26
	s_addc_u32 s23, 0, s23
	s_mul_hi_u32 s28, s21, s11
	s_mul_i32 s11, s21, s11
	s_add_u32 s11, s26, s11
	s_mul_hi_u32 s27, s21, s15
	s_addc_u32 s11, s23, s28
	s_addc_u32 s23, s27, 0
	s_mul_i32 s15, s21, s15
	s_add_u32 s11, s11, s15
	s_addc_u32 s15, 0, s23
	s_mul_i32 s23, s18, s15
	s_mul_hi_u32 s26, s18, s11
	s_add_i32 s23, s26, s23
	s_mul_i32 s26, s19, s11
	s_add_i32 s23, s23, s26
	s_sub_i32 s28, s21, s23
	s_mul_i32 s26, s18, s11
	s_sub_u32 s20, s20, s26
	s_cselect_b64 s[26:27], -1, 0
	s_cmp_lg_u64 s[26:27], 0
	s_subb_u32 s30, s28, s19
	s_sub_u32 s31, s20, s18
	s_cselect_b64 s[28:29], -1, 0
	s_cmp_lg_u64 s[28:29], 0
	s_subb_u32 s28, s30, 0
	s_cmp_ge_u32 s28, s19
	s_cselect_b32 s29, -1, 0
	s_cmp_ge_u32 s31, s18
	s_cselect_b32 s30, -1, 0
	s_cmp_eq_u32 s28, s19
	s_cselect_b32 s28, s30, s29
	s_add_u32 s29, s11, 1
	s_addc_u32 s30, s15, 0
	s_add_u32 s31, s11, 2
	s_addc_u32 s33, s15, 0
	s_cmp_lg_u32 s28, 0
	s_cselect_b32 s28, s31, s29
	s_cselect_b32 s29, s33, s30
	s_cmp_lg_u64 s[26:27], 0
	s_subb_u32 s21, s21, s23
	s_cmp_ge_u32 s21, s19
	s_cselect_b32 s23, -1, 0
	s_cmp_ge_u32 s20, s18
	s_cselect_b32 s18, -1, 0
	s_cmp_eq_u32 s21, s19
	s_cselect_b32 s18, s18, s23
	s_cmp_lg_u32 s18, 0
	s_cselect_b32 s19, s29, s15
	s_cselect_b32 s18, s28, s11
	s_xor_b64 s[20:21], s[24:25], 0
	s_xor_b64 s[18:19], s[18:19], s[20:21]
	s_sub_u32 s18, s18, s20
	s_cbranch_execnz .LBB19_6
.LBB19_5:
	v_cvt_f32_u32_e32 v1, s22
	s_sub_i32 s11, 0, s22
	v_rcp_iflag_f32_e32 v1, v1
	v_mul_f32_e32 v1, 0x4f7ffffe, v1
	v_cvt_u32_f32_e32 v1, v1
	s_waitcnt lgkmcnt(0)
	v_readfirstlane_b32 s15, v1
	s_mul_i32 s11, s11, s15
	s_mul_hi_u32 s11, s15, s11
	s_add_i32 s15, s15, s11
	s_mul_hi_u32 s11, s9, s15
	s_mul_i32 s16, s11, s22
	s_sub_i32 s9, s9, s16
	s_add_i32 s15, s11, 1
	s_sub_i32 s16, s9, s22
	s_cmp_ge_u32 s9, s22
	s_cselect_b32 s11, s15, s11
	s_cselect_b32 s9, s16, s9
	s_add_i32 s15, s11, 1
	s_cmp_ge_u32 s9, s22
	s_cselect_b32 s18, s15, s11
.LBB19_6:
	s_cmp_eq_u32 s10, s18
	s_waitcnt lgkmcnt(0)
	s_mul_hi_u32 s9, s10, s12
	s_cselect_b64 s[16:17], -1, 0
	s_add_i32 s9, s9, s10
	s_lshr_b32 s11, s9, s13
	s_mul_i32 s9, s11, s14
	s_cmp_eq_u32 s9, s10
	s_mul_hi_u32 s9, s18, s12
	s_cselect_b64 s[20:21], -1, 0
	s_add_i32 s9, s9, s18
	s_lshr_b32 s9, s9, s13
	s_cmp_eq_u32 s11, s9
	s_mul_i32 s9, s9, s14
	s_cselect_b64 s[24:25], -1, 0
	s_cmp_lg_u32 s9, s18
	s_cselect_b64 s[18:19], -1, 0
	s_and_b64 s[18:19], s[24:25], s[18:19]
	s_or_b64 s[16:17], s[16:17], s[20:21]
	s_or_b64 s[16:17], s[16:17], s[18:19]
	s_and_b64 vcc, exec, s[16:17]
	s_cbranch_vccnz .LBB19_23
; %bb.7:
	s_load_dwordx8 s[24:31], s[4:5], 0x20
	s_load_dword s15, s[4:5], 0x40
	s_waitcnt lgkmcnt(0)
	s_mul_hi_u32 s9, s10, s24
	s_add_i32 s9, s9, s10
	s_lshr_b32 s9, s9, s25
	s_mul_i32 s16, s9, s26
	s_sub_i32 s16, s10, s16
	s_mul_hi_u32 s17, s16, s27
	s_add_i32 s17, s16, s17
	s_lshr_b32 s23, s17, s28
	s_mul_i32 s17, s23, s29
	s_sub_i32 s16, s16, s17
	;; [unrolled: 5-line block ×3, first 2 shown]
	s_mul_hi_u32 s16, s15, s12
	s_add_i32 s15, s15, s16
	s_lshr_b32 s25, s15, s13
	s_lshl_b32 s15, s25, 2
	s_lshl_b32 s24, s17, 2
	s_add_i32 s15, s15, s7
	s_cmp_lt_i32 s15, s0
	s_cselect_b64 s[16:17], -1, 0
	s_add_i32 s15, s24, s8
	s_cmp_lt_i32 s15, s2
	s_cselect_b64 s[18:19], -1, 0
	s_and_b64 s[16:17], s[16:17], s[18:19]
	s_andn2_b64 vcc, exec, s[16:17]
	s_cbranch_vccnz .LBB19_23
; %bb.8:
	s_load_dwordx4 s[16:19], s[4:5], 0x0
	s_mov_b32 s4, 0
	s_lshl_b32 s15, s7, 2
	s_lshl_b32 s20, s22, 6
	s_mov_b32 s21, s4
	s_add_i32 s15, s15, s8
	s_lshl_b64 s[20:21], s[20:21], 2
	s_waitcnt lgkmcnt(0)
	s_add_u32 s20, s18, s20
	s_mul_i32 s0, s9, s0
	s_addc_u32 s21, s19, s21
	s_add_i32 s0, s0, s7
	s_mul_i32 s0, s0, s1
	s_mul_i32 s23, s23, s2
	s_add_i32 s0, s0, s8
	s_add_i32 s0, s0, s23
	s_mul_i32 s2, s1, s25
	s_add_i32 s0, s0, s24
	s_lshl_b32 s2, s2, 10
	s_lshl_b32 s0, s0, 8
	s_add_i32 s2, s2, s0
	v_or_b32_e32 v1, s2, v0
	v_ashrrev_i32_e32 v2, 31, v1
	v_lshlrev_b64 v[1:2], 2, v[1:2]
	v_mov_b32_e32 v3, s17
	v_add_co_u32_e32 v1, vcc, s16, v1
	v_addc_co_u32_e32 v2, vcc, v3, v2, vcc
	global_load_dword v3, v[1:2], off
	v_cvt_f32_u32_e32 v4, s22
	s_lshl_b32 s0, s6, 4
	s_add_i32 s0, s15, s0
	s_ashr_i32 s1, s0, 31
	s_lshl_b64 s[0:1], s[0:1], 3
	v_rcp_iflag_f32_e32 v4, v4
	s_add_u32 s0, s18, s0
	s_addc_u32 s1, s19, s1
	s_load_dwordx2 s[0:1], s[0:1], 0x0
	v_mul_f32_e32 v4, 0x4f7ffffe, v4
	v_cvt_u32_f32_e32 v4, v4
	s_add_i32 s24, s6, -1
	v_lshl_or_b32 v0, s15, 8, v0
	s_waitcnt lgkmcnt(0)
	v_mov_b32_e32 v6, s1
	v_mov_b32_e32 v7, s0
	s_mov_b32 s2, 0x3fb8aa3b
	s_mov_b32 s16, 0xc2ce8ed0
	;; [unrolled: 1-line block ×4, first 2 shown]
	v_mov_b32_e32 v5, 0x7f800000
	s_mul_hi_i32 s5, s24, s3
	s_cmp_lg_u64 s[4:5], 0
	s_mul_i32 s8, s24, s3
	s_cbranch_scc0 .LBB19_19
.LBB19_9:
	s_add_u32 s0, s22, 0
	s_addc_u32 s1, 0, 0
	s_xor_b64 s[0:1], s[0:1], 0
	v_cvt_f32_u32_e32 v8, s0
	v_cvt_f32_u32_e32 v9, s1
	s_sub_u32 s9, 0, s0
	s_subb_u32 s25, 0, s1
	v_mac_f32_e32 v8, 0x4f800000, v9
	v_rcp_f32_e32 v8, v8
	v_mul_f32_e32 v8, 0x5f7ffffc, v8
	v_mul_f32_e32 v9, 0x2f800000, v8
	v_trunc_f32_e32 v9, v9
	v_mac_f32_e32 v8, 0xcf800000, v9
	v_cvt_u32_f32_e32 v9, v9
	v_cvt_u32_f32_e32 v8, v8
	v_readfirstlane_b32 s26, v9
	v_readfirstlane_b32 s6, v8
	s_mul_i32 s7, s9, s26
	s_mul_hi_u32 s28, s9, s6
	s_mul_i32 s27, s25, s6
	s_add_i32 s7, s28, s7
	s_mul_i32 s29, s9, s6
	s_add_i32 s7, s7, s27
	s_mul_i32 s28, s6, s7
	s_mul_hi_u32 s30, s6, s29
	s_mul_hi_u32 s27, s6, s7
	s_add_u32 s28, s30, s28
	s_addc_u32 s27, 0, s27
	s_mul_hi_u32 s31, s26, s29
	s_mul_i32 s29, s26, s29
	s_add_u32 s28, s28, s29
	s_mul_hi_u32 s30, s26, s7
	s_addc_u32 s27, s27, s31
	s_addc_u32 s28, s30, 0
	s_mul_i32 s7, s26, s7
	s_add_u32 s7, s27, s7
	s_addc_u32 s27, 0, s28
	s_add_u32 s28, s6, s7
	s_cselect_b64 s[6:7], -1, 0
	s_cmp_lg_u64 s[6:7], 0
	s_addc_u32 s26, s26, s27
	s_mul_i32 s6, s9, s26
	s_mul_hi_u32 s7, s9, s28
	s_add_i32 s6, s7, s6
	s_mul_i32 s25, s25, s28
	s_add_i32 s6, s6, s25
	s_mul_i32 s9, s9, s28
	s_mul_hi_u32 s25, s26, s9
	s_mul_i32 s27, s26, s9
	s_mul_i32 s30, s28, s6
	s_mul_hi_u32 s9, s28, s9
	s_mul_hi_u32 s29, s28, s6
	s_add_u32 s9, s9, s30
	s_addc_u32 s29, 0, s29
	s_add_u32 s9, s9, s27
	s_mul_hi_u32 s7, s26, s6
	s_addc_u32 s9, s29, s25
	s_addc_u32 s7, s7, 0
	s_mul_i32 s6, s26, s6
	s_add_u32 s6, s9, s6
	s_addc_u32 s9, 0, s7
	s_add_u32 s25, s28, s6
	s_cselect_b64 s[6:7], -1, 0
	s_cmp_lg_u64 s[6:7], 0
	s_addc_u32 s9, s26, s9
	s_ashr_i32 s6, s5, 31
	s_add_u32 s26, s8, s6
	s_mov_b32 s7, s6
	s_addc_u32 s27, s5, s6
	s_xor_b64 s[26:27], s[26:27], s[6:7]
	s_mul_i32 s28, s26, s9
	s_mul_hi_u32 s29, s26, s25
	s_mul_hi_u32 s5, s26, s9
	s_add_u32 s28, s29, s28
	s_addc_u32 s5, 0, s5
	s_mul_hi_u32 s30, s27, s25
	s_mul_i32 s25, s27, s25
	s_add_u32 s25, s28, s25
	s_mul_hi_u32 s29, s27, s9
	s_addc_u32 s5, s5, s30
	s_addc_u32 s25, s29, 0
	s_mul_i32 s9, s27, s9
	s_add_u32 s5, s5, s9
	s_addc_u32 s9, 0, s25
	s_mul_i32 s25, s0, s9
	s_mul_hi_u32 s28, s0, s5
	s_add_i32 s25, s28, s25
	s_mul_i32 s28, s1, s5
	s_add_i32 s25, s25, s28
	s_sub_i32 s30, s27, s25
	s_mul_i32 s28, s0, s5
	s_sub_u32 s26, s26, s28
	s_cselect_b64 s[28:29], -1, 0
	s_cmp_lg_u64 s[28:29], 0
	s_subb_u32 s33, s30, s1
	s_sub_u32 s34, s26, s0
	s_cselect_b64 s[30:31], -1, 0
	s_cmp_lg_u64 s[30:31], 0
	s_subb_u32 s30, s33, 0
	s_cmp_ge_u32 s30, s1
	s_cselect_b32 s31, -1, 0
	s_cmp_ge_u32 s34, s0
	s_cselect_b32 s33, -1, 0
	s_cmp_eq_u32 s30, s1
	s_cselect_b32 s30, s33, s31
	s_add_u32 s31, s5, 1
	s_addc_u32 s33, s9, 0
	s_add_u32 s34, s5, 2
	s_addc_u32 s35, s9, 0
	s_cmp_lg_u32 s30, 0
	s_cselect_b32 s30, s34, s31
	s_cselect_b32 s31, s35, s33
	s_cmp_lg_u64 s[28:29], 0
	s_subb_u32 s25, s27, s25
	s_cmp_ge_u32 s25, s1
	s_cselect_b32 s27, -1, 0
	s_cmp_ge_u32 s26, s0
	s_cselect_b32 s0, -1, 0
	s_cmp_eq_u32 s25, s1
	s_cselect_b32 s0, s0, s27
	s_cmp_lg_u32 s0, 0
	s_cselect_b32 s1, s31, s9
	s_cselect_b32 s0, s30, s5
	s_xor_b64 s[6:7], s[6:7], 0
	s_xor_b64 s[0:1], s[0:1], s[6:7]
	s_sub_u32 s6, s0, s6
	s_cbranch_execnz .LBB19_11
.LBB19_10:
	s_sub_i32 s0, 0, s22
	v_readfirstlane_b32 s1, v4
	s_mul_i32 s0, s0, s1
	s_mul_hi_u32 s0, s1, s0
	s_add_i32 s1, s1, s0
	s_mul_hi_u32 s0, s8, s1
	s_mul_i32 s5, s0, s22
	s_sub_i32 s5, s8, s5
	s_add_i32 s1, s0, 1
	s_sub_i32 s6, s5, s22
	s_cmp_ge_u32 s5, s22
	s_cselect_b32 s0, s1, s0
	s_cselect_b32 s5, s6, s5
	s_add_i32 s1, s0, 1
	s_cmp_ge_u32 s5, s22
	s_cselect_b32 s6, s1, s0
.LBB19_11:
	s_cmp_lg_u32 s10, s6
	s_mov_b64 s[8:9], -1
                                        ; implicit-def: $sgpr0_sgpr1
                                        ; implicit-def: $vgpr10
                                        ; implicit-def: $vgpr8
                                        ; implicit-def: $vgpr9
                                        ; implicit-def: $sgpr5
                                        ; implicit-def: $sgpr7
	s_cbranch_scc1 .LBB19_14
; %bb.12:
	s_andn2_b64 vcc, exec, s[8:9]
	s_cbranch_vccz .LBB19_17
.LBB19_13:
	s_andn2_b64 vcc, exec, s[0:1]
	s_cbranch_vccnz .LBB19_18
	s_branch .LBB19_22
.LBB19_14:
	s_add_i32 s0, s24, s22
	s_lshl_b32 s0, s0, 4
	s_add_i32 s0, s0, s15
	s_mov_b32 s1, s4
	s_lshl_b64 s[0:1], s[0:1], 3
	s_add_u32 s8, s18, s0
	s_mul_hi_u32 s0, s6, s12
	s_addc_u32 s9, s19, s1
	s_add_i32 s0, s0, s6
	s_lshr_b32 s5, s0, s13
	s_mul_i32 s0, s5, s14
	s_cmp_eq_u32 s0, s6
	s_cselect_b64 s[0:1], -1, 0
	s_cmp_lt_u32 s5, s11
	s_cselect_b64 s[26:27], -1, 0
	s_or_b64 s[26:27], s[26:27], s[0:1]
	s_mov_b64 s[0:1], -1
	s_and_b64 vcc, exec, s[26:27]
	s_mov_b32 s5, s24
	s_mov_b32 s7, s10
	s_cbranch_vccnz .LBB19_16
; %bb.15:
	s_add_i32 s5, s24, -1
	s_mov_b64 s[0:1], 0
	s_mov_b32 s7, s6
.LBB19_16:
	v_lshl_add_u32 v8, s24, 12, v0
	v_ashrrev_i32_e32 v9, 31, v8
	v_lshlrev_b64 v[8:9], 2, v[8:9]
	v_mov_b32_e32 v10, s21
	v_add_co_u32_e32 v8, vcc, s20, v8
	v_addc_co_u32_e32 v9, vcc, v10, v9, vcc
	global_load_dword v10, v[8:9], off
	s_load_dwordx2 s[8:9], s[8:9], 0x0
	v_max_f32_e32 v8, v7, v7
	s_waitcnt lgkmcnt(0)
	v_max_f32_e64 v9, s8, s8
	v_max_f32_e32 v8, v8, v9
	v_sub_f32_e32 v9, v7, v8
	v_sub_f32_e32 v11, s8, v8
	v_mul_f32_e32 v12, 0x3fb8aa3b, v9
	v_mul_f32_e32 v13, 0x3fb8aa3b, v11
	v_fma_f32 v14, v9, s2, -v12
	v_rndne_f32_e32 v15, v12
	v_fma_f32 v16, v11, s2, -v13
	v_rndne_f32_e32 v17, v13
	v_fmac_f32_e32 v14, 0x32a5705f, v9
	v_sub_f32_e32 v12, v12, v15
	v_fmac_f32_e32 v16, 0x32a5705f, v11
	v_sub_f32_e32 v13, v13, v17
	v_add_f32_e32 v12, v12, v14
	v_cvt_i32_f32_e32 v15, v15
	v_add_f32_e32 v13, v13, v16
	v_exp_f32_e32 v12, v12
	v_cvt_i32_f32_e32 v17, v17
	v_exp_f32_e32 v13, v13
	v_cmp_ngt_f32_e32 vcc, s16, v9
	v_ldexp_f32 v12, v12, v15
	v_cndmask_b32_e32 v12, 0, v12, vcc
	v_ldexp_f32 v13, v13, v17
	v_cmp_ngt_f32_e32 vcc, s16, v11
	v_cndmask_b32_e32 v13, 0, v13, vcc
	v_cmp_nlt_f32_e32 vcc, s17, v9
	v_cndmask_b32_e32 v12, v5, v12, vcc
	v_cmp_nlt_f32_e32 vcc, s17, v11
	v_cndmask_b32_e32 v13, v5, v13, vcc
	v_cmp_le_f32_e32 vcc, s23, v9
	v_cndmask_b32_e32 v12, 0, v12, vcc
	v_cmp_le_f32_e32 vcc, s23, v11
	v_cndmask_b32_e32 v11, 0, v13, vcc
	v_mul_f32_e32 v9, s9, v11
	v_fmac_f32_e32 v9, v6, v12
	s_waitcnt vmcnt(0)
	v_mul_f32_e32 v10, v10, v11
	v_fmac_f32_e32 v10, v3, v12
	s_cbranch_execnz .LBB19_13
.LBB19_17:
	s_add_i32 s5, s24, -1
	s_mov_b32 s7, s10
	v_mov_b32_e32 v9, v6
	v_mov_b32_e32 v8, v7
	s_waitcnt vmcnt(0)
	v_mov_b32_e32 v10, v3
	s_cbranch_execz .LBB19_22
.LBB19_18:
	s_mov_b32 s10, s7
	s_mov_b32 s24, s5
	v_mov_b32_e32 v6, v9
	v_mov_b32_e32 v7, v8
	s_waitcnt vmcnt(0)
	v_mov_b32_e32 v3, v10
	s_mul_hi_i32 s5, s24, s3
	s_cmp_lg_u64 s[4:5], 0
	s_mul_i32 s8, s24, s3
	s_cbranch_scc1 .LBB19_9
.LBB19_19:
                                        ; implicit-def: $sgpr6_sgpr7
	s_branch .LBB19_10
.LBB19_20:
                                        ; implicit-def: $sgpr10_sgpr11
	s_load_dwordx4 s[12:15], s[4:5], 0x44
	s_branch .LBB19_2
.LBB19_21:
                                        ; implicit-def: $sgpr18_sgpr19
	s_branch .LBB19_5
.LBB19_22:
	v_div_scale_f32 v0, s[0:1], v9, v9, v10
	s_waitcnt vmcnt(0)
	v_div_scale_f32 v3, vcc, v10, v9, v10
	v_rcp_f32_e32 v4, v0
	v_fma_f32 v5, -v0, v4, 1.0
	v_fmac_f32_e32 v4, v5, v4
	v_mul_f32_e32 v5, v3, v4
	v_fma_f32 v6, -v0, v5, v3
	v_fmac_f32_e32 v5, v6, v4
	v_fma_f32 v0, -v0, v5, v3
	v_div_fmas_f32 v0, v0, v4, v5
	v_div_fixup_f32 v0, v0, v9, v10
	global_store_dword v[1:2], v0, off
.LBB19_23:
	s_endpgm
	.section	.rodata,"a",@progbits
	.p2align	6, 0x0
	.amdhsa_kernel _ZL33flash_attn_stream_k_fixup_generalILi256ELi4ELi4EEvPfPK15HIP_vector_typeIfLj2EEiiiiS1_IjLj3EES5_S5_S5_
		.amdhsa_group_segment_fixed_size 0
		.amdhsa_private_segment_fixed_size 0
		.amdhsa_kernarg_size 336
		.amdhsa_user_sgpr_count 6
		.amdhsa_user_sgpr_private_segment_buffer 1
		.amdhsa_user_sgpr_dispatch_ptr 0
		.amdhsa_user_sgpr_queue_ptr 0
		.amdhsa_user_sgpr_kernarg_segment_ptr 1
		.amdhsa_user_sgpr_dispatch_id 0
		.amdhsa_user_sgpr_flat_scratch_init 0
		.amdhsa_user_sgpr_private_segment_size 0
		.amdhsa_uses_dynamic_stack 0
		.amdhsa_system_sgpr_private_segment_wavefront_offset 0
		.amdhsa_system_sgpr_workgroup_id_x 1
		.amdhsa_system_sgpr_workgroup_id_y 1
		.amdhsa_system_sgpr_workgroup_id_z 1
		.amdhsa_system_sgpr_workgroup_info 0
		.amdhsa_system_vgpr_workitem_id 0
		.amdhsa_next_free_vgpr 18
		.amdhsa_next_free_sgpr 36
		.amdhsa_reserve_vcc 1
		.amdhsa_reserve_flat_scratch 0
		.amdhsa_float_round_mode_32 0
		.amdhsa_float_round_mode_16_64 0
		.amdhsa_float_denorm_mode_32 3
		.amdhsa_float_denorm_mode_16_64 3
		.amdhsa_dx10_clamp 1
		.amdhsa_ieee_mode 1
		.amdhsa_fp16_overflow 0
		.amdhsa_exception_fp_ieee_invalid_op 0
		.amdhsa_exception_fp_denorm_src 0
		.amdhsa_exception_fp_ieee_div_zero 0
		.amdhsa_exception_fp_ieee_overflow 0
		.amdhsa_exception_fp_ieee_underflow 0
		.amdhsa_exception_fp_ieee_inexact 0
		.amdhsa_exception_int_div_zero 0
	.end_amdhsa_kernel
	.section	.text._ZL33flash_attn_stream_k_fixup_generalILi256ELi4ELi4EEvPfPK15HIP_vector_typeIfLj2EEiiiiS1_IjLj3EES5_S5_S5_,"axG",@progbits,_ZL33flash_attn_stream_k_fixup_generalILi256ELi4ELi4EEvPfPK15HIP_vector_typeIfLj2EEiiiiS1_IjLj3EES5_S5_S5_,comdat
.Lfunc_end19:
	.size	_ZL33flash_attn_stream_k_fixup_generalILi256ELi4ELi4EEvPfPK15HIP_vector_typeIfLj2EEiiiiS1_IjLj3EES5_S5_S5_, .Lfunc_end19-_ZL33flash_attn_stream_k_fixup_generalILi256ELi4ELi4EEvPfPK15HIP_vector_typeIfLj2EEiiiiS1_IjLj3EES5_S5_S5_
                                        ; -- End function
	.set _ZL33flash_attn_stream_k_fixup_generalILi256ELi4ELi4EEvPfPK15HIP_vector_typeIfLj2EEiiiiS1_IjLj3EES5_S5_S5_.num_vgpr, 18
	.set _ZL33flash_attn_stream_k_fixup_generalILi256ELi4ELi4EEvPfPK15HIP_vector_typeIfLj2EEiiiiS1_IjLj3EES5_S5_S5_.num_agpr, 0
	.set _ZL33flash_attn_stream_k_fixup_generalILi256ELi4ELi4EEvPfPK15HIP_vector_typeIfLj2EEiiiiS1_IjLj3EES5_S5_S5_.numbered_sgpr, 36
	.set _ZL33flash_attn_stream_k_fixup_generalILi256ELi4ELi4EEvPfPK15HIP_vector_typeIfLj2EEiiiiS1_IjLj3EES5_S5_S5_.num_named_barrier, 0
	.set _ZL33flash_attn_stream_k_fixup_generalILi256ELi4ELi4EEvPfPK15HIP_vector_typeIfLj2EEiiiiS1_IjLj3EES5_S5_S5_.private_seg_size, 0
	.set _ZL33flash_attn_stream_k_fixup_generalILi256ELi4ELi4EEvPfPK15HIP_vector_typeIfLj2EEiiiiS1_IjLj3EES5_S5_S5_.uses_vcc, 1
	.set _ZL33flash_attn_stream_k_fixup_generalILi256ELi4ELi4EEvPfPK15HIP_vector_typeIfLj2EEiiiiS1_IjLj3EES5_S5_S5_.uses_flat_scratch, 0
	.set _ZL33flash_attn_stream_k_fixup_generalILi256ELi4ELi4EEvPfPK15HIP_vector_typeIfLj2EEiiiiS1_IjLj3EES5_S5_S5_.has_dyn_sized_stack, 0
	.set _ZL33flash_attn_stream_k_fixup_generalILi256ELi4ELi4EEvPfPK15HIP_vector_typeIfLj2EEiiiiS1_IjLj3EES5_S5_S5_.has_recursion, 0
	.set _ZL33flash_attn_stream_k_fixup_generalILi256ELi4ELi4EEvPfPK15HIP_vector_typeIfLj2EEiiiiS1_IjLj3EES5_S5_S5_.has_indirect_call, 0
	.section	.AMDGPU.csdata,"",@progbits
; Kernel info:
; codeLenInByte = 2940
; TotalNumSgprs: 40
; NumVgprs: 18
; ScratchSize: 0
; MemoryBound: 0
; FloatMode: 240
; IeeeMode: 1
; LDSByteSize: 0 bytes/workgroup (compile time only)
; SGPRBlocks: 4
; VGPRBlocks: 4
; NumSGPRsForWavesPerEU: 40
; NumVGPRsForWavesPerEU: 18
; Occupancy: 10
; WaveLimiterHint : 0
; COMPUTE_PGM_RSRC2:SCRATCH_EN: 0
; COMPUTE_PGM_RSRC2:USER_SGPR: 6
; COMPUTE_PGM_RSRC2:TRAP_HANDLER: 0
; COMPUTE_PGM_RSRC2:TGID_X_EN: 1
; COMPUTE_PGM_RSRC2:TGID_Y_EN: 1
; COMPUTE_PGM_RSRC2:TGID_Z_EN: 1
; COMPUTE_PGM_RSRC2:TIDIG_COMP_CNT: 0
	.section	.text._ZL15flash_attn_tileILi256ELi256ELi2ELi4ELb0EEvPKcS1_S1_S1_S1_PKiPfP15HIP_vector_typeIfLj2EEffffjfiS5_IjLj3EEiiiiiiiiiiiliiliiiiil,"axG",@progbits,_ZL15flash_attn_tileILi256ELi256ELi2ELi4ELb0EEvPKcS1_S1_S1_S1_PKiPfP15HIP_vector_typeIfLj2EEffffjfiS5_IjLj3EEiiiiiiiiiiiliiliiiiil,comdat
	.globl	_ZL15flash_attn_tileILi256ELi256ELi2ELi4ELb0EEvPKcS1_S1_S1_S1_PKiPfP15HIP_vector_typeIfLj2EEffffjfiS5_IjLj3EEiiiiiiiiiiiliiliiiiil ; -- Begin function _ZL15flash_attn_tileILi256ELi256ELi2ELi4ELb0EEvPKcS1_S1_S1_S1_PKiPfP15HIP_vector_typeIfLj2EEffffjfiS5_IjLj3EEiiiiiiiiiiiliiliiiiil
	.p2align	8
	.type	_ZL15flash_attn_tileILi256ELi256ELi2ELi4ELb0EEvPKcS1_S1_S1_S1_PKiPfP15HIP_vector_typeIfLj2EEffffjfiS5_IjLj3EEiiiiiiiiiiiliiliiiiil,@function
_ZL15flash_attn_tileILi256ELi256ELi2ELi4ELb0EEvPKcS1_S1_S1_S1_PKiPfP15HIP_vector_typeIfLj2EEffffjfiS5_IjLj3EEiiiiiiiiiiiliiliiiiil: ; @_ZL15flash_attn_tileILi256ELi256ELi2ELi4ELb0EEvPKcS1_S1_S1_S1_PKiPfP15HIP_vector_typeIfLj2EEffffjfiS5_IjLj3EEiiiiiiiiiiiliiliiiiil
; %bb.0:
	s_load_dwordx4 s[24:27], s[4:5], 0x5c
	s_load_dwordx2 s[28:29], s[4:5], 0x80
	s_load_dwordx2 s[34:35], s[4:5], 0xb8
	s_mov_b64 s[30:31], 0
	s_waitcnt lgkmcnt(0)
	s_ashr_i32 s0, s27, 31
	s_lshr_b32 s0, s0, 30
	s_add_i32 s0, s27, s0
	s_ashr_i32 s0, s0, 2
	v_cvt_f32_u32_e32 v2, s0
	s_sub_i32 s1, 0, s0
	v_rcp_iflag_f32_e32 v2, v2
	v_mul_f32_e32 v2, 0x4f7ffffe, v2
	v_cvt_u32_f32_e32 v2, v2
	v_readfirstlane_b32 s2, v2
	s_mul_i32 s1, s1, s2
	s_mul_hi_u32 s1, s2, s1
	s_add_i32 s2, s2, s1
	s_mul_hi_u32 s1, s8, s2
	s_mul_i32 s2, s1, s0
	s_sub_i32 s2, s8, s2
	s_add_i32 s3, s1, 1
	s_sub_i32 s9, s2, s0
	s_cmp_ge_u32 s2, s0
	s_cselect_b32 s1, s3, s1
	s_cselect_b32 s2, s9, s2
	s_add_i32 s3, s1, 1
	s_cmp_ge_u32 s2, s0
	s_cselect_b32 s33, s3, s1
	s_abs_i32 s0, s29
	v_cvt_f32_u32_e32 v2, s0
	s_lshl_b32 s1, s8, 2
	s_mul_i32 s8, s33, s27
	s_xor_b32 s2, s27, s29
	v_rcp_iflag_f32_e32 v2, v2
	s_sub_i32 s9, 0, s0
	s_sub_i32 s29, s1, s8
	s_abs_i32 s3, s27
	v_mul_f32_e32 v2, 0x4f7ffffe, v2
	v_cvt_u32_f32_e32 v2, v2
	s_ashr_i32 s2, s2, 31
	v_readfirstlane_b32 s1, v2
	s_mul_i32 s9, s9, s1
	s_mul_hi_u32 s8, s1, s9
	s_add_i32 s1, s1, s8
	s_mul_hi_u32 s1, s3, s1
	s_mul_i32 s8, s1, s0
	s_sub_i32 s3, s3, s8
	s_add_i32 s9, s1, 1
	s_sub_i32 s8, s3, s0
	s_cmp_ge_u32 s3, s0
	s_cselect_b32 s1, s9, s1
	s_cselect_b32 s3, s8, s3
	s_add_i32 s8, s1, 1
	s_cmp_ge_u32 s3, s0
	s_cselect_b32 s0, s8, s1
	s_xor_b32 s0, s0, s2
	s_sub_i32 s37, s0, s2
	s_abs_i32 s36, s37
	v_cvt_f32_u32_e32 v2, s36
	s_load_dwordx16 s[8:23], s[4:5], 0x0
	v_rcp_iflag_f32_e32 v2, v2
	s_waitcnt lgkmcnt(0)
	s_cmp_eq_u64 s[14:15], 0
	v_mul_f32_e32 v2, 0x4f7ffffe, v2
	v_cvt_u32_f32_e32 v2, v2
	v_readfirstlane_b32 s38, v2
	s_cbranch_scc1 .LBB20_2
; %bb.1:
	s_abs_i32 s2, s34
	v_cvt_f32_u32_e32 v2, s2
	s_sub_i32 s31, 0, s2
	s_abs_i32 s30, s33
	s_ashr_i32 s3, s33, 31
	v_rcp_iflag_f32_e32 v2, v2
	s_load_dwordx2 s[0:1], s[4:5], 0xc8
	v_mul_f32_e32 v2, 0x4f7ffffe, v2
	v_cvt_u32_f32_e32 v2, v2
	v_readfirstlane_b32 s34, v2
	s_mul_i32 s31, s31, s34
	s_mul_hi_u32 s31, s34, s31
	s_add_i32 s34, s34, s31
	s_mul_hi_u32 s31, s30, s34
	s_mul_i32 s31, s31, s2
	s_sub_i32 s30, s30, s31
	s_sub_i32 s31, s30, s2
	s_cmp_ge_u32 s30, s2
	s_cselect_b32 s30, s31, s30
	s_sub_i32 s31, s30, s2
	s_cmp_ge_u32 s30, s2
	s_cselect_b32 s2, s31, s30
	s_xor_b32 s2, s2, s3
	s_sub_i32 s2, s2, s3
	s_ashr_i32 s3, s2, 31
	s_waitcnt lgkmcnt(0)
	s_mul_hi_u32 s30, s0, s2
	s_mul_i32 s3, s0, s3
	s_mul_i32 s1, s1, s2
	s_add_i32 s3, s30, s3
	s_add_i32 s3, s3, s1
	s_mul_i32 s0, s0, s2
	s_add_u32 s30, s14, s0
	s_addc_u32 s31, s15, s3
.LBB20_2:
	s_load_dwordx4 s[0:3], s[4:5], 0x70
	v_lshrrev_b32_e32 v2, 2, v1
	v_lshl_add_u32 v45, s6, 1, v2
	v_mul_hi_u32 v2, s24, v45
	v_and_b32_e32 v44, 3, v1
	s_waitcnt lgkmcnt(0)
	s_mul_i32 s2, s33, s2
	s_ashr_i32 s14, s2, 31
	s_mul_i32 s3, s29, s1
	s_add_u32 s2, s8, s2
	v_add_u32_e32 v2, v45, v2
	s_addc_u32 s8, s9, s14
	s_ashr_i32 s9, s3, 31
	v_lshrrev_b32_e32 v2, s25, v2
	s_add_u32 s14, s2, s3
	v_mul_lo_u32 v2, v2, s26
	s_addc_u32 s15, s8, s9
	s_ashr_i32 s3, s1, 31
	s_mov_b32 s2, s1
	s_lshr_b64 s[8:9], s[2:3], 2
	v_mad_u64_u32 v[3:4], s[8:9], s8, v44, 0
	s_ashr_i32 s1, s0, 31
	v_sub_u32_e32 v2, v45, v2
	s_lshr_b64 s[8:9], s[0:1], 2
	v_mad_u64_u32 v[5:6], s[8:9], s8, v2, 0
	s_lshr_b32 s0, s3, 2
	v_lshlrev_b32_e32 v47, 3, v0
	v_mad_u64_u32 v[7:8], s[2:3], s0, v44, v[4:5]
	v_mov_b32_e32 v4, v6
	s_lshr_b32 s0, s1, 2
	v_mad_u64_u32 v[8:9], s[0:1], s0, v2, v[4:5]
	v_mov_b32_e32 v4, v7
	v_lshlrev_b64 v[3:4], 2, v[3:4]
	v_mov_b32_e32 v6, v8
	v_mov_b32_e32 v7, s15
	v_add_co_u32_e32 v8, vcc, s14, v3
	v_addc_co_u32_e32 v7, vcc, v7, v4, vcc
	v_lshlrev_b64 v[3:4], 2, v[5:6]
	v_lshlrev_b32_e32 v5, 4, v0
	v_add_co_u32_e32 v3, vcc, v8, v3
	v_addc_co_u32_e32 v4, vcc, v7, v4, vcc
	v_add_co_u32_e32 v12, vcc, v3, v5
	v_addc_co_u32_e32 v13, vcc, 0, v4, vcc
	global_load_dwordx4 v[4:7], v[12:13], off
	global_load_dwordx4 v[8:11], v[12:13], off offset:512
	s_load_dword s0, s[4:5], 0x40
	v_lshlrev_b32_e32 v3, 9, v1
	v_add_u32_e32 v48, 0x4400, v3
	v_add_u32_e32 v12, v48, v47
	s_cmp_eq_u64 s[18:19], 0
	s_waitcnt vmcnt(1) lgkmcnt(0)
	v_fma_mixlo_f16 v4, s0, v4, 0
	v_fma_mixlo_f16 v5, s0, v5, 0
	;; [unrolled: 1-line block ×4, first 2 shown]
	s_waitcnt vmcnt(0)
	v_fma_mixlo_f16 v8, s0, v8, 0
	v_fma_mixlo_f16 v9, s0, v9, 0
	;; [unrolled: 1-line block ×4, first 2 shown]
	v_lshlrev_b32_e32 v5, 16, v5
	v_and_b32_e32 v4, 0xffff, v4
	v_lshlrev_b32_e32 v7, 16, v7
	v_and_b32_e32 v6, 0xffff, v6
	;; [unrolled: 2-line block ×4, first 2 shown]
	v_or_b32_e32 v4, v5, v4
	v_or3_b32 v5, v7, v6, 0
	v_or_b32_e32 v6, v9, v8
	v_or3_b32 v7, v11, v10, 0
	v_or3_b32 v4, 0, 0, v4
	;; [unrolled: 1-line block ×3, first 2 shown]
	ds_write2_b64 v12, v[4:5], v[6:7] offset1:32
	s_waitcnt lgkmcnt(0)
	s_barrier
	s_cbranch_scc1 .LBB20_4
; %bb.3:
	s_load_dword s0, s[4:5], 0xd0
	s_mov_b32 s1, 0
	s_waitcnt lgkmcnt(0)
	s_mul_i32 s0, s0, s33
	s_add_i32 s0, s0, s6
	s_lshl_b64 s[0:1], s[0:1], 2
	s_add_u32 s0, s18, s0
	s_addc_u32 s1, s19, s1
	s_load_dword s28, s[0:1], 0x0
.LBB20_4:
	s_lshl_b32 s6, s7, 6
	v_lshlrev_b32_e32 v17, 2, v0
	s_waitcnt lgkmcnt(0)
	s_cmp_lt_i32 s6, s28
	v_mbcnt_lo_u32_b32 v4, -1, 0
	s_cbranch_scc1 .LBB20_7
; %bb.5:
	v_mbcnt_hi_u32_b32 v49, -1, v4
	v_and_b32_e32 v5, 0x60, v49
	v_add_u32_e32 v50, 32, v5
	v_xor_b32_e32 v55, 16, v49
	v_xor_b32_e32 v54, 8, v49
	;; [unrolled: 1-line block ×5, first 2 shown]
	s_cbranch_execz .LBB20_8
; %bb.6:
	v_mov_b32_e32 v80, 0
	v_mov_b32_e32 v31, 0
	;; [unrolled: 1-line block ×6, first 2 shown]
	s_branch .LBB20_11
.LBB20_7:
                                        ; implicit-def: $vgpr49
                                        ; implicit-def: $vgpr50
                                        ; implicit-def: $vgpr55
                                        ; implicit-def: $vgpr54
                                        ; implicit-def: $vgpr53
                                        ; implicit-def: $vgpr52
                                        ; implicit-def: $vgpr51
.LBB20_8:
	s_sub_i32 s0, 0, s36
	s_mul_i32 s0, s0, s38
	s_mul_hi_u32 s0, s38, s0
	s_add_i32 s38, s38, s0
	s_load_dwordx2 s[8:9], s[4:5], 0x8c
	s_load_dwordx4 s[0:3], s[4:5], 0x98
	s_abs_i32 s18, s29
	s_mul_hi_u32 s19, s18, s38
	s_ashr_i32 s34, s29, 31
	s_waitcnt lgkmcnt(0)
	s_ashr_i32 s15, s8, 2
	s_ashr_i32 s8, s33, 31
	;; [unrolled: 1-line block ×4, first 2 shown]
	s_mul_hi_u32 s35, s0, s33
	s_mul_i32 s38, s0, s8
	s_add_i32 s35, s35, s38
	s_mul_i32 s1, s1, s33
	s_ashr_i32 s37, s37, 31
	s_add_i32 s35, s35, s1
	s_mul_i32 s0, s0, s33
	s_add_u32 s0, s10, s0
	s_addc_u32 s1, s11, s35
	s_mul_i32 s11, s19, s36
	s_sub_i32 s11, s18, s11
	s_xor_b32 s10, s34, s37
	s_add_i32 s18, s19, 1
	s_sub_i32 s34, s11, s36
	s_cmp_ge_u32 s11, s36
	s_cselect_b32 s18, s18, s19
	s_cselect_b32 s11, s34, s11
	s_add_i32 s19, s18, 1
	s_cmp_ge_u32 s11, s36
	s_cselect_b32 s11, s19, s18
	s_load_dwordx2 s[24:25], s[4:5], 0xa8
	s_xor_b32 s11, s11, s10
	s_sub_i32 s10, s11, s10
	s_mul_i32 s9, s10, s9
	s_ashr_i32 s11, s9, 31
	s_add_u32 s18, s0, s9
	s_addc_u32 s19, s1, s11
	s_waitcnt lgkmcnt(0)
	s_mul_hi_u32 s0, s24, s33
	s_mul_i32 s1, s24, s8
	s_add_i32 s0, s0, s1
	s_mul_i32 s1, s25, s33
	s_add_i32 s0, s0, s1
	s_mul_i32 s1, s24, s33
	v_lshrrev_b32_e32 v5, 4, v0
	s_add_u32 s1, s12, s1
	s_mul_i32 s10, s10, s3
	v_lshl_add_u32 v6, v1, 1, v5
	s_addc_u32 s0, s13, s0
	s_ashr_i32 s3, s10, 31
	v_mul_lo_u32 v5, s15, v6
	s_add_u32 s12, s1, s10
	v_and_b32_e32 v16, 60, v17
	s_addc_u32 s13, s0, s3
	v_lshlrev_b32_e32 v7, 2, v16
	s_movk_i32 s0, 0x110
	v_mad_u32_u24 v56, v6, s0, v7
	s_lshl_b32 s0, s15, 4
	v_add_u32_e32 v7, s0, v5
	v_add_u32_e32 v9, s0, v7
	;; [unrolled: 1-line block ×3, first 2 shown]
	v_mad_u64_u32 v[13:14], s[0:1], v2, s2, v[0:1]
	v_mov_b32_e32 v2, 0x5400
	v_lshl_add_u32 v61, v1, 7, v2
	v_mul_lo_u32 v2, s14, v1
	s_lshl_b32 s0, s14, 3
	v_lshlrev_b32_e32 v63, 2, v17
	v_ashrrev_i32_e32 v6, 31, v5
	v_add_u32_e32 v24, s0, v2
	v_add_u32_e32 v26, s0, v24
	;; [unrolled: 1-line block ×3, first 2 shown]
	v_ashrrev_i32_e32 v8, 31, v7
	v_ashrrev_i32_e32 v10, 31, v9
	;; [unrolled: 1-line block ×3, first 2 shown]
	v_add_u32_e32 v64, v3, v63
	v_ashrrev_i32_e32 v3, 31, v2
	v_lshl_add_u32 v1, v1, 9, v63
	v_ashrrev_i32_e32 v25, 31, v24
	v_ashrrev_i32_e32 v27, 31, v26
	;; [unrolled: 1-line block ×3, first 2 shown]
	v_mbcnt_hi_u32_b32 v49, -1, v4
	v_add_u32_e32 v65, 0x1000, v1
	v_add_u32_e32 v66, 0x2000, v1
	;; [unrolled: 1-line block ×3, first 2 shown]
	s_add_u32 s10, s4, 0xd0
	v_lshlrev_b64 v[14:15], 2, v[5:6]
	v_lshlrev_b32_e32 v68, 2, v16
	v_lshlrev_b64 v[16:17], 2, v[7:8]
	v_lshlrev_b64 v[18:19], 2, v[9:10]
	;; [unrolled: 1-line block ×3, first 2 shown]
	v_and_b32_e32 v1, 0x60, v49
	v_lshlrev_b64 v[22:23], 2, v[2:3]
	v_lshlrev_b64 v[24:25], 2, v[24:25]
	;; [unrolled: 1-line block ×4, first 2 shown]
	v_mov_b32_e32 v78, 0
	v_add_u32_e32 v57, 0x1100, v56
	v_add_u32_e32 v58, 0x2200, v56
	;; [unrolled: 1-line block ×3, first 2 shown]
	v_mul_u32_u24_e32 v60, 0x110, v0
	v_lshl_add_u32 v62, v0, 1, v61
	s_addc_u32 s11, s5, 0
	v_mov_b32_e32 v30, 0xfeffffff
	v_add_u32_e32 v50, 32, v1
	v_xor_b32_e32 v55, 16, v49
	v_xor_b32_e32 v54, 8, v49
	;; [unrolled: 1-line block ×5, first 2 shown]
	v_mov_b32_e32 v69, s31
	s_mov_b32 s24, 0x3fb8aa3b
	s_mov_b32 s25, 0xc2ce8ed0
	;; [unrolled: 1-line block ×3, first 2 shown]
	v_mov_b32_e32 v70, 0x7f800000
	s_mov_b32 s34, 0x10001
	v_add_u32_e32 v71, 0x800, v47
	v_add_u32_e32 v72, 0x1000, v47
	;; [unrolled: 1-line block ×7, first 2 shown]
	v_mov_b32_e32 v79, 0
	v_mov_b32_e32 v81, 0
	;; [unrolled: 1-line block ×4, first 2 shown]
.LBB20_9:                               ; =>This Inner Loop Header: Depth=1
	v_cmp_lt_i32_e32 vcc, v55, v50
	v_cndmask_b32_e32 v3, v49, v55, vcc
	v_cmp_lt_i32_e32 vcc, v54, v50
	s_mul_hi_i32 s1, s6, s15
	s_mul_i32 s0, s6, s15
	v_add_u32_e32 v1, s6, v13
	v_cndmask_b32_e32 v4, v49, v54, vcc
	v_cmp_lt_i32_e32 vcc, v53, v50
	v_cndmask_b32_e32 v5, v49, v53, vcc
	v_cmp_lt_i32_e32 vcc, v52, v50
	s_lshl_b64 s[0:1], s[0:1], 2
	v_ashrrev_i32_e32 v2, 31, v1
	v_cndmask_b32_e32 v6, v49, v52, vcc
	v_cmp_lt_i32_e32 vcc, v51, v50
	s_add_u32 s38, s18, s0
	v_lshlrev_b64 v[1:2], 1, v[1:2]
	v_cndmask_b32_e32 v7, v49, v51, vcc
	s_addc_u32 s8, s19, s1
	v_lshlrev_b32_e32 v89, 2, v4
	v_lshlrev_b32_e32 v88, 2, v5
	;; [unrolled: 1-line block ×3, first 2 shown]
	v_mov_b32_e32 v4, s8
	v_mov_b32_e32 v5, s8
	;; [unrolled: 1-line block ×4, first 2 shown]
	v_add_co_u32_e64 v1, s[8:9], s30, v1
	v_addc_co_u32_e64 v2, s[8:9], v69, v2, s[8:9]
	s_mul_hi_i32 s3, s6, s14
	s_mul_i32 s2, s6, s14
	v_lshlrev_b32_e32 v90, 2, v3
	v_lshlrev_b32_e32 v87, 2, v6
	v_add_co_u32_e32 v6, vcc, s38, v16
	v_add_co_u32_e64 v3, s[8:9], s38, v14
	s_lshl_b64 s[36:37], s[2:3], 2
	v_add_co_u32_e64 v8, s[0:1], s38, v18
	v_add_co_u32_e64 v10, s[2:3], s38, v20
	v_addc_co_u32_e64 v4, s[8:9], v4, v15, s[8:9]
	v_addc_co_u32_e32 v5, vcc, v5, v17, vcc
	v_add_co_u32_e32 v11, vcc, v6, v68
	v_addc_co_u32_e64 v6, s[0:1], v7, v19, s[0:1]
	v_addc_co_u32_e64 v7, s[2:3], v9, v21, s[2:3]
	v_add_co_u32_e64 v42, s[8:9], v3, v68
	v_mov_b32_e32 v82, v30
	v_add_co_u32_e64 v30, s[0:1], v8, v68
	v_add_co_u32_e64 v32, s[2:3], v10, v68
	v_addc_co_u32_e64 v43, s[8:9], 0, v4, s[8:9]
	v_mov_b32_e32 v85, v31
	v_addc_co_u32_e32 v12, vcc, 0, v5, vcc
	v_addc_co_u32_e64 v31, vcc, 0, v6, s[0:1]
	v_addc_co_u32_e64 v33, vcc, 0, v7, s[2:3]
	global_load_dwordx4 v[91:94], v[42:43], off
	global_load_dwordx4 v[95:98], v[11:12], off
	;; [unrolled: 1-line block ×4, first 2 shown]
	v_mov_b32_e32 v83, 0
	v_mov_b32_e32 v84, 0
	s_add_u32 s35, s12, s36
	s_addc_u32 s36, s13, s37
	v_mov_b32_e32 v3, s36
	v_add_co_u32_e32 v4, vcc, s35, v22
	v_mov_b32_e32 v5, s36
	v_add_co_u32_e64 v6, s[0:1], s35, v24
	v_mov_b32_e32 v7, s36
	v_add_co_u32_e64 v8, s[2:3], s35, v26
	;; [unrolled: 2-line block ×3, first 2 shown]
	v_addc_co_u32_e32 v3, vcc, v3, v23, vcc
	v_addc_co_u32_e64 v5, vcc, v5, v25, s[0:1]
	v_add_co_u32_e32 v34, vcc, v6, v63
	v_addc_co_u32_e64 v6, s[0:1], v7, v27, s[2:3]
	s_waitcnt vmcnt(3)
	ds_write_b128 v56, v[91:94]
	s_waitcnt vmcnt(2)
	ds_write_b128 v57, v[95:98]
	;; [unrolled: 2-line block ×4, first 2 shown]
	s_waitcnt lgkmcnt(0)
	s_barrier
	ds_read_b128 v[91:94], v60
	ds_read_b128 v[95:98], v48
	ds_read_b128 v[99:102], v60 offset:8704
	s_waitcnt lgkmcnt(1)
	;;#ASMSTART
	v_dot2_f32_f16 v83, v91, v95, v83
	;;#ASMEND
	;;#ASMSTART
	v_dot2_f32_f16 v83, v92, v96, v83
	;;#ASMEND
	;;#ASMSTART
	v_dot2_f32_f16 v83, v93, v97, v83
	;;#ASMEND
	;;#ASMSTART
	v_dot2_f32_f16 v83, v94, v98, v83
	;;#ASMEND
	s_waitcnt lgkmcnt(0)
	;;#ASMSTART
	v_dot2_f32_f16 v84, v99, v95, v84
	;;#ASMEND
	;;#ASMSTART
	v_dot2_f32_f16 v84, v100, v96, v84
	;;#ASMEND
	;;#ASMSTART
	v_dot2_f32_f16 v84, v101, v97, v84
	;;#ASMEND
	;;#ASMSTART
	v_dot2_f32_f16 v84, v102, v98, v84
	;;#ASMEND
	ds_read_b128 v[91:94], v60 offset:16
	ds_read_b128 v[95:98], v48 offset:16
	ds_read_b128 v[99:102], v60 offset:8720
	s_waitcnt lgkmcnt(1)
	;;#ASMSTART
	v_dot2_f32_f16 v83, v91, v95, v83
	;;#ASMEND
	;;#ASMSTART
	v_dot2_f32_f16 v83, v92, v96, v83
	;;#ASMEND
	;;#ASMSTART
	v_dot2_f32_f16 v83, v93, v97, v83
	;;#ASMEND
	;;#ASMSTART
	v_dot2_f32_f16 v83, v94, v98, v83
	;;#ASMEND
	s_waitcnt lgkmcnt(0)
	;;#ASMSTART
	v_dot2_f32_f16 v84, v99, v95, v84
	;;#ASMEND
	;;#ASMSTART
	v_dot2_f32_f16 v84, v100, v96, v84
	;;#ASMEND
	;;#ASMSTART
	v_dot2_f32_f16 v84, v101, v97, v84
	;;#ASMEND
	;;#ASMSTART
	v_dot2_f32_f16 v84, v102, v98, v84
	;;#ASMEND
	ds_read_b128 v[91:94], v60 offset:32
	ds_read_b128 v[95:98], v48 offset:32
	;; [unrolled: 29-line block ×15, first 2 shown]
	ds_read_b128 v[99:102], v60 offset:8944
	s_waitcnt lgkmcnt(1)
	;;#ASMSTART
	v_dot2_f32_f16 v83, v91, v95, v83
	;;#ASMEND
	;;#ASMSTART
	v_dot2_f32_f16 v83, v92, v96, v83
	;;#ASMEND
	;; [unrolled: 3-line block ×4, first 2 shown]
	s_waitcnt lgkmcnt(0)
	;;#ASMSTART
	v_dot2_f32_f16 v84, v99, v95, v84
	;;#ASMEND
	;;#ASMSTART
	v_dot2_f32_f16 v84, v100, v96, v84
	;;#ASMEND
	;; [unrolled: 3-line block ×4, first 2 shown]
	s_barrier
	global_load_dwordx4 v[91:94], v[42:43], off offset:256
	global_load_dwordx4 v[95:98], v[11:12], off offset:256
	;; [unrolled: 1-line block ×3, first 2 shown]
	s_nop 0
	global_load_dwordx4 v[30:33], v[32:33], off offset:256
	s_waitcnt vmcnt(3)
	ds_write_b128 v56, v[91:94]
	s_waitcnt vmcnt(2)
	ds_write_b128 v57, v[95:98]
	;; [unrolled: 2-line block ×4, first 2 shown]
	s_waitcnt lgkmcnt(0)
	s_barrier
	ds_read_b128 v[30:33], v60
	ds_read_b128 v[91:94], v48 offset:256
	ds_read_b128 v[95:98], v60 offset:8704
	s_waitcnt lgkmcnt(1)
	;;#ASMSTART
	v_dot2_f32_f16 v83, v30, v91, v83
	;;#ASMEND
	;;#ASMSTART
	v_dot2_f32_f16 v83, v31, v92, v83
	;;#ASMEND
	;;#ASMSTART
	v_dot2_f32_f16 v83, v32, v93, v83
	;;#ASMEND
	;;#ASMSTART
	v_dot2_f32_f16 v83, v33, v94, v83
	;;#ASMEND
	s_waitcnt lgkmcnt(0)
	;;#ASMSTART
	v_dot2_f32_f16 v84, v95, v91, v84
	;;#ASMEND
	;;#ASMSTART
	v_dot2_f32_f16 v84, v96, v92, v84
	;;#ASMEND
	;;#ASMSTART
	v_dot2_f32_f16 v84, v97, v93, v84
	;;#ASMEND
	;;#ASMSTART
	v_dot2_f32_f16 v84, v98, v94, v84
	;;#ASMEND
	ds_read_b128 v[30:33], v60 offset:16
	ds_read_b128 v[91:94], v48 offset:272
	ds_read_b128 v[95:98], v60 offset:8720
	s_waitcnt lgkmcnt(1)
	;;#ASMSTART
	v_dot2_f32_f16 v83, v30, v91, v83
	;;#ASMEND
	;;#ASMSTART
	v_dot2_f32_f16 v83, v31, v92, v83
	;;#ASMEND
	;;#ASMSTART
	v_dot2_f32_f16 v83, v32, v93, v83
	;;#ASMEND
	;;#ASMSTART
	v_dot2_f32_f16 v83, v33, v94, v83
	;;#ASMEND
	s_waitcnt lgkmcnt(0)
	;;#ASMSTART
	v_dot2_f32_f16 v84, v95, v91, v84
	;;#ASMEND
	;;#ASMSTART
	v_dot2_f32_f16 v84, v96, v92, v84
	;;#ASMEND
	;;#ASMSTART
	v_dot2_f32_f16 v84, v97, v93, v84
	;;#ASMEND
	;;#ASMSTART
	v_dot2_f32_f16 v84, v98, v94, v84
	;;#ASMEND
	ds_read_b128 v[30:33], v60 offset:32
	;; [unrolled: 29-line block ×15, first 2 shown]
	ds_read_b128 v[91:94], v48 offset:496
	ds_read_b128 v[95:98], v60 offset:8944
	s_waitcnt lgkmcnt(1)
	;;#ASMSTART
	v_dot2_f32_f16 v83, v30, v91, v83
	;;#ASMEND
	;;#ASMSTART
	v_dot2_f32_f16 v83, v31, v92, v83
	;;#ASMEND
	;;#ASMSTART
	v_dot2_f32_f16 v83, v32, v93, v83
	;;#ASMEND
	;;#ASMSTART
	v_dot2_f32_f16 v83, v33, v94, v83
	;;#ASMEND
	s_waitcnt lgkmcnt(0)
	;;#ASMSTART
	v_dot2_f32_f16 v84, v95, v91, v84
	;;#ASMEND
	;;#ASMSTART
	v_dot2_f32_f16 v84, v96, v92, v84
	;;#ASMEND
	;; [unrolled: 3-line block ×4, first 2 shown]
	global_load_ushort v11, v[1:2], off
	s_nop 0
	global_load_ushort v1, v[1:2], off offset:64
	v_addc_co_u32_e64 v7, s[2:3], v9, v29, s[8:9]
	v_add_co_u32_e64 v36, s[0:1], v8, v63
	v_add_co_u32_e64 v38, s[2:3], v10, v63
	;; [unrolled: 1-line block ×3, first 2 shown]
	v_addc_co_u32_e64 v41, s[8:9], 0, v3, s[8:9]
	v_addc_co_u32_e32 v35, vcc, 0, v5, vcc
	v_addc_co_u32_e64 v37, vcc, 0, v6, s[0:1]
	v_addc_co_u32_e64 v39, vcc, 0, v7, s[2:3]
	s_waitcnt vmcnt(0)
	s_barrier
	global_load_dwordx4 v[40:43], v[40:41], off
	s_nop 0
	global_load_dwordx4 v[32:35], v[34:35], off
	s_nop 0
	;; [unrolled: 2-line block ×3, first 2 shown]
	global_load_dwordx4 v[36:39], v[38:39], off
	s_or_b32 s38, s6, 32
	s_mul_hi_i32 s37, s38, s14
	s_mul_i32 s36, s38, s14
	s_lshl_b64 s[36:37], s[36:37], 2
	s_add_u32 s8, s12, s36
	s_addc_u32 s2, s13, s37
	v_mov_b32_e32 v3, s2
	v_mov_b32_e32 v4, s2
	v_add_co_u32_e32 v5, vcc, s8, v24
	v_mov_b32_e32 v6, s2
	v_add_co_u32_e64 v7, s[0:1], s8, v26
	v_mov_b32_e32 v8, s2
	v_add_co_u32_e64 v9, s[2:3], s8, v28
	v_add_co_u32_e64 v10, s[8:9], s8, v22
	v_addc_co_u32_e32 v4, vcc, v4, v25, vcc
	v_addc_co_u32_e64 v108, s[0:1], v6, v27, s[0:1]
	v_addc_co_u32_e64 v109, s[2:3], v8, v29, s[2:3]
	;; [unrolled: 1-line block ×3, first 2 shown]
	v_add_co_u32_e32 v5, vcc, v5, v63
	v_add_co_u32_e64 v7, s[0:1], v7, v63
	v_add_co_u32_e64 v3, s[2:3], v9, v63
	v_addc_co_u32_e32 v6, vcc, 0, v4, vcc
	v_addc_co_u32_e64 v8, vcc, 0, v108, s[0:1]
	v_addc_co_u32_e64 v4, vcc, 0, v109, s[2:3]
	v_add_co_u32_e64 v9, s[8:9], v10, v63
	v_addc_co_u32_e64 v10, s[8:9], 0, v107, s[8:9]
	v_cvt_f32_f16_e32 v2, v11
	v_cvt_f32_f16_e32 v1, v1
	v_add_f32_e32 v2, v83, v2
	v_add_f32_e32 v1, v84, v1
	;; [unrolled: 1-line block ×4, first 2 shown]
	v_max3_f32 v11, v82, v11, v12
	ds_bpermute_b32 v12, v90, v11
	s_waitcnt lgkmcnt(0)
	v_max_f32_e32 v12, v12, v12
	v_max_f32_e32 v11, v11, v12
	ds_bpermute_b32 v12, v89, v11
	s_waitcnt lgkmcnt(0)
	v_max_f32_e32 v12, v12, v12
	v_max_f32_e32 v11, v11, v12
	;; [unrolled: 4-line block ×5, first 2 shown]
	v_sub_f32_e32 v11, v82, v30
	v_sub_f32_e32 v2, v2, v30
	v_sub_f32_e32 v1, v1, v30
	v_mul_f32_e32 v12, 0x3fb8aa3b, v2
	v_mul_f32_e32 v31, 0x3fb8aa3b, v1
	;; [unrolled: 1-line block ×3, first 2 shown]
	v_fma_f32 v83, v2, s24, -v12
	v_rndne_f32_e32 v84, v12
	v_fma_f32 v86, v1, s24, -v31
	v_rndne_f32_e32 v87, v31
	;; [unrolled: 2-line block ×3, first 2 shown]
	v_fmac_f32_e32 v83, 0x32a5705f, v2
	v_sub_f32_e32 v12, v12, v84
	v_fmac_f32_e32 v86, 0x32a5705f, v1
	v_sub_f32_e32 v31, v31, v87
	v_fmac_f32_e32 v88, 0x32a5705f, v11
	v_sub_f32_e32 v82, v82, v89
	v_add_f32_e32 v12, v12, v83
	v_add_f32_e32 v31, v31, v86
	;; [unrolled: 1-line block ×3, first 2 shown]
	v_cvt_i32_f32_e32 v84, v84
	v_cvt_i32_f32_e32 v87, v87
	;; [unrolled: 1-line block ×3, first 2 shown]
	v_exp_f32_e32 v12, v12
	v_exp_f32_e32 v31, v31
	;; [unrolled: 1-line block ×3, first 2 shown]
	v_cmp_ngt_f32_e32 vcc, s25, v1
	v_ldexp_f32 v12, v12, v84
	v_ldexp_f32 v31, v31, v87
	;; [unrolled: 1-line block ×3, first 2 shown]
	v_cmp_ngt_f32_e64 s[0:1], s25, v11
	v_cmp_ngt_f32_e64 s[2:3], s25, v2
	v_cndmask_b32_e64 v12, 0, v12, s[2:3]
	v_cndmask_b32_e32 v31, 0, v31, vcc
	v_cmp_nlt_f32_e32 vcc, s31, v1
	v_cndmask_b32_e64 v1, 0, v82, s[0:1]
	v_cmp_nlt_f32_e64 s[0:1], s31, v11
	v_cmp_nlt_f32_e64 s[2:3], s31, v2
	v_cndmask_b32_e64 v2, v70, v12, s[2:3]
	v_cndmask_b32_e32 v11, v70, v31, vcc
	v_cndmask_b32_e64 v1, v70, v1, s[0:1]
	v_cvt_f16_f32_e32 v12, v2
	v_add_f32_e32 v31, v2, v11
	v_cvt_f16_f32_e32 v2, v1
	v_cvt_f16_f32_e32 v11, v11
	v_fmac_f32_e32 v31, v85, v1
	ds_write_b16 v62, v12
	ds_write_b16 v62, v11 offset:64
	s_waitcnt vmcnt(3)
	ds_write_b128 v64, v[40:43]
	s_waitcnt vmcnt(2)
	ds_write_b128 v65, v[32:35]
	;; [unrolled: 2-line block ×4, first 2 shown]
	v_mul_u32_u24_e32 v1, 0x10001, v2
	s_waitcnt lgkmcnt(0)
	s_barrier
	ds_read2_b64 v[32:35], v47 offset1:32
	ds_read_b128 v[36:39], v61
	ds_read_b128 v[40:43], v61 offset:16
	ds_read_b128 v[82:85], v61 offset:32
	ds_read_b128 v[86:89], v61 offset:48
	ds_read2_b64 v[90:93], v47 offset0:64 offset1:96
	ds_read2_b64 v[94:97], v47 offset0:128 offset1:160
	;; [unrolled: 1-line block ×3, first 2 shown]
	ds_read2_b64 v[102:105], v71 offset1:32
	ds_read2_b64 v[106:109], v71 offset0:64 offset1:96
	ds_read2_b64 v[110:113], v71 offset0:128 offset1:160
	;; [unrolled: 1-line block ×3, first 2 shown]
	ds_read2_b64 v[118:121], v72 offset1:32
	ds_read2_b64 v[122:125], v72 offset0:64 offset1:96
	s_waitcnt lgkmcnt(12)
	v_mul_u32_u24_sdwa v12, v36, s34 dst_sel:DWORD dst_unused:UNUSED_PAD src0_sel:WORD_0 src1_sel:DWORD
	v_pk_mul_f16 v2, v79, v1
	v_pk_mul_f16 v11, v78, v1
	;; [unrolled: 1-line block ×4, first 2 shown]
	v_pk_fma_f16 v2, v34, v12, v2
	v_pk_fma_f16 v11, v35, v12, v11
	v_mul_u32_u24_sdwa v12, v36, s34 dst_sel:DWORD dst_unused:UNUSED_PAD src0_sel:WORD_1 src1_sel:DWORD
	v_pk_fma_f16 v36, v80, v1, v78
	v_pk_fma_f16 v1, v81, v1, v79
	s_waitcnt lgkmcnt(8)
	v_pk_fma_f16 v2, v92, v12, v2
	v_pk_fma_f16 v11, v93, v12, v11
	;; [unrolled: 1-line block ×4, first 2 shown]
	v_mul_u32_u24_sdwa v12, v37, s34 dst_sel:DWORD dst_unused:UNUSED_PAD src0_sel:WORD_0 src1_sel:DWORD
	s_waitcnt lgkmcnt(7)
	v_pk_fma_f16 v2, v96, v12, v2
	v_pk_fma_f16 v11, v97, v12, v11
	;; [unrolled: 1-line block ×4, first 2 shown]
	v_mul_u32_u24_sdwa v12, v37, s34 dst_sel:DWORD dst_unused:UNUSED_PAD src0_sel:WORD_1 src1_sel:DWORD
	s_waitcnt lgkmcnt(6)
	v_pk_fma_f16 v2, v100, v12, v2
	v_pk_fma_f16 v11, v101, v12, v11
	;; [unrolled: 1-line block ×4, first 2 shown]
	v_mul_u32_u24_sdwa v12, v38, s34 dst_sel:DWORD dst_unused:UNUSED_PAD src0_sel:WORD_0 src1_sel:DWORD
	s_waitcnt lgkmcnt(5)
	v_pk_fma_f16 v2, v104, v12, v2
	v_pk_fma_f16 v11, v105, v12, v11
	;; [unrolled: 1-line block ×4, first 2 shown]
	v_mul_u32_u24_sdwa v12, v38, s34 dst_sel:DWORD dst_unused:UNUSED_PAD src0_sel:WORD_1 src1_sel:DWORD
	ds_read2_b64 v[32:35], v72 offset0:128 offset1:160
	s_waitcnt lgkmcnt(5)
	v_pk_fma_f16 v2, v108, v12, v2
	v_pk_fma_f16 v11, v109, v12, v11
	;; [unrolled: 1-line block ×4, first 2 shown]
	v_mul_u32_u24_sdwa v12, v39, s34 dst_sel:DWORD dst_unused:UNUSED_PAD src0_sel:WORD_0 src1_sel:DWORD
	ds_read2_b64 v[78:81], v72 offset0:192 offset1:224
	s_waitcnt lgkmcnt(5)
	v_pk_fma_f16 v2, v112, v12, v2
	v_pk_fma_f16 v11, v113, v12, v11
	;; [unrolled: 1-line block ×4, first 2 shown]
	v_mul_u32_u24_sdwa v12, v39, s34 dst_sel:DWORD dst_unused:UNUSED_PAD src0_sel:WORD_1 src1_sel:DWORD
	ds_read2_b64 v[90:93], v73 offset1:32
	s_waitcnt lgkmcnt(5)
	v_pk_fma_f16 v2, v116, v12, v2
	v_pk_fma_f16 v11, v117, v12, v11
	;; [unrolled: 1-line block ×4, first 2 shown]
	v_mul_u32_u24_sdwa v12, v40, s34 dst_sel:DWORD dst_unused:UNUSED_PAD src0_sel:WORD_0 src1_sel:DWORD
	ds_read2_b64 v[94:97], v73 offset0:64 offset1:96
	s_waitcnt lgkmcnt(5)
	v_pk_fma_f16 v2, v120, v12, v2
	v_pk_fma_f16 v11, v121, v12, v11
	;; [unrolled: 1-line block ×4, first 2 shown]
	v_mul_u32_u24_sdwa v12, v40, s34 dst_sel:DWORD dst_unused:UNUSED_PAD src0_sel:WORD_1 src1_sel:DWORD
	ds_read2_b64 v[98:101], v73 offset0:128 offset1:160
	s_waitcnt lgkmcnt(5)
	v_pk_fma_f16 v2, v124, v12, v2
	v_pk_fma_f16 v11, v125, v12, v11
	;; [unrolled: 1-line block ×4, first 2 shown]
	v_mul_u32_u24_sdwa v12, v41, s34 dst_sel:DWORD dst_unused:UNUSED_PAD src0_sel:WORD_0 src1_sel:DWORD
	ds_read2_b64 v[102:105], v73 offset0:192 offset1:224
	s_waitcnt lgkmcnt(5)
	v_pk_fma_f16 v2, v34, v12, v2
	v_pk_fma_f16 v11, v35, v12, v11
	;; [unrolled: 1-line block ×4, first 2 shown]
	v_mul_u32_u24_sdwa v12, v41, s34 dst_sel:DWORD dst_unused:UNUSED_PAD src0_sel:WORD_1 src1_sel:DWORD
	s_waitcnt lgkmcnt(4)
	v_pk_fma_f16 v2, v80, v12, v2
	v_pk_fma_f16 v11, v81, v12, v11
	;; [unrolled: 1-line block ×4, first 2 shown]
	v_mul_u32_u24_sdwa v12, v42, s34 dst_sel:DWORD dst_unused:UNUSED_PAD src0_sel:WORD_0 src1_sel:DWORD
	ds_read2_b64 v[106:109], v74 offset1:32
	ds_read2_b64 v[110:113], v74 offset0:64 offset1:96
	s_waitcnt lgkmcnt(5)
	v_pk_fma_f16 v2, v92, v12, v2
	v_pk_fma_f16 v11, v93, v12, v11
	;; [unrolled: 1-line block ×4, first 2 shown]
	v_mul_u32_u24_sdwa v12, v42, s34 dst_sel:DWORD dst_unused:UNUSED_PAD src0_sel:WORD_1 src1_sel:DWORD
	ds_read2_b64 v[36:39], v74 offset0:128 offset1:160
	s_waitcnt lgkmcnt(5)
	v_pk_fma_f16 v2, v96, v12, v2
	v_pk_fma_f16 v11, v97, v12, v11
	;; [unrolled: 1-line block ×4, first 2 shown]
	v_mul_u32_u24_sdwa v12, v43, s34 dst_sel:DWORD dst_unused:UNUSED_PAD src0_sel:WORD_0 src1_sel:DWORD
	ds_read2_b64 v[114:117], v74 offset0:192 offset1:224
	s_waitcnt lgkmcnt(5)
	v_pk_fma_f16 v2, v100, v12, v2
	v_pk_fma_f16 v11, v101, v12, v11
	;; [unrolled: 1-line block ×4, first 2 shown]
	v_mul_u32_u24_sdwa v12, v43, s34 dst_sel:DWORD dst_unused:UNUSED_PAD src0_sel:WORD_1 src1_sel:DWORD
	ds_read2_b64 v[118:121], v75 offset1:32
	s_waitcnt lgkmcnt(5)
	v_pk_fma_f16 v2, v104, v12, v2
	v_pk_fma_f16 v11, v105, v12, v11
	;; [unrolled: 1-line block ×4, first 2 shown]
	v_mul_u32_u24_sdwa v12, v82, s34 dst_sel:DWORD dst_unused:UNUSED_PAD src0_sel:WORD_0 src1_sel:DWORD
	s_waitcnt lgkmcnt(4)
	v_pk_fma_f16 v2, v108, v12, v2
	v_pk_fma_f16 v11, v109, v12, v11
	;; [unrolled: 1-line block ×4, first 2 shown]
	v_mul_u32_u24_sdwa v12, v82, s34 dst_sel:DWORD dst_unused:UNUSED_PAD src0_sel:WORD_1 src1_sel:DWORD
	s_waitcnt lgkmcnt(3)
	v_pk_fma_f16 v2, v112, v12, v2
	v_pk_fma_f16 v11, v113, v12, v11
	;; [unrolled: 1-line block ×4, first 2 shown]
	v_mul_u32_u24_sdwa v12, v83, s34 dst_sel:DWORD dst_unused:UNUSED_PAD src0_sel:WORD_0 src1_sel:DWORD
	ds_read2_b64 v[32:35], v75 offset0:64 offset1:96
	s_waitcnt lgkmcnt(3)
	v_pk_fma_f16 v2, v38, v12, v2
	v_pk_fma_f16 v11, v39, v12, v11
	;; [unrolled: 1-line block ×4, first 2 shown]
	v_mul_u32_u24_sdwa v12, v83, s34 dst_sel:DWORD dst_unused:UNUSED_PAD src0_sel:WORD_1 src1_sel:DWORD
	s_waitcnt lgkmcnt(2)
	v_pk_fma_f16 v2, v116, v12, v2
	v_pk_fma_f16 v83, v117, v12, v11
	;; [unrolled: 1-line block ×4, first 2 shown]
	v_mul_u32_u24_sdwa v114, v84, s34 dst_sel:DWORD dst_unused:UNUSED_PAD src0_sel:WORD_0 src1_sel:DWORD
	ds_read2_b64 v[78:81], v75 offset0:128 offset1:160
	ds_read2_b64 v[90:93], v75 offset0:192 offset1:224
	ds_read2_b64 v[94:97], v76 offset1:32
	ds_read2_b64 v[98:101], v76 offset0:64 offset1:96
	ds_read2_b64 v[122:125], v76 offset0:128 offset1:160
	;; [unrolled: 1-line block ×3, first 2 shown]
	ds_read2_b64 v[102:105], v77 offset1:32
	ds_read2_b64 v[106:109], v77 offset0:64 offset1:96
	ds_read2_b64 v[36:39], v77 offset0:128 offset1:160
	;; [unrolled: 1-line block ×3, first 2 shown]
	s_waitcnt lgkmcnt(0)
	s_barrier
	global_load_dwordx4 v[9:12], v[9:10], off
	v_pk_fma_f16 v2, v120, v114, v2
	v_pk_fma_f16 v83, v121, v114, v83
	;; [unrolled: 1-line block ×4, first 2 shown]
	global_load_dwordx4 v[114:117], v[5:6], off
	s_nop 0
	global_load_dwordx4 v[5:8], v[7:8], off
	v_mul_u32_u24_sdwa v84, v84, s34 dst_sel:DWORD dst_unused:UNUSED_PAD src0_sel:WORD_1 src1_sel:DWORD
	v_pk_fma_f16 v34, v34, v84, v2
	v_pk_fma_f16 v33, v33, v84, v1
	global_load_dwordx4 v[1:4], v[3:4], off
	v_mul_u32_u24_sdwa v118, v85, s34 dst_sel:DWORD dst_unused:UNUSED_PAD src0_sel:WORD_0 src1_sel:DWORD
	v_pk_fma_f16 v35, v35, v84, v83
	v_pk_fma_f16 v32, v32, v84, v82
	v_mul_u32_u24_sdwa v85, v85, s34 dst_sel:DWORD dst_unused:UNUSED_PAD src0_sel:WORD_1 src1_sel:DWORD
	v_pk_fma_f16 v34, v80, v118, v34
	v_pk_fma_f16 v35, v81, v118, v35
	v_pk_fma_f16 v32, v78, v118, v32
	v_pk_fma_f16 v33, v79, v118, v33
	v_mul_u32_u24_sdwa v119, v86, s34 dst_sel:DWORD dst_unused:UNUSED_PAD src0_sel:WORD_0 src1_sel:DWORD
	v_pk_fma_f16 v34, v92, v85, v34
	v_pk_fma_f16 v35, v93, v85, v35
	v_pk_fma_f16 v32, v90, v85, v32
	v_pk_fma_f16 v33, v91, v85, v33
	v_mul_u32_u24_sdwa v86, v86, s34 dst_sel:DWORD dst_unused:UNUSED_PAD src0_sel:WORD_1 src1_sel:DWORD
	v_pk_fma_f16 v34, v96, v119, v34
	v_pk_fma_f16 v35, v97, v119, v35
	v_pk_fma_f16 v32, v94, v119, v32
	v_pk_fma_f16 v33, v95, v119, v33
	v_mul_u32_u24_sdwa v120, v87, s34 dst_sel:DWORD dst_unused:UNUSED_PAD src0_sel:WORD_0 src1_sel:DWORD
	v_pk_fma_f16 v34, v100, v86, v34
	v_pk_fma_f16 v35, v101, v86, v35
	;; [unrolled: 10-line block ×4, first 2 shown]
	v_pk_fma_f16 v32, v106, v84, v32
	v_pk_fma_f16 v33, v107, v84, v33
	v_mul_u32_u24_sdwa v88, v89, s34 dst_sel:DWORD dst_unused:UNUSED_PAD src0_sel:WORD_1 src1_sel:DWORD
	v_pk_fma_f16 v34, v38, v87, v34
	v_pk_fma_f16 v35, v39, v87, v35
	;; [unrolled: 1-line block ×8, first 2 shown]
	s_waitcnt vmcnt(3)
	ds_write_b128 v64, v[9:12]
	s_waitcnt vmcnt(2)
	ds_write_b128 v65, v[114:117]
	;; [unrolled: 2-line block ×4, first 2 shown]
	s_waitcnt lgkmcnt(0)
	s_barrier
	ds_read2_b64 v[32:35], v47 offset1:32
	ds_read_b128 v[36:39], v61 offset:64
	ds_read_b128 v[9:12], v61 offset:80
	;; [unrolled: 1-line block ×4, first 2 shown]
	ds_read2_b64 v[40:43], v47 offset0:64 offset1:96
	ds_read2_b64 v[78:81], v47 offset0:128 offset1:160
	;; [unrolled: 1-line block ×3, first 2 shown]
	ds_read2_b64 v[86:89], v71 offset1:32
	ds_read2_b64 v[90:93], v71 offset0:64 offset1:96
	ds_read2_b64 v[94:97], v71 offset0:128 offset1:160
	;; [unrolled: 1-line block ×3, first 2 shown]
	ds_read2_b64 v[102:105], v72 offset1:32
	ds_read2_b64 v[106:109], v72 offset0:64 offset1:96
	ds_read2_b64 v[110:113], v72 offset0:128 offset1:160
	;; [unrolled: 1-line block ×3, first 2 shown]
	s_waitcnt lgkmcnt(14)
	v_mul_u32_u24_sdwa v122, v36, s34 dst_sel:DWORD dst_unused:UNUSED_PAD src0_sel:WORD_0 src1_sel:DWORD
	v_pk_fma_f16 v120, v32, v122, v120
	v_pk_fma_f16 v121, v33, v122, v121
	v_pk_fma_f16 v118, v34, v122, v118
	v_pk_fma_f16 v119, v35, v122, v119
	v_mul_u32_u24_sdwa v36, v36, s34 dst_sel:DWORD dst_unused:UNUSED_PAD src0_sel:WORD_1 src1_sel:DWORD
	s_waitcnt lgkmcnt(10)
	v_pk_fma_f16 v120, v40, v36, v120
	v_pk_fma_f16 v121, v41, v36, v121
	v_pk_fma_f16 v118, v42, v36, v118
	v_pk_fma_f16 v36, v43, v36, v119
	v_mul_u32_u24_sdwa v119, v37, s34 dst_sel:DWORD dst_unused:UNUSED_PAD src0_sel:WORD_0 src1_sel:DWORD
	s_waitcnt lgkmcnt(9)
	v_pk_fma_f16 v120, v78, v119, v120
	v_pk_fma_f16 v121, v79, v119, v121
	v_pk_fma_f16 v118, v80, v119, v118
	v_pk_fma_f16 v36, v81, v119, v36
	v_mul_u32_u24_sdwa v37, v37, s34 dst_sel:DWORD dst_unused:UNUSED_PAD src0_sel:WORD_1 src1_sel:DWORD
	s_waitcnt lgkmcnt(8)
	v_pk_fma_f16 v119, v82, v37, v120
	v_pk_fma_f16 v120, v83, v37, v121
	v_pk_fma_f16 v118, v84, v37, v118
	v_pk_fma_f16 v36, v85, v37, v36
	v_mul_u32_u24_sdwa v37, v38, s34 dst_sel:DWORD dst_unused:UNUSED_PAD src0_sel:WORD_0 src1_sel:DWORD
	s_waitcnt lgkmcnt(7)
	v_pk_fma_f16 v119, v86, v37, v119
	v_pk_fma_f16 v120, v87, v37, v120
	v_pk_fma_f16 v118, v88, v37, v118
	v_pk_fma_f16 v36, v89, v37, v36
	v_mul_u32_u24_sdwa v37, v38, s34 dst_sel:DWORD dst_unused:UNUSED_PAD src0_sel:WORD_1 src1_sel:DWORD
	s_waitcnt lgkmcnt(6)
	v_pk_fma_f16 v38, v90, v37, v119
	v_pk_fma_f16 v119, v91, v37, v120
	v_pk_fma_f16 v118, v92, v37, v118
	v_pk_fma_f16 v36, v93, v37, v36
	v_mul_u32_u24_sdwa v37, v39, s34 dst_sel:DWORD dst_unused:UNUSED_PAD src0_sel:WORD_0 src1_sel:DWORD
	s_waitcnt lgkmcnt(5)
	v_pk_fma_f16 v38, v94, v37, v38
	v_pk_fma_f16 v122, v95, v37, v119
	v_pk_fma_f16 v123, v96, v37, v118
	v_pk_fma_f16 v36, v97, v37, v36
	v_mul_u32_u24_sdwa v37, v39, s34 dst_sel:DWORD dst_unused:UNUSED_PAD src0_sel:WORD_1 src1_sel:DWORD
	ds_read2_b64 v[32:35], v73 offset1:32
	s_waitcnt lgkmcnt(5)
	v_pk_fma_f16 v98, v98, v37, v38
	v_pk_fma_f16 v99, v99, v37, v122
	;; [unrolled: 1-line block ×4, first 2 shown]
	v_mul_u32_u24_sdwa v122, v9, s34 dst_sel:DWORD dst_unused:UNUSED_PAD src0_sel:WORD_0 src1_sel:DWORD
	ds_read2_b64 v[40:43], v73 offset0:64 offset1:96
	s_waitcnt lgkmcnt(5)
	v_pk_fma_f16 v102, v102, v122, v98
	v_pk_fma_f16 v103, v103, v122, v99
	;; [unrolled: 1-line block ×4, first 2 shown]
	v_mul_u32_u24_sdwa v9, v9, s34 dst_sel:DWORD dst_unused:UNUSED_PAD src0_sel:WORD_1 src1_sel:DWORD
	ds_read2_b64 v[78:81], v73 offset0:128 offset1:160
	s_waitcnt lgkmcnt(5)
	v_pk_fma_f16 v106, v106, v9, v102
	v_pk_fma_f16 v107, v107, v9, v103
	;; [unrolled: 1-line block ×4, first 2 shown]
	v_mul_u32_u24_sdwa v109, v10, s34 dst_sel:DWORD dst_unused:UNUSED_PAD src0_sel:WORD_0 src1_sel:DWORD
	ds_read2_b64 v[82:85], v73 offset0:192 offset1:224
	s_waitcnt lgkmcnt(5)
	v_pk_fma_f16 v110, v110, v109, v106
	v_pk_fma_f16 v111, v111, v109, v107
	;; [unrolled: 1-line block ×4, first 2 shown]
	v_mul_u32_u24_sdwa v10, v10, s34 dst_sel:DWORD dst_unused:UNUSED_PAD src0_sel:WORD_1 src1_sel:DWORD
	ds_read2_b64 v[86:89], v74 offset1:32
	s_waitcnt lgkmcnt(5)
	v_pk_fma_f16 v114, v114, v10, v110
	v_pk_fma_f16 v115, v115, v10, v111
	;; [unrolled: 1-line block ×4, first 2 shown]
	v_mul_u32_u24_sdwa v10, v11, s34 dst_sel:DWORD dst_unused:UNUSED_PAD src0_sel:WORD_0 src1_sel:DWORD
	ds_read2_b64 v[90:93], v74 offset0:64 offset1:96
	s_waitcnt lgkmcnt(5)
	v_pk_fma_f16 v114, v32, v10, v114
	v_pk_fma_f16 v115, v33, v10, v115
	;; [unrolled: 1-line block ×4, first 2 shown]
	v_mul_u32_u24_sdwa v10, v11, s34 dst_sel:DWORD dst_unused:UNUSED_PAD src0_sel:WORD_1 src1_sel:DWORD
	s_waitcnt lgkmcnt(4)
	v_pk_fma_f16 v11, v40, v10, v114
	v_pk_fma_f16 v114, v41, v10, v115
	;; [unrolled: 1-line block ×4, first 2 shown]
	v_mul_u32_u24_sdwa v10, v12, s34 dst_sel:DWORD dst_unused:UNUSED_PAD src0_sel:WORD_0 src1_sel:DWORD
	ds_read2_b64 v[94:97], v74 offset0:128 offset1:160
	ds_read2_b64 v[118:121], v74 offset0:192 offset1:224
	s_waitcnt lgkmcnt(5)
	v_pk_fma_f16 v11, v78, v10, v11
	v_pk_fma_f16 v122, v79, v10, v114
	;; [unrolled: 1-line block ×4, first 2 shown]
	v_mul_u32_u24_sdwa v10, v12, s34 dst_sel:DWORD dst_unused:UNUSED_PAD src0_sel:WORD_1 src1_sel:DWORD
	ds_read2_b64 v[36:39], v75 offset1:32
	v_mul_u32_u24_sdwa v12, v5, s34 dst_sel:DWORD dst_unused:UNUSED_PAD src0_sel:WORD_0 src1_sel:DWORD
	s_waitcnt lgkmcnt(5)
	v_pk_fma_f16 v11, v82, v10, v11
	v_pk_fma_f16 v82, v83, v10, v122
	;; [unrolled: 1-line block ×4, first 2 shown]
	ds_read2_b64 v[98:101], v75 offset0:64 offset1:96
	v_mul_u32_u24_sdwa v124, v5, s34 dst_sel:DWORD dst_unused:UNUSED_PAD src0_sel:WORD_1 src1_sel:DWORD
	s_waitcnt lgkmcnt(5)
	v_pk_fma_f16 v84, v86, v12, v11
	v_pk_fma_f16 v82, v87, v12, v82
	;; [unrolled: 1-line block ×4, first 2 shown]
	ds_read2_b64 v[102:105], v75 offset0:128 offset1:160
	v_mul_u32_u24_sdwa v125, v6, s34 dst_sel:DWORD dst_unused:UNUSED_PAD src0_sel:WORD_0 src1_sel:DWORD
	s_waitcnt lgkmcnt(5)
	v_pk_fma_f16 v86, v90, v124, v84
	v_pk_fma_f16 v87, v91, v124, v82
	;; [unrolled: 1-line block ×4, first 2 shown]
	ds_read2_b64 v[106:109], v75 offset0:192 offset1:224
	v_mul_u32_u24_sdwa v122, v6, s34 dst_sel:DWORD dst_unused:UNUSED_PAD src0_sel:WORD_1 src1_sel:DWORD
	s_waitcnt lgkmcnt(5)
	v_pk_fma_f16 v86, v94, v125, v86
	v_pk_fma_f16 v87, v95, v125, v87
	;; [unrolled: 1-line block ×4, first 2 shown]
	ds_read2_b64 v[110:113], v76 offset1:32
	v_mul_u32_u24_sdwa v123, v7, s34 dst_sel:DWORD dst_unused:UNUSED_PAD src0_sel:WORD_0 src1_sel:DWORD
	s_waitcnt lgkmcnt(5)
	v_pk_fma_f16 v86, v118, v122, v86
	v_pk_fma_f16 v87, v119, v122, v87
	;; [unrolled: 1-line block ×4, first 2 shown]
	ds_read2_b64 v[32:35], v76 offset0:64 offset1:96
	v_mul_u32_u24_sdwa v126, v7, s34 dst_sel:DWORD dst_unused:UNUSED_PAD src0_sel:WORD_1 src1_sel:DWORD
	s_waitcnt lgkmcnt(5)
	v_pk_fma_f16 v36, v36, v123, v86
	v_pk_fma_f16 v37, v37, v123, v87
	;; [unrolled: 1-line block ×4, first 2 shown]
	ds_read2_b64 v[40:43], v76 offset0:128 offset1:160
	v_mul_u32_u24_sdwa v127, v8, s34 dst_sel:DWORD dst_unused:UNUSED_PAD src0_sel:WORD_0 src1_sel:DWORD
	s_waitcnt lgkmcnt(5)
	v_pk_fma_f16 v36, v98, v126, v36
	v_pk_fma_f16 v37, v99, v126, v37
	;; [unrolled: 1-line block ×4, first 2 shown]
	v_mul_u32_u24_sdwa v46, v8, s34 dst_sel:DWORD dst_unused:UNUSED_PAD src0_sel:WORD_1 src1_sel:DWORD
	s_waitcnt lgkmcnt(4)
	v_pk_fma_f16 v36, v102, v127, v36
	v_pk_fma_f16 v37, v103, v127, v37
	;; [unrolled: 1-line block ×4, first 2 shown]
	ds_read2_b64 v[78:81], v76 offset0:192 offset1:224
	ds_read2_b64 v[114:117], v77 offset1:32
	v_mul_u32_u24_sdwa v90, v1, s34 dst_sel:DWORD dst_unused:UNUSED_PAD src0_sel:WORD_0 src1_sel:DWORD
	s_waitcnt lgkmcnt(5)
	v_pk_fma_f16 v36, v106, v46, v36
	v_pk_fma_f16 v37, v107, v46, v37
	;; [unrolled: 1-line block ×4, first 2 shown]
	ds_read2_b64 v[5:8], v77 offset0:64 offset1:96
	ds_read2_b64 v[9:12], v77 offset0:128 offset1:160
	;; [unrolled: 1-line block ×3, first 2 shown]
	s_waitcnt lgkmcnt(0)
	s_barrier
	s_load_dword s0, s[10:11], 0x4
	v_mul_u32_u24_sdwa v1, v1, s34 dst_sel:DWORD dst_unused:UNUSED_PAD src0_sel:WORD_1 src1_sel:DWORD
	v_pk_fma_f16 v36, v110, v90, v36
	v_pk_fma_f16 v37, v111, v90, v37
	;; [unrolled: 1-line block ×4, first 2 shown]
	v_mul_u32_u24_sdwa v91, v2, s34 dst_sel:DWORD dst_unused:UNUSED_PAD src0_sel:WORD_0 src1_sel:DWORD
	v_pk_fma_f16 v32, v32, v1, v36
	v_pk_fma_f16 v33, v33, v1, v37
	;; [unrolled: 1-line block ×4, first 2 shown]
	v_mul_u32_u24_sdwa v2, v2, s34 dst_sel:DWORD dst_unused:UNUSED_PAD src0_sel:WORD_1 src1_sel:DWORD
	v_pk_fma_f16 v32, v40, v91, v32
	v_pk_fma_f16 v33, v41, v91, v33
	;; [unrolled: 1-line block ×4, first 2 shown]
	v_mul_u32_u24_sdwa v92, v3, s34 dst_sel:DWORD dst_unused:UNUSED_PAD src0_sel:WORD_0 src1_sel:DWORD
	v_pk_fma_f16 v32, v78, v2, v32
	v_pk_fma_f16 v33, v79, v2, v33
	;; [unrolled: 1-line block ×4, first 2 shown]
	v_mul_u32_u24_sdwa v3, v3, s34 dst_sel:DWORD dst_unused:UNUSED_PAD src0_sel:WORD_1 src1_sel:DWORD
	v_pk_fma_f16 v2, v114, v92, v32
	v_pk_fma_f16 v32, v115, v92, v33
	;; [unrolled: 1-line block ×4, first 2 shown]
	v_mul_u32_u24_sdwa v93, v4, s34 dst_sel:DWORD dst_unused:UNUSED_PAD src0_sel:WORD_0 src1_sel:DWORD
	s_waitcnt lgkmcnt(0)
	s_lshl_b32 s0, s0, 6
	v_pk_fma_f16 v2, v5, v3, v2
	v_pk_fma_f16 v5, v6, v3, v32
	;; [unrolled: 1-line block ×4, first 2 shown]
	v_mul_u32_u24_sdwa v4, v4, s34 dst_sel:DWORD dst_unused:UNUSED_PAD src0_sel:WORD_1 src1_sel:DWORD
	s_add_i32 s6, s0, s6
	v_pk_fma_f16 v2, v9, v93, v2
	v_pk_fma_f16 v3, v10, v93, v5
	;; [unrolled: 1-line block ×4, first 2 shown]
	s_cmp_ge_i32 s6, s28
	v_pk_fma_f16 v80, v82, v4, v2
	v_pk_fma_f16 v81, v83, v4, v3
	v_pk_fma_f16 v79, v84, v4, v5
	v_pk_fma_f16 v78, v85, v4, v1
	s_cbranch_scc0 .LBB20_9
; %bb.10:
	v_lshlrev_b32_e32 v17, 2, v0
.LBB20_11:
	v_cmp_lt_i32_e32 vcc, v55, v50
	v_cndmask_b32_e32 v1, v49, v55, vcc
	v_lshlrev_b32_e32 v1, 2, v1
	ds_bpermute_b32 v1, v1, v31
	v_cmp_lt_i32_e32 vcc, v54, v50
	v_cndmask_b32_e32 v2, v49, v54, vcc
	v_lshlrev_b32_e32 v2, 2, v2
	v_cmp_lt_i32_e32 vcc, v53, v50
	s_waitcnt lgkmcnt(0)
	v_add_f32_e32 v1, v31, v1
	ds_bpermute_b32 v2, v2, v1
	v_cndmask_b32_e32 v3, v49, v53, vcc
	v_lshlrev_b32_e32 v3, 2, v3
	v_cmp_lt_i32_e32 vcc, v52, v50
	s_cmp_lg_u64 s[16:17], 0
	s_waitcnt lgkmcnt(0)
	v_add_f32_e32 v1, v1, v2
	ds_bpermute_b32 v2, v3, v1
	v_cndmask_b32_e32 v3, v49, v52, vcc
	v_lshlrev_b32_e32 v3, 2, v3
	v_cmp_lt_i32_e32 vcc, v51, v50
	s_cselect_b64 s[0:1], -1, 0
	s_waitcnt lgkmcnt(0)
	v_add_f32_e32 v1, v1, v2
	ds_bpermute_b32 v2, v3, v1
	v_cndmask_b32_e32 v3, v49, v51, vcc
	v_lshlrev_b32_e32 v3, 2, v3
	s_cmp_eq_u32 s7, 0
	s_cselect_b64 s[2:3], -1, 0
	s_waitcnt lgkmcnt(0)
	v_add_f32_e32 v1, v1, v2
	ds_bpermute_b32 v2, v3, v1
	s_and_b64 s[0:1], s[2:3], s[0:1]
	s_and_b64 vcc, exec, s[0:1]
	s_waitcnt lgkmcnt(0)
	v_add_f32_e32 v31, v1, v2
	s_cbranch_vccz .LBB20_13
; %bb.12:
	v_add_u32_e32 v1, s29, v44
	v_ashrrev_i32_e32 v2, 31, v1
	v_lshlrev_b64 v[1:2], 2, v[1:2]
	v_mov_b32_e32 v3, s17
	v_add_co_u32_e32 v1, vcc, s16, v1
	v_addc_co_u32_e32 v2, vcc, v3, v2, vcc
	global_load_dword v1, v[1:2], off
	v_max_f32_e32 v2, v30, v30
	s_mov_b32 s0, 0x3fb8aa3b
	s_mov_b32 s1, 0xc2ce8ed0
	s_waitcnt vmcnt(0)
	v_max_f32_e32 v3, v1, v1
	v_max_f32_e32 v2, v2, v3
	v_sub_f32_e32 v3, v30, v2
	v_sub_f32_e32 v1, v1, v2
	v_mul_f32_e32 v4, 0x3fb8aa3b, v3
	v_mul_f32_e32 v5, 0x3fb8aa3b, v1
	v_fma_f32 v6, v3, s0, -v4
	v_rndne_f32_e32 v7, v4
	v_fma_f32 v8, v1, s0, -v5
	v_rndne_f32_e32 v9, v5
	v_fmac_f32_e32 v6, 0x32a5705f, v3
	v_sub_f32_e32 v4, v4, v7
	v_fmac_f32_e32 v8, 0x32a5705f, v1
	v_sub_f32_e32 v5, v5, v9
	v_add_f32_e32 v4, v4, v6
	v_cvt_i32_f32_e32 v7, v7
	v_add_f32_e32 v5, v5, v8
	v_exp_f32_e32 v4, v4
	v_cvt_i32_f32_e32 v9, v9
	v_exp_f32_e32 v5, v5
	v_cmp_ngt_f32_e32 vcc, s1, v3
	v_ldexp_f32 v4, v4, v7
	s_mov_b32 s0, 0x42b17218
	v_ldexp_f32 v5, v5, v9
	v_cndmask_b32_e32 v4, 0, v4, vcc
	v_cmp_ngt_f32_e32 vcc, s1, v1
	v_mov_b32_e32 v6, 0x7f800000
	v_cndmask_b32_e32 v5, 0, v5, vcc
	v_cmp_nlt_f32_e32 vcc, s0, v3
	v_cndmask_b32_e32 v3, v6, v4, vcc
	v_cvt_f16_f32_e32 v4, v3
	v_cmp_nlt_f32_e32 vcc, s0, v1
	v_cndmask_b32_e32 v1, v6, v5, vcc
	v_fmac_f32_e32 v1, v31, v3
	v_mov_b32_e32 v31, v1
	v_mul_u32_u24_e32 v1, 0x10001, v4
	v_pk_mul_f16 v80, v80, v1
	v_pk_mul_f16 v81, v81, v1
	v_pk_mul_f16 v79, v79, v1
	v_pk_mul_f16 v78, v78, v1
	v_mov_b32_e32 v30, v2
.LBB20_13:
	v_cmp_gt_i32_e32 vcc, s26, v45
	s_and_saveexec_b64 s[0:1], vcc
	s_cbranch_execz .LBB20_16
; %bb.14:
	v_div_scale_f32 v1, s[0:1], v31, v31, 1.0
	v_div_scale_f32 v2, vcc, 1.0, v31, 1.0
	v_cmp_eq_u32_e64 s[0:1], 0, v0
	s_mul_i32 s33, s33, s26
	v_add_u32_e32 v4, s33, v45
	s_load_dword s2, s[4:5], 0xd4
	v_mul_lo_u32 v4, v4, s27
	v_cvt_f32_f16_sdwa v3, v81 dst_sel:DWORD dst_unused:UNUSED_PAD src0_sel:WORD_1
	v_cvt_f32_f16_e32 v9, v81
	v_cvt_f32_f16_sdwa v10, v80 dst_sel:DWORD dst_unused:UNUSED_PAD src0_sel:WORD_1
	v_cvt_f32_f16_e32 v11, v80
	s_waitcnt lgkmcnt(0)
	s_cmp_lg_u32 s2, 1
	v_mov_b32_e32 v8, s21
	v_cvt_f32_f16_sdwa v13, v78 dst_sel:DWORD dst_unused:UNUSED_PAD src0_sel:WORD_1
	v_rcp_f32_e32 v0, v1
	v_cvt_f32_f16_e32 v14, v78
	v_cvt_f32_f16_sdwa v15, v79 dst_sel:DWORD dst_unused:UNUSED_PAD src0_sel:WORD_1
	v_fma_f32 v5, -v1, v0, 1.0
	v_fmac_f32_e32 v0, v5, v0
	v_mul_f32_e32 v5, v2, v0
	v_fma_f32 v6, -v1, v5, v2
	v_fmac_f32_e32 v5, v6, v0
	v_fma_f32 v1, -v1, v5, v2
	v_div_fmas_f32 v12, v1, v0, v5
	v_add3_u32 v0, s29, v44, v4
	v_mul_lo_u32 v0, s2, v0
	v_mov_b32_e32 v6, 0
	s_cselect_b64 s[2:3], -1, 0
	s_and_b64 s[0:1], s[0:1], s[2:3]
	v_add_u32_e32 v0, s7, v0
	v_lshl_add_u32 v5, v0, 8, v17
	v_lshlrev_b64 v[1:2], 2, v[5:6]
	v_add_u32_e32 v5, 0x80, v5
	v_add_co_u32_e32 v7, vcc, s20, v1
	v_addc_co_u32_e32 v8, vcc, v8, v2, vcc
	v_lshlrev_b64 v[5:6], 2, v[5:6]
	v_add_co_u32_e32 v5, vcc, s20, v5
	v_div_fixup_f32 v1, v12, v31, 1.0
	v_cndmask_b32_e64 v12, v1, 1.0, s[2:3]
	v_mul_f32_e32 v4, v12, v3
	v_mul_f32_e32 v3, v12, v9
	;; [unrolled: 1-line block ×4, first 2 shown]
	global_store_dwordx4 v[7:8], v[1:4], off
	v_mov_b32_e32 v7, s21
	v_cvt_f32_f16_e32 v1, v79
	v_mul_f32_e32 v4, v12, v13
	v_mul_f32_e32 v3, v12, v14
	;; [unrolled: 1-line block ×4, first 2 shown]
	v_addc_co_u32_e32 v6, vcc, v7, v6, vcc
	global_store_dwordx4 v[5:6], v[1:4], off
	s_and_b64 exec, exec, s[0:1]
	s_cbranch_execz .LBB20_16
; %bb.15:
	v_ashrrev_i32_e32 v1, 31, v0
	v_lshlrev_b64 v[0:1], 3, v[0:1]
	v_mov_b32_e32 v2, s23
	v_add_co_u32_e32 v0, vcc, s22, v0
	v_addc_co_u32_e32 v1, vcc, v2, v1, vcc
	global_store_dwordx2 v[0:1], v[30:31], off
.LBB20_16:
	s_endpgm
	.section	.rodata,"a",@progbits
	.p2align	6, 0x0
	.amdhsa_kernel _ZL15flash_attn_tileILi256ELi256ELi2ELi4ELb0EEvPKcS1_S1_S1_S1_PKiPfP15HIP_vector_typeIfLj2EEffffjfiS5_IjLj3EEiiiiiiiiiiiliiliiiiil
		.amdhsa_group_segment_fixed_size 22528
		.amdhsa_private_segment_fixed_size 0
		.amdhsa_kernarg_size 464
		.amdhsa_user_sgpr_count 6
		.amdhsa_user_sgpr_private_segment_buffer 1
		.amdhsa_user_sgpr_dispatch_ptr 0
		.amdhsa_user_sgpr_queue_ptr 0
		.amdhsa_user_sgpr_kernarg_segment_ptr 1
		.amdhsa_user_sgpr_dispatch_id 0
		.amdhsa_user_sgpr_flat_scratch_init 0
		.amdhsa_user_sgpr_private_segment_size 0
		.amdhsa_uses_dynamic_stack 0
		.amdhsa_system_sgpr_private_segment_wavefront_offset 0
		.amdhsa_system_sgpr_workgroup_id_x 1
		.amdhsa_system_sgpr_workgroup_id_y 1
		.amdhsa_system_sgpr_workgroup_id_z 1
		.amdhsa_system_sgpr_workgroup_info 0
		.amdhsa_system_vgpr_workitem_id 1
		.amdhsa_next_free_vgpr 128
		.amdhsa_next_free_sgpr 98
		.amdhsa_reserve_vcc 1
		.amdhsa_reserve_flat_scratch 0
		.amdhsa_float_round_mode_32 0
		.amdhsa_float_round_mode_16_64 0
		.amdhsa_float_denorm_mode_32 3
		.amdhsa_float_denorm_mode_16_64 3
		.amdhsa_dx10_clamp 1
		.amdhsa_ieee_mode 1
		.amdhsa_fp16_overflow 0
		.amdhsa_exception_fp_ieee_invalid_op 0
		.amdhsa_exception_fp_denorm_src 0
		.amdhsa_exception_fp_ieee_div_zero 0
		.amdhsa_exception_fp_ieee_overflow 0
		.amdhsa_exception_fp_ieee_underflow 0
		.amdhsa_exception_fp_ieee_inexact 0
		.amdhsa_exception_int_div_zero 0
	.end_amdhsa_kernel
	.section	.text._ZL15flash_attn_tileILi256ELi256ELi2ELi4ELb0EEvPKcS1_S1_S1_S1_PKiPfP15HIP_vector_typeIfLj2EEffffjfiS5_IjLj3EEiiiiiiiiiiiliiliiiiil,"axG",@progbits,_ZL15flash_attn_tileILi256ELi256ELi2ELi4ELb0EEvPKcS1_S1_S1_S1_PKiPfP15HIP_vector_typeIfLj2EEffffjfiS5_IjLj3EEiiiiiiiiiiiliiliiiiil,comdat
.Lfunc_end20:
	.size	_ZL15flash_attn_tileILi256ELi256ELi2ELi4ELb0EEvPKcS1_S1_S1_S1_PKiPfP15HIP_vector_typeIfLj2EEffffjfiS5_IjLj3EEiiiiiiiiiiiliiliiiiil, .Lfunc_end20-_ZL15flash_attn_tileILi256ELi256ELi2ELi4ELb0EEvPKcS1_S1_S1_S1_PKiPfP15HIP_vector_typeIfLj2EEffffjfiS5_IjLj3EEiiiiiiiiiiiliiliiiiil
                                        ; -- End function
	.set _ZL15flash_attn_tileILi256ELi256ELi2ELi4ELb0EEvPKcS1_S1_S1_S1_PKiPfP15HIP_vector_typeIfLj2EEffffjfiS5_IjLj3EEiiiiiiiiiiiliiliiiiil.num_vgpr, 128
	.set _ZL15flash_attn_tileILi256ELi256ELi2ELi4ELb0EEvPKcS1_S1_S1_S1_PKiPfP15HIP_vector_typeIfLj2EEffffjfiS5_IjLj3EEiiiiiiiiiiiliiliiiiil.num_agpr, 0
	.set _ZL15flash_attn_tileILi256ELi256ELi2ELi4ELb0EEvPKcS1_S1_S1_S1_PKiPfP15HIP_vector_typeIfLj2EEffffjfiS5_IjLj3EEiiiiiiiiiiiliiliiiiil.numbered_sgpr, 39
	.set _ZL15flash_attn_tileILi256ELi256ELi2ELi4ELb0EEvPKcS1_S1_S1_S1_PKiPfP15HIP_vector_typeIfLj2EEffffjfiS5_IjLj3EEiiiiiiiiiiiliiliiiiil.num_named_barrier, 0
	.set _ZL15flash_attn_tileILi256ELi256ELi2ELi4ELb0EEvPKcS1_S1_S1_S1_PKiPfP15HIP_vector_typeIfLj2EEffffjfiS5_IjLj3EEiiiiiiiiiiiliiliiiiil.private_seg_size, 0
	.set _ZL15flash_attn_tileILi256ELi256ELi2ELi4ELb0EEvPKcS1_S1_S1_S1_PKiPfP15HIP_vector_typeIfLj2EEffffjfiS5_IjLj3EEiiiiiiiiiiiliiliiiiil.uses_vcc, 1
	.set _ZL15flash_attn_tileILi256ELi256ELi2ELi4ELb0EEvPKcS1_S1_S1_S1_PKiPfP15HIP_vector_typeIfLj2EEffffjfiS5_IjLj3EEiiiiiiiiiiiliiliiiiil.uses_flat_scratch, 0
	.set _ZL15flash_attn_tileILi256ELi256ELi2ELi4ELb0EEvPKcS1_S1_S1_S1_PKiPfP15HIP_vector_typeIfLj2EEffffjfiS5_IjLj3EEiiiiiiiiiiiliiliiiiil.has_dyn_sized_stack, 0
	.set _ZL15flash_attn_tileILi256ELi256ELi2ELi4ELb0EEvPKcS1_S1_S1_S1_PKiPfP15HIP_vector_typeIfLj2EEffffjfiS5_IjLj3EEiiiiiiiiiiiliiliiiiil.has_recursion, 0
	.set _ZL15flash_attn_tileILi256ELi256ELi2ELi4ELb0EEvPKcS1_S1_S1_S1_PKiPfP15HIP_vector_typeIfLj2EEffffjfiS5_IjLj3EEiiiiiiiiiiiliiliiiiil.has_indirect_call, 0
	.section	.AMDGPU.csdata,"",@progbits
; Kernel info:
; codeLenInByte = 10388
; TotalNumSgprs: 43
; NumVgprs: 128
; ScratchSize: 0
; MemoryBound: 0
; FloatMode: 240
; IeeeMode: 1
; LDSByteSize: 22528 bytes/workgroup (compile time only)
; SGPRBlocks: 12
; VGPRBlocks: 31
; NumSGPRsForWavesPerEU: 102
; NumVGPRsForWavesPerEU: 128
; Occupancy: 2
; WaveLimiterHint : 1
; COMPUTE_PGM_RSRC2:SCRATCH_EN: 0
; COMPUTE_PGM_RSRC2:USER_SGPR: 6
; COMPUTE_PGM_RSRC2:TRAP_HANDLER: 0
; COMPUTE_PGM_RSRC2:TGID_X_EN: 1
; COMPUTE_PGM_RSRC2:TGID_Y_EN: 1
; COMPUTE_PGM_RSRC2:TGID_Z_EN: 1
; COMPUTE_PGM_RSRC2:TIDIG_COMP_CNT: 1
	.section	.text._ZL33flash_attn_stream_k_fixup_uniformILi256ELi2ELi4EEvPfPK15HIP_vector_typeIfLj2EEiiiiiiS1_IjLj3EES5_S5_,"axG",@progbits,_ZL33flash_attn_stream_k_fixup_uniformILi256ELi2ELi4EEvPfPK15HIP_vector_typeIfLj2EEiiiiiiS1_IjLj3EES5_S5_,comdat
	.globl	_ZL33flash_attn_stream_k_fixup_uniformILi256ELi2ELi4EEvPfPK15HIP_vector_typeIfLj2EEiiiiiiS1_IjLj3EES5_S5_ ; -- Begin function _ZL33flash_attn_stream_k_fixup_uniformILi256ELi2ELi4EEvPfPK15HIP_vector_typeIfLj2EEiiiiiiS1_IjLj3EES5_S5_
	.p2align	8
	.type	_ZL33flash_attn_stream_k_fixup_uniformILi256ELi2ELi4EEvPfPK15HIP_vector_typeIfLj2EEiiiiiiS1_IjLj3EES5_S5_,@function
_ZL33flash_attn_stream_k_fixup_uniformILi256ELi2ELi4EEvPfPK15HIP_vector_typeIfLj2EEiiiiiiS1_IjLj3EES5_S5_: ; @_ZL33flash_attn_stream_k_fixup_uniformILi256ELi2ELi4EEvPfPK15HIP_vector_typeIfLj2EEiiiiiiS1_IjLj3EES5_S5_
; %bb.0:
	s_load_dwordx8 s[12:19], s[4:5], 0x1c
	s_load_dwordx2 s[10:11], s[4:5], 0x10
	s_load_dwordx4 s[0:3], s[4:5], 0x3c
	s_waitcnt lgkmcnt(0)
	s_mul_hi_u32 s9, s15, s6
	s_add_i32 s9, s6, s9
	s_lshr_b32 s9, s9, s16
	s_mul_i32 s15, s9, s17
	s_sub_i32 s15, s6, s15
	s_mul_hi_u32 s16, s15, s18
	s_add_i32 s16, s15, s16
	s_lshr_b32 s16, s16, s19
	s_mul_i32 s0, s16, s0
	s_sub_i32 s0, s15, s0
	;; [unrolled: 5-line block ×3, first 2 shown]
	s_lshl_b32 s0, s17, 1
	s_lshl_b32 s15, s1, 2
	s_add_i32 s0, s0, s7
	s_cmp_lt_i32 s0, s10
	s_cselect_b64 s[0:1], -1, 0
	s_add_i32 s2, s15, s8
	s_cmp_lt_i32 s2, s13
	s_cselect_b64 s[2:3], -1, 0
	s_and_b64 s[0:1], s[0:1], s[2:3]
	s_andn2_b64 vcc, exec, s[0:1]
	s_cbranch_vccnz .LBB21_6
; %bb.1:
	s_load_dwordx4 s[0:3], s[4:5], 0x0
	s_mul_i32 s4, s9, s10
	s_add_i32 s4, s4, s7
	s_mul_i32 s4, s4, s11
	s_mul_i32 s16, s16, s13
	s_add_i32 s4, s4, s8
	s_add_i32 s4, s4, s16
	s_mul_i32 s5, s11, s17
	s_add_i32 s4, s4, s15
	s_lshl_b32 s5, s5, 9
	s_lshl_b32 s4, s4, 8
	s_add_i32 s5, s5, s4
	v_or_b32_e32 v1, s5, v0
	v_ashrrev_i32_e32 v2, 31, v1
	v_lshlrev_b64 v[1:2], 2, v[1:2]
	s_waitcnt lgkmcnt(0)
	v_mov_b32_e32 v3, s1
	v_add_co_u32_e32 v1, vcc, s0, v1
	v_addc_co_u32_e32 v2, vcc, v3, v2, vcc
	global_load_dword v8, v[1:2], off
	s_mul_i32 s9, s14, s6
	s_lshl_b32 s4, s7, 2
	s_add_i32 s11, s9, s14
	s_add_i32 s0, s4, s8
	s_lshl_b32 s1, s11, 3
	s_add_i32 s0, s0, s1
	s_add_i32 s0, s0, -8
	s_ashr_i32 s1, s0, 31
	s_lshl_b64 s[0:1], s[0:1], 3
	s_add_u32 s0, s2, s0
	s_addc_u32 s1, s3, s1
	s_load_dword s5, s[0:1], 0x4
	s_add_i32 s10, s11, -2
	s_cmp_lt_i32 s10, s9
	s_cbranch_scc1 .LBB21_4
; %bb.2:
	s_lshl_b32 s16, s12, 5
	s_ashr_i32 s17, s16, 31
	s_lshl_b64 s[16:17], s[16:17], 2
	s_add_u32 s10, s2, s16
	s_addc_u32 s13, s3, s17
	s_add_i32 s6, s6, 1
	s_load_dword s0, s[0:1], 0x0
	s_mul_i32 s1, s14, s6
	s_lshl_b32 s7, s7, 10
	s_lshl_b32 s14, s8, 8
	;; [unrolled: 1-line block ×3, first 2 shown]
	s_add_i32 s7, s14, s7
	s_lshl_b32 s1, s1, 3
	s_add_i32 s7, s7, s6
	s_add_i32 s1, s8, s1
	s_lshl_b32 s6, s12, 3
	s_add_i32 s1, s1, s6
	v_or_b32_e32 v0, s7, v0
	s_add_i32 s1, s1, s4
	s_add_i32 s11, s11, -1
	v_add_u32_e32 v3, 0xfffff000, v0
	s_add_i32 s4, s1, -16
	s_waitcnt lgkmcnt(0)
	v_mov_b32_e32 v7, s5
	v_mov_b32_e32 v6, s0
	;; [unrolled: 1-line block ×3, first 2 shown]
	s_mov_b32 s6, 0x3fb8aa3b
	s_mov_b32 s7, 0xc2ce8ed0
	;; [unrolled: 1-line block ×3, first 2 shown]
	v_mov_b32_e32 v5, 0x7f800000
	s_mov_b32 s12, 0xc1a00000
.LBB21_3:                               ; =>This Inner Loop Header: Depth=1
	v_ashrrev_i32_e32 v4, 31, v3
	v_lshlrev_b64 v[9:10], 2, v[3:4]
	s_ashr_i32 s5, s4, 31
	v_add_co_u32_e32 v9, vcc, s10, v9
	v_addc_co_u32_e32 v10, vcc, v0, v10, vcc
	global_load_dword v4, v[9:10], off
	s_lshl_b64 s[0:1], s[4:5], 3
	s_add_u32 s0, s2, s0
	s_addc_u32 s1, s3, s1
	s_load_dwordx2 s[14:15], s[0:1], 0x0
	s_waitcnt vmcnt(1)
	v_mov_b32_e32 v9, v8
	v_max_f32_e32 v8, v6, v6
	v_mov_b32_e32 v10, v7
	s_add_i32 s11, s11, -1
	s_waitcnt lgkmcnt(0)
	v_max_f32_e64 v7, s14, s14
	v_max_f32_e32 v7, v8, v7
	v_sub_f32_e32 v11, s14, v7
	v_sub_f32_e32 v8, v6, v7
	v_mul_f32_e32 v12, 0x3fb8aa3b, v11
	v_mov_b32_e32 v6, v7
	v_mul_f32_e32 v7, 0x3fb8aa3b, v8
	v_fma_f32 v15, v11, s6, -v12
	v_rndne_f32_e32 v16, v12
	v_fma_f32 v13, v8, s6, -v7
	v_rndne_f32_e32 v14, v7
	v_fmac_f32_e32 v15, 0x32a5705f, v11
	v_sub_f32_e32 v12, v12, v16
	v_fmac_f32_e32 v13, 0x32a5705f, v8
	v_sub_f32_e32 v7, v7, v14
	v_add_f32_e32 v12, v12, v15
	v_cvt_i32_f32_e32 v16, v16
	v_add_f32_e32 v7, v7, v13
	v_exp_f32_e32 v12, v12
	v_cvt_i32_f32_e32 v14, v14
	v_exp_f32_e32 v7, v7
	v_cmp_ngt_f32_e32 vcc, s7, v11
	v_ldexp_f32 v12, v12, v16
	v_cmp_ngt_f32_e64 s[0:1], s7, v8
	v_ldexp_f32 v7, v7, v14
	v_cndmask_b32_e32 v12, 0, v12, vcc
	v_cmp_nlt_f32_e32 vcc, s8, v11
	v_cndmask_b32_e64 v7, 0, v7, s[0:1]
	v_cmp_nlt_f32_e64 s[0:1], s8, v8
	v_cndmask_b32_e32 v12, v5, v12, vcc
	v_cmp_le_f32_e32 vcc, s12, v11
	v_cndmask_b32_e64 v7, v5, v7, s[0:1]
	v_cmp_le_f32_e64 s[0:1], s12, v8
	v_cndmask_b32_e32 v8, 0, v12, vcc
	s_add_i32 s4, s4, -8
	v_cndmask_b32_e64 v11, 0, v7, s[0:1]
	v_mul_f32_e32 v7, s15, v8
	v_add_u32_e32 v3, 0xfffff800, v3
	s_cmp_le_i32 s11, s9
	v_fmac_f32_e32 v7, v10, v11
	s_waitcnt vmcnt(0)
	v_mul_f32_e32 v8, v4, v8
	v_fmac_f32_e32 v8, v9, v11
	s_cbranch_scc0 .LBB21_3
	s_branch .LBB21_5
.LBB21_4:
	s_waitcnt lgkmcnt(0)
	v_mov_b32_e32 v7, s5
.LBB21_5:
	s_waitcnt vmcnt(0)
	v_div_scale_f32 v0, s[0:1], v7, v7, v8
	v_div_scale_f32 v3, vcc, v8, v7, v8
	v_rcp_f32_e32 v4, v0
	v_fma_f32 v5, -v0, v4, 1.0
	v_fmac_f32_e32 v4, v5, v4
	v_mul_f32_e32 v5, v3, v4
	v_fma_f32 v6, -v0, v5, v3
	v_fmac_f32_e32 v5, v6, v4
	v_fma_f32 v0, -v0, v5, v3
	v_div_fmas_f32 v0, v0, v4, v5
	v_div_fixup_f32 v0, v0, v7, v8
	global_store_dword v[1:2], v0, off
.LBB21_6:
	s_endpgm
	.section	.rodata,"a",@progbits
	.p2align	6, 0x0
	.amdhsa_kernel _ZL33flash_attn_stream_k_fixup_uniformILi256ELi2ELi4EEvPfPK15HIP_vector_typeIfLj2EEiiiiiiS1_IjLj3EES5_S5_
		.amdhsa_group_segment_fixed_size 0
		.amdhsa_private_segment_fixed_size 0
		.amdhsa_kernarg_size 76
		.amdhsa_user_sgpr_count 6
		.amdhsa_user_sgpr_private_segment_buffer 1
		.amdhsa_user_sgpr_dispatch_ptr 0
		.amdhsa_user_sgpr_queue_ptr 0
		.amdhsa_user_sgpr_kernarg_segment_ptr 1
		.amdhsa_user_sgpr_dispatch_id 0
		.amdhsa_user_sgpr_flat_scratch_init 0
		.amdhsa_user_sgpr_private_segment_size 0
		.amdhsa_uses_dynamic_stack 0
		.amdhsa_system_sgpr_private_segment_wavefront_offset 0
		.amdhsa_system_sgpr_workgroup_id_x 1
		.amdhsa_system_sgpr_workgroup_id_y 1
		.amdhsa_system_sgpr_workgroup_id_z 1
		.amdhsa_system_sgpr_workgroup_info 0
		.amdhsa_system_vgpr_workitem_id 0
		.amdhsa_next_free_vgpr 17
		.amdhsa_next_free_sgpr 20
		.amdhsa_reserve_vcc 1
		.amdhsa_reserve_flat_scratch 0
		.amdhsa_float_round_mode_32 0
		.amdhsa_float_round_mode_16_64 0
		.amdhsa_float_denorm_mode_32 3
		.amdhsa_float_denorm_mode_16_64 3
		.amdhsa_dx10_clamp 1
		.amdhsa_ieee_mode 1
		.amdhsa_fp16_overflow 0
		.amdhsa_exception_fp_ieee_invalid_op 0
		.amdhsa_exception_fp_denorm_src 0
		.amdhsa_exception_fp_ieee_div_zero 0
		.amdhsa_exception_fp_ieee_overflow 0
		.amdhsa_exception_fp_ieee_underflow 0
		.amdhsa_exception_fp_ieee_inexact 0
		.amdhsa_exception_int_div_zero 0
	.end_amdhsa_kernel
	.section	.text._ZL33flash_attn_stream_k_fixup_uniformILi256ELi2ELi4EEvPfPK15HIP_vector_typeIfLj2EEiiiiiiS1_IjLj3EES5_S5_,"axG",@progbits,_ZL33flash_attn_stream_k_fixup_uniformILi256ELi2ELi4EEvPfPK15HIP_vector_typeIfLj2EEiiiiiiS1_IjLj3EES5_S5_,comdat
.Lfunc_end21:
	.size	_ZL33flash_attn_stream_k_fixup_uniformILi256ELi2ELi4EEvPfPK15HIP_vector_typeIfLj2EEiiiiiiS1_IjLj3EES5_S5_, .Lfunc_end21-_ZL33flash_attn_stream_k_fixup_uniformILi256ELi2ELi4EEvPfPK15HIP_vector_typeIfLj2EEiiiiiiS1_IjLj3EES5_S5_
                                        ; -- End function
	.set _ZL33flash_attn_stream_k_fixup_uniformILi256ELi2ELi4EEvPfPK15HIP_vector_typeIfLj2EEiiiiiiS1_IjLj3EES5_S5_.num_vgpr, 17
	.set _ZL33flash_attn_stream_k_fixup_uniformILi256ELi2ELi4EEvPfPK15HIP_vector_typeIfLj2EEiiiiiiS1_IjLj3EES5_S5_.num_agpr, 0
	.set _ZL33flash_attn_stream_k_fixup_uniformILi256ELi2ELi4EEvPfPK15HIP_vector_typeIfLj2EEiiiiiiS1_IjLj3EES5_S5_.numbered_sgpr, 20
	.set _ZL33flash_attn_stream_k_fixup_uniformILi256ELi2ELi4EEvPfPK15HIP_vector_typeIfLj2EEiiiiiiS1_IjLj3EES5_S5_.num_named_barrier, 0
	.set _ZL33flash_attn_stream_k_fixup_uniformILi256ELi2ELi4EEvPfPK15HIP_vector_typeIfLj2EEiiiiiiS1_IjLj3EES5_S5_.private_seg_size, 0
	.set _ZL33flash_attn_stream_k_fixup_uniformILi256ELi2ELi4EEvPfPK15HIP_vector_typeIfLj2EEiiiiiiS1_IjLj3EES5_S5_.uses_vcc, 1
	.set _ZL33flash_attn_stream_k_fixup_uniformILi256ELi2ELi4EEvPfPK15HIP_vector_typeIfLj2EEiiiiiiS1_IjLj3EES5_S5_.uses_flat_scratch, 0
	.set _ZL33flash_attn_stream_k_fixup_uniformILi256ELi2ELi4EEvPfPK15HIP_vector_typeIfLj2EEiiiiiiS1_IjLj3EES5_S5_.has_dyn_sized_stack, 0
	.set _ZL33flash_attn_stream_k_fixup_uniformILi256ELi2ELi4EEvPfPK15HIP_vector_typeIfLj2EEiiiiiiS1_IjLj3EES5_S5_.has_recursion, 0
	.set _ZL33flash_attn_stream_k_fixup_uniformILi256ELi2ELi4EEvPfPK15HIP_vector_typeIfLj2EEiiiiiiS1_IjLj3EES5_S5_.has_indirect_call, 0
	.section	.AMDGPU.csdata,"",@progbits
; Kernel info:
; codeLenInByte = 856
; TotalNumSgprs: 24
; NumVgprs: 17
; ScratchSize: 0
; MemoryBound: 0
; FloatMode: 240
; IeeeMode: 1
; LDSByteSize: 0 bytes/workgroup (compile time only)
; SGPRBlocks: 2
; VGPRBlocks: 4
; NumSGPRsForWavesPerEU: 24
; NumVGPRsForWavesPerEU: 17
; Occupancy: 10
; WaveLimiterHint : 0
; COMPUTE_PGM_RSRC2:SCRATCH_EN: 0
; COMPUTE_PGM_RSRC2:USER_SGPR: 6
; COMPUTE_PGM_RSRC2:TRAP_HANDLER: 0
; COMPUTE_PGM_RSRC2:TGID_X_EN: 1
; COMPUTE_PGM_RSRC2:TGID_Y_EN: 1
; COMPUTE_PGM_RSRC2:TGID_Z_EN: 1
; COMPUTE_PGM_RSRC2:TIDIG_COMP_CNT: 0
	.section	.text._ZL33flash_attn_stream_k_fixup_generalILi256ELi2ELi4EEvPfPK15HIP_vector_typeIfLj2EEiiiiS1_IjLj3EES5_S5_S5_,"axG",@progbits,_ZL33flash_attn_stream_k_fixup_generalILi256ELi2ELi4EEvPfPK15HIP_vector_typeIfLj2EEiiiiS1_IjLj3EES5_S5_S5_,comdat
	.globl	_ZL33flash_attn_stream_k_fixup_generalILi256ELi2ELi4EEvPfPK15HIP_vector_typeIfLj2EEiiiiS1_IjLj3EES5_S5_S5_ ; -- Begin function _ZL33flash_attn_stream_k_fixup_generalILi256ELi2ELi4EEvPfPK15HIP_vector_typeIfLj2EEiiiiS1_IjLj3EES5_S5_S5_
	.p2align	8
	.type	_ZL33flash_attn_stream_k_fixup_generalILi256ELi2ELi4EEvPfPK15HIP_vector_typeIfLj2EEiiiiS1_IjLj3EES5_S5_S5_,@function
_ZL33flash_attn_stream_k_fixup_generalILi256ELi2ELi4EEvPfPK15HIP_vector_typeIfLj2EEiiiiS1_IjLj3EES5_S5_S5_: ; @_ZL33flash_attn_stream_k_fixup_generalILi256ELi2ELi4EEvPfPK15HIP_vector_typeIfLj2EEiiiiS1_IjLj3EES5_S5_S5_
; %bb.0:
	s_load_dwordx4 s[0:3], s[4:5], 0x10
	s_load_dword s22, s[4:5], 0x50
	s_mov_b32 s12, 0
	s_waitcnt lgkmcnt(0)
	s_mul_hi_i32 s13, s3, s6
	s_cmp_lg_u64 s[12:13], 0
	s_mul_i32 s9, s3, s6
	s_cbranch_scc0 .LBB22_20
; %bb.1:
	s_add_u32 s10, s22, 0
	s_addc_u32 s11, 0, 0
	s_xor_b64 s[10:11], s[10:11], 0
	v_cvt_f32_u32_e32 v1, s10
	v_cvt_f32_u32_e32 v2, s11
	s_sub_u32 s12, 0, s10
	s_subb_u32 s18, 0, s11
	v_madmk_f32 v1, v2, 0x4f800000, v1
	v_rcp_f32_e32 v1, v1
	v_mul_f32_e32 v1, 0x5f7ffffc, v1
	v_mul_f32_e32 v2, 0x2f800000, v1
	v_trunc_f32_e32 v2, v2
	v_madmk_f32 v1, v2, 0xcf800000, v1
	v_cvt_u32_f32_e32 v2, v2
	v_cvt_u32_f32_e32 v1, v1
	v_readfirstlane_b32 s19, v2
	v_readfirstlane_b32 s14, v1
	s_mul_i32 s15, s12, s19
	s_mul_hi_u32 s21, s12, s14
	s_mul_i32 s20, s18, s14
	s_add_i32 s15, s21, s15
	s_add_i32 s15, s15, s20
	s_mul_i32 s23, s12, s14
	s_mul_i32 s21, s14, s15
	s_mul_hi_u32 s24, s14, s23
	s_mul_hi_u32 s20, s14, s15
	s_add_u32 s21, s24, s21
	s_addc_u32 s20, 0, s20
	s_mul_hi_u32 s25, s19, s23
	s_mul_i32 s23, s19, s23
	s_add_u32 s21, s21, s23
	s_mul_hi_u32 s24, s19, s15
	s_addc_u32 s20, s20, s25
	s_addc_u32 s21, s24, 0
	s_mul_i32 s15, s19, s15
	s_add_u32 s15, s20, s15
	s_addc_u32 s20, 0, s21
	s_add_u32 s21, s14, s15
	s_cselect_b64 s[14:15], -1, 0
	s_cmp_lg_u64 s[14:15], 0
	s_addc_u32 s19, s19, s20
	s_mul_i32 s14, s12, s19
	s_mul_hi_u32 s15, s12, s21
	s_add_i32 s14, s15, s14
	s_mul_i32 s18, s18, s21
	s_add_i32 s14, s14, s18
	s_mul_i32 s12, s12, s21
	s_mul_hi_u32 s18, s19, s12
	s_mul_i32 s20, s19, s12
	s_mul_i32 s24, s21, s14
	s_mul_hi_u32 s12, s21, s12
	s_mul_hi_u32 s23, s21, s14
	s_add_u32 s12, s12, s24
	s_addc_u32 s23, 0, s23
	s_add_u32 s12, s12, s20
	s_mul_hi_u32 s15, s19, s14
	s_addc_u32 s12, s23, s18
	s_addc_u32 s15, s15, 0
	s_mul_i32 s14, s19, s14
	s_add_u32 s12, s12, s14
	s_addc_u32 s18, 0, s15
	s_add_u32 s20, s21, s12
	s_cselect_b64 s[14:15], -1, 0
	s_cmp_lg_u64 s[14:15], 0
	s_addc_u32 s18, s19, s18
	s_ashr_i32 s14, s13, 31
	s_add_u32 s12, s9, s14
	s_mov_b32 s15, s14
	s_addc_u32 s13, s13, s14
	s_xor_b64 s[12:13], s[12:13], s[14:15]
	s_mul_i32 s21, s12, s18
	s_mul_hi_u32 s23, s12, s20
	s_mul_hi_u32 s19, s12, s18
	s_add_u32 s21, s23, s21
	s_addc_u32 s19, 0, s19
	s_mul_hi_u32 s24, s13, s20
	s_mul_i32 s20, s13, s20
	s_add_u32 s20, s21, s20
	s_mul_hi_u32 s23, s13, s18
	s_addc_u32 s19, s19, s24
	s_addc_u32 s20, s23, 0
	s_mul_i32 s18, s13, s18
	s_add_u32 s23, s19, s18
	s_addc_u32 s24, 0, s20
	s_mul_i32 s18, s10, s24
	s_mul_hi_u32 s19, s10, s23
	s_add_i32 s18, s19, s18
	s_mul_i32 s19, s11, s23
	s_add_i32 s25, s18, s19
	s_sub_i32 s20, s13, s25
	s_mul_i32 s18, s10, s23
	s_sub_u32 s12, s12, s18
	s_cselect_b64 s[18:19], -1, 0
	s_cmp_lg_u64 s[18:19], 0
	s_subb_u32 s26, s20, s11
	s_sub_u32 s27, s12, s10
	s_cselect_b64 s[20:21], -1, 0
	s_cmp_lg_u64 s[20:21], 0
	s_subb_u32 s20, s26, 0
	s_cmp_ge_u32 s20, s11
	s_cselect_b32 s21, -1, 0
	s_cmp_ge_u32 s27, s10
	s_cselect_b32 s26, -1, 0
	s_cmp_eq_u32 s20, s11
	s_cselect_b32 s20, s26, s21
	s_add_u32 s21, s23, 1
	s_addc_u32 s26, s24, 0
	s_add_u32 s27, s23, 2
	s_addc_u32 s28, s24, 0
	s_cmp_lg_u32 s20, 0
	s_cselect_b32 s20, s27, s21
	s_cselect_b32 s21, s28, s26
	s_cmp_lg_u64 s[18:19], 0
	s_subb_u32 s13, s13, s25
	s_cmp_ge_u32 s13, s11
	s_cselect_b32 s18, -1, 0
	s_cmp_ge_u32 s12, s10
	s_cselect_b32 s10, -1, 0
	s_cmp_eq_u32 s13, s11
	s_cselect_b32 s10, s10, s18
	s_cmp_lg_u32 s10, 0
	s_cselect_b32 s11, s21, s24
	s_cselect_b32 s10, s20, s23
	s_xor_b64 s[12:13], s[14:15], 0
	s_xor_b64 s[10:11], s[10:11], s[12:13]
	s_sub_u32 s10, s10, s12
	s_load_dwordx4 s[12:15], s[4:5], 0x44
	s_cbranch_execnz .LBB22_3
.LBB22_2:
	v_cvt_f32_u32_e32 v1, s22
	s_sub_i32 s10, 0, s22
	v_rcp_iflag_f32_e32 v1, v1
	v_mul_f32_e32 v1, 0x4f7ffffe, v1
	v_cvt_u32_f32_e32 v1, v1
	v_readfirstlane_b32 s11, v1
	s_mul_i32 s10, s10, s11
	s_mul_hi_u32 s10, s11, s10
	s_add_i32 s11, s11, s10
	s_mul_hi_u32 s10, s9, s11
	s_waitcnt lgkmcnt(0)
	s_mul_i32 s15, s10, s22
	s_sub_i32 s9, s9, s15
	s_add_i32 s11, s10, 1
	s_sub_i32 s15, s9, s22
	s_cmp_ge_u32 s9, s22
	s_cselect_b32 s10, s11, s10
	s_cselect_b32 s9, s15, s9
	s_add_i32 s11, s10, 1
	s_cmp_ge_u32 s9, s22
	s_cselect_b32 s10, s11, s10
.LBB22_3:
	s_add_i32 s9, s6, 1
	s_mul_hi_i32 s21, s3, s9
	s_mov_b32 s20, 0
	s_cmp_lg_u64 s[20:21], 0
	s_mul_i32 s9, s3, s9
	s_cbranch_scc0 .LBB22_21
; %bb.4:
	s_add_u32 s16, s22, 0
	s_addc_u32 s17, 0, 0
	s_xor_b64 s[18:19], s[16:17], 0
	v_cvt_f32_u32_e32 v1, s18
	v_cvt_f32_u32_e32 v2, s19
	s_sub_u32 s11, 0, s18
	s_waitcnt lgkmcnt(0)
	s_subb_u32 s15, 0, s19
	v_madmk_f32 v1, v2, 0x4f800000, v1
	v_rcp_f32_e32 v1, v1
	v_mul_f32_e32 v1, 0x5f7ffffc, v1
	v_mul_f32_e32 v2, 0x2f800000, v1
	v_trunc_f32_e32 v2, v2
	v_madmk_f32 v1, v2, 0xcf800000, v1
	v_cvt_u32_f32_e32 v2, v2
	v_cvt_u32_f32_e32 v1, v1
	v_readfirstlane_b32 s20, v2
	v_readfirstlane_b32 s23, v1
	s_mul_i32 s24, s11, s20
	s_mul_hi_u32 s26, s11, s23
	s_mul_i32 s25, s15, s23
	s_add_i32 s24, s26, s24
	s_add_i32 s24, s24, s25
	s_mul_i32 s27, s11, s23
	s_mul_i32 s26, s23, s24
	s_mul_hi_u32 s28, s23, s27
	s_mul_hi_u32 s25, s23, s24
	s_add_u32 s26, s28, s26
	s_addc_u32 s25, 0, s25
	s_mul_hi_u32 s29, s20, s27
	s_mul_i32 s27, s20, s27
	s_add_u32 s26, s26, s27
	s_mul_hi_u32 s28, s20, s24
	s_addc_u32 s25, s25, s29
	s_addc_u32 s26, s28, 0
	s_mul_i32 s24, s20, s24
	s_add_u32 s24, s25, s24
	s_addc_u32 s26, 0, s26
	s_add_u32 s23, s23, s24
	s_cselect_b64 s[24:25], -1, 0
	s_cmp_lg_u64 s[24:25], 0
	s_addc_u32 s20, s20, s26
	s_mul_i32 s24, s11, s20
	s_mul_hi_u32 s25, s11, s23
	s_add_i32 s24, s25, s24
	s_mul_i32 s15, s15, s23
	s_add_i32 s24, s24, s15
	s_mul_i32 s11, s11, s23
	s_mul_hi_u32 s25, s20, s11
	s_mul_i32 s26, s20, s11
	s_mul_i32 s28, s23, s24
	s_mul_hi_u32 s11, s23, s11
	s_mul_hi_u32 s27, s23, s24
	s_add_u32 s11, s11, s28
	s_addc_u32 s27, 0, s27
	s_add_u32 s11, s11, s26
	s_mul_hi_u32 s15, s20, s24
	s_addc_u32 s11, s27, s25
	s_addc_u32 s15, s15, 0
	s_mul_i32 s24, s20, s24
	s_add_u32 s11, s11, s24
	s_addc_u32 s15, 0, s15
	s_add_u32 s11, s23, s11
	s_cselect_b64 s[24:25], -1, 0
	s_cmp_lg_u64 s[24:25], 0
	s_addc_u32 s15, s20, s15
	s_ashr_i32 s24, s21, 31
	s_add_u32 s20, s9, s24
	s_mov_b32 s25, s24
	s_addc_u32 s21, s21, s24
	s_xor_b64 s[20:21], s[20:21], s[24:25]
	s_mul_i32 s26, s20, s15
	s_mul_hi_u32 s27, s20, s11
	s_mul_hi_u32 s23, s20, s15
	s_add_u32 s26, s27, s26
	s_addc_u32 s23, 0, s23
	s_mul_hi_u32 s28, s21, s11
	s_mul_i32 s11, s21, s11
	s_add_u32 s11, s26, s11
	s_mul_hi_u32 s27, s21, s15
	s_addc_u32 s11, s23, s28
	s_addc_u32 s23, s27, 0
	s_mul_i32 s15, s21, s15
	s_add_u32 s11, s11, s15
	s_addc_u32 s15, 0, s23
	s_mul_i32 s23, s18, s15
	s_mul_hi_u32 s26, s18, s11
	s_add_i32 s23, s26, s23
	s_mul_i32 s26, s19, s11
	s_add_i32 s23, s23, s26
	s_sub_i32 s28, s21, s23
	s_mul_i32 s26, s18, s11
	s_sub_u32 s20, s20, s26
	s_cselect_b64 s[26:27], -1, 0
	s_cmp_lg_u64 s[26:27], 0
	s_subb_u32 s30, s28, s19
	s_sub_u32 s31, s20, s18
	s_cselect_b64 s[28:29], -1, 0
	s_cmp_lg_u64 s[28:29], 0
	s_subb_u32 s28, s30, 0
	s_cmp_ge_u32 s28, s19
	s_cselect_b32 s29, -1, 0
	s_cmp_ge_u32 s31, s18
	s_cselect_b32 s30, -1, 0
	s_cmp_eq_u32 s28, s19
	s_cselect_b32 s28, s30, s29
	s_add_u32 s29, s11, 1
	s_addc_u32 s30, s15, 0
	s_add_u32 s31, s11, 2
	s_addc_u32 s33, s15, 0
	s_cmp_lg_u32 s28, 0
	s_cselect_b32 s28, s31, s29
	s_cselect_b32 s29, s33, s30
	s_cmp_lg_u64 s[26:27], 0
	s_subb_u32 s21, s21, s23
	s_cmp_ge_u32 s21, s19
	s_cselect_b32 s23, -1, 0
	s_cmp_ge_u32 s20, s18
	s_cselect_b32 s18, -1, 0
	s_cmp_eq_u32 s21, s19
	s_cselect_b32 s18, s18, s23
	s_cmp_lg_u32 s18, 0
	s_cselect_b32 s19, s29, s15
	s_cselect_b32 s18, s28, s11
	s_xor_b64 s[20:21], s[24:25], 0
	s_xor_b64 s[18:19], s[18:19], s[20:21]
	s_sub_u32 s18, s18, s20
	s_cbranch_execnz .LBB22_6
.LBB22_5:
	v_cvt_f32_u32_e32 v1, s22
	s_sub_i32 s11, 0, s22
	v_rcp_iflag_f32_e32 v1, v1
	v_mul_f32_e32 v1, 0x4f7ffffe, v1
	v_cvt_u32_f32_e32 v1, v1
	s_waitcnt lgkmcnt(0)
	v_readfirstlane_b32 s15, v1
	s_mul_i32 s11, s11, s15
	s_mul_hi_u32 s11, s15, s11
	s_add_i32 s15, s15, s11
	s_mul_hi_u32 s11, s9, s15
	s_mul_i32 s16, s11, s22
	s_sub_i32 s9, s9, s16
	s_add_i32 s15, s11, 1
	s_sub_i32 s16, s9, s22
	s_cmp_ge_u32 s9, s22
	s_cselect_b32 s11, s15, s11
	s_cselect_b32 s9, s16, s9
	s_add_i32 s15, s11, 1
	s_cmp_ge_u32 s9, s22
	s_cselect_b32 s18, s15, s11
.LBB22_6:
	s_cmp_eq_u32 s10, s18
	s_waitcnt lgkmcnt(0)
	s_mul_hi_u32 s9, s10, s12
	s_cselect_b64 s[16:17], -1, 0
	s_add_i32 s9, s9, s10
	s_lshr_b32 s11, s9, s13
	s_mul_i32 s9, s11, s14
	s_cmp_eq_u32 s9, s10
	s_mul_hi_u32 s9, s18, s12
	s_cselect_b64 s[20:21], -1, 0
	s_add_i32 s9, s9, s18
	s_lshr_b32 s9, s9, s13
	s_cmp_eq_u32 s11, s9
	s_mul_i32 s9, s9, s14
	s_cselect_b64 s[24:25], -1, 0
	s_cmp_lg_u32 s9, s18
	s_cselect_b64 s[18:19], -1, 0
	s_and_b64 s[18:19], s[24:25], s[18:19]
	s_or_b64 s[16:17], s[16:17], s[20:21]
	s_or_b64 s[16:17], s[16:17], s[18:19]
	s_and_b64 vcc, exec, s[16:17]
	s_cbranch_vccnz .LBB22_23
; %bb.7:
	s_load_dwordx8 s[24:31], s[4:5], 0x20
	s_load_dword s15, s[4:5], 0x40
	s_waitcnt lgkmcnt(0)
	s_mul_hi_u32 s9, s10, s24
	s_add_i32 s9, s9, s10
	s_lshr_b32 s9, s9, s25
	s_mul_i32 s16, s9, s26
	s_sub_i32 s16, s10, s16
	s_mul_hi_u32 s17, s16, s27
	s_add_i32 s17, s16, s17
	s_lshr_b32 s23, s17, s28
	s_mul_i32 s17, s23, s29
	s_sub_i32 s16, s16, s17
	;; [unrolled: 5-line block ×3, first 2 shown]
	s_mul_hi_u32 s16, s15, s12
	s_add_i32 s15, s15, s16
	s_lshr_b32 s25, s15, s13
	s_lshl_b32 s15, s25, 1
	s_lshl_b32 s24, s17, 2
	s_add_i32 s15, s15, s7
	s_cmp_lt_i32 s15, s0
	s_cselect_b64 s[16:17], -1, 0
	s_add_i32 s15, s24, s8
	s_cmp_lt_i32 s15, s2
	s_cselect_b64 s[18:19], -1, 0
	s_and_b64 s[16:17], s[16:17], s[18:19]
	s_andn2_b64 vcc, exec, s[16:17]
	s_cbranch_vccnz .LBB22_23
; %bb.8:
	s_load_dwordx4 s[16:19], s[4:5], 0x0
	s_mov_b32 s4, 0
	s_lshl_b32 s15, s7, 2
	s_lshl_b32 s20, s22, 5
	s_mov_b32 s21, s4
	s_add_i32 s15, s15, s8
	s_lshl_b64 s[20:21], s[20:21], 2
	s_waitcnt lgkmcnt(0)
	s_add_u32 s20, s18, s20
	s_mul_i32 s0, s9, s0
	s_addc_u32 s21, s19, s21
	s_add_i32 s0, s0, s7
	s_mul_i32 s0, s0, s1
	s_mul_i32 s23, s23, s2
	s_add_i32 s0, s0, s8
	s_add_i32 s0, s0, s23
	s_mul_i32 s2, s1, s25
	s_add_i32 s0, s0, s24
	s_lshl_b32 s2, s2, 9
	s_lshl_b32 s0, s0, 8
	s_add_i32 s2, s2, s0
	v_or_b32_e32 v1, s2, v0
	v_ashrrev_i32_e32 v2, 31, v1
	v_lshlrev_b64 v[1:2], 2, v[1:2]
	v_mov_b32_e32 v3, s17
	v_add_co_u32_e32 v1, vcc, s16, v1
	v_addc_co_u32_e32 v2, vcc, v3, v2, vcc
	global_load_dword v3, v[1:2], off
	v_cvt_f32_u32_e32 v4, s22
	s_lshl_b32 s0, s6, 3
	s_add_i32 s0, s15, s0
	s_ashr_i32 s1, s0, 31
	s_lshl_b64 s[0:1], s[0:1], 3
	v_rcp_iflag_f32_e32 v4, v4
	s_add_u32 s0, s18, s0
	s_addc_u32 s1, s19, s1
	s_load_dwordx2 s[0:1], s[0:1], 0x0
	v_mul_f32_e32 v4, 0x4f7ffffe, v4
	v_cvt_u32_f32_e32 v4, v4
	s_add_i32 s24, s6, -1
	v_lshl_or_b32 v0, s15, 8, v0
	s_waitcnt lgkmcnt(0)
	v_mov_b32_e32 v6, s1
	v_mov_b32_e32 v7, s0
	s_mov_b32 s2, 0x3fb8aa3b
	s_mov_b32 s16, 0xc2ce8ed0
	;; [unrolled: 1-line block ×4, first 2 shown]
	v_mov_b32_e32 v5, 0x7f800000
	s_mul_hi_i32 s5, s24, s3
	s_cmp_lg_u64 s[4:5], 0
	s_mul_i32 s8, s24, s3
	s_cbranch_scc0 .LBB22_19
.LBB22_9:
	s_add_u32 s0, s22, 0
	s_addc_u32 s1, 0, 0
	s_xor_b64 s[0:1], s[0:1], 0
	v_cvt_f32_u32_e32 v8, s0
	v_cvt_f32_u32_e32 v9, s1
	s_sub_u32 s9, 0, s0
	s_subb_u32 s25, 0, s1
	v_mac_f32_e32 v8, 0x4f800000, v9
	v_rcp_f32_e32 v8, v8
	v_mul_f32_e32 v8, 0x5f7ffffc, v8
	v_mul_f32_e32 v9, 0x2f800000, v8
	v_trunc_f32_e32 v9, v9
	v_mac_f32_e32 v8, 0xcf800000, v9
	v_cvt_u32_f32_e32 v9, v9
	v_cvt_u32_f32_e32 v8, v8
	v_readfirstlane_b32 s26, v9
	v_readfirstlane_b32 s6, v8
	s_mul_i32 s7, s9, s26
	s_mul_hi_u32 s28, s9, s6
	s_mul_i32 s27, s25, s6
	s_add_i32 s7, s28, s7
	s_mul_i32 s29, s9, s6
	s_add_i32 s7, s7, s27
	s_mul_i32 s28, s6, s7
	s_mul_hi_u32 s30, s6, s29
	s_mul_hi_u32 s27, s6, s7
	s_add_u32 s28, s30, s28
	s_addc_u32 s27, 0, s27
	s_mul_hi_u32 s31, s26, s29
	s_mul_i32 s29, s26, s29
	s_add_u32 s28, s28, s29
	s_mul_hi_u32 s30, s26, s7
	s_addc_u32 s27, s27, s31
	s_addc_u32 s28, s30, 0
	s_mul_i32 s7, s26, s7
	s_add_u32 s7, s27, s7
	s_addc_u32 s27, 0, s28
	s_add_u32 s28, s6, s7
	s_cselect_b64 s[6:7], -1, 0
	s_cmp_lg_u64 s[6:7], 0
	s_addc_u32 s26, s26, s27
	s_mul_i32 s6, s9, s26
	s_mul_hi_u32 s7, s9, s28
	s_add_i32 s6, s7, s6
	s_mul_i32 s25, s25, s28
	s_add_i32 s6, s6, s25
	s_mul_i32 s9, s9, s28
	s_mul_hi_u32 s25, s26, s9
	s_mul_i32 s27, s26, s9
	s_mul_i32 s30, s28, s6
	s_mul_hi_u32 s9, s28, s9
	s_mul_hi_u32 s29, s28, s6
	s_add_u32 s9, s9, s30
	s_addc_u32 s29, 0, s29
	s_add_u32 s9, s9, s27
	s_mul_hi_u32 s7, s26, s6
	s_addc_u32 s9, s29, s25
	s_addc_u32 s7, s7, 0
	s_mul_i32 s6, s26, s6
	s_add_u32 s6, s9, s6
	s_addc_u32 s9, 0, s7
	s_add_u32 s25, s28, s6
	s_cselect_b64 s[6:7], -1, 0
	s_cmp_lg_u64 s[6:7], 0
	s_addc_u32 s9, s26, s9
	s_ashr_i32 s6, s5, 31
	s_add_u32 s26, s8, s6
	s_mov_b32 s7, s6
	s_addc_u32 s27, s5, s6
	s_xor_b64 s[26:27], s[26:27], s[6:7]
	s_mul_i32 s28, s26, s9
	s_mul_hi_u32 s29, s26, s25
	s_mul_hi_u32 s5, s26, s9
	s_add_u32 s28, s29, s28
	s_addc_u32 s5, 0, s5
	s_mul_hi_u32 s30, s27, s25
	s_mul_i32 s25, s27, s25
	s_add_u32 s25, s28, s25
	s_mul_hi_u32 s29, s27, s9
	s_addc_u32 s5, s5, s30
	s_addc_u32 s25, s29, 0
	s_mul_i32 s9, s27, s9
	s_add_u32 s5, s5, s9
	s_addc_u32 s9, 0, s25
	s_mul_i32 s25, s0, s9
	s_mul_hi_u32 s28, s0, s5
	s_add_i32 s25, s28, s25
	s_mul_i32 s28, s1, s5
	s_add_i32 s25, s25, s28
	s_sub_i32 s30, s27, s25
	s_mul_i32 s28, s0, s5
	s_sub_u32 s26, s26, s28
	s_cselect_b64 s[28:29], -1, 0
	s_cmp_lg_u64 s[28:29], 0
	s_subb_u32 s33, s30, s1
	s_sub_u32 s34, s26, s0
	s_cselect_b64 s[30:31], -1, 0
	s_cmp_lg_u64 s[30:31], 0
	s_subb_u32 s30, s33, 0
	s_cmp_ge_u32 s30, s1
	s_cselect_b32 s31, -1, 0
	s_cmp_ge_u32 s34, s0
	s_cselect_b32 s33, -1, 0
	s_cmp_eq_u32 s30, s1
	s_cselect_b32 s30, s33, s31
	s_add_u32 s31, s5, 1
	s_addc_u32 s33, s9, 0
	s_add_u32 s34, s5, 2
	s_addc_u32 s35, s9, 0
	s_cmp_lg_u32 s30, 0
	s_cselect_b32 s30, s34, s31
	s_cselect_b32 s31, s35, s33
	s_cmp_lg_u64 s[28:29], 0
	s_subb_u32 s25, s27, s25
	s_cmp_ge_u32 s25, s1
	s_cselect_b32 s27, -1, 0
	s_cmp_ge_u32 s26, s0
	s_cselect_b32 s0, -1, 0
	s_cmp_eq_u32 s25, s1
	s_cselect_b32 s0, s0, s27
	s_cmp_lg_u32 s0, 0
	s_cselect_b32 s1, s31, s9
	s_cselect_b32 s0, s30, s5
	s_xor_b64 s[6:7], s[6:7], 0
	s_xor_b64 s[0:1], s[0:1], s[6:7]
	s_sub_u32 s6, s0, s6
	s_cbranch_execnz .LBB22_11
.LBB22_10:
	s_sub_i32 s0, 0, s22
	v_readfirstlane_b32 s1, v4
	s_mul_i32 s0, s0, s1
	s_mul_hi_u32 s0, s1, s0
	s_add_i32 s1, s1, s0
	s_mul_hi_u32 s0, s8, s1
	s_mul_i32 s5, s0, s22
	s_sub_i32 s5, s8, s5
	s_add_i32 s1, s0, 1
	s_sub_i32 s6, s5, s22
	s_cmp_ge_u32 s5, s22
	s_cselect_b32 s0, s1, s0
	s_cselect_b32 s5, s6, s5
	s_add_i32 s1, s0, 1
	s_cmp_ge_u32 s5, s22
	s_cselect_b32 s6, s1, s0
.LBB22_11:
	s_cmp_lg_u32 s10, s6
	s_mov_b64 s[8:9], -1
                                        ; implicit-def: $sgpr0_sgpr1
                                        ; implicit-def: $vgpr10
                                        ; implicit-def: $vgpr8
                                        ; implicit-def: $vgpr9
                                        ; implicit-def: $sgpr5
                                        ; implicit-def: $sgpr7
	s_cbranch_scc1 .LBB22_14
; %bb.12:
	s_andn2_b64 vcc, exec, s[8:9]
	s_cbranch_vccz .LBB22_17
.LBB22_13:
	s_andn2_b64 vcc, exec, s[0:1]
	s_cbranch_vccnz .LBB22_18
	s_branch .LBB22_22
.LBB22_14:
	s_add_i32 s0, s24, s22
	s_lshl_b32 s0, s0, 3
	s_add_i32 s0, s0, s15
	s_mov_b32 s1, s4
	s_lshl_b64 s[0:1], s[0:1], 3
	s_add_u32 s8, s18, s0
	s_mul_hi_u32 s0, s6, s12
	s_addc_u32 s9, s19, s1
	s_add_i32 s0, s0, s6
	s_lshr_b32 s5, s0, s13
	s_mul_i32 s0, s5, s14
	s_cmp_eq_u32 s0, s6
	s_cselect_b64 s[0:1], -1, 0
	s_cmp_lt_u32 s5, s11
	s_cselect_b64 s[26:27], -1, 0
	s_or_b64 s[26:27], s[26:27], s[0:1]
	s_mov_b64 s[0:1], -1
	s_and_b64 vcc, exec, s[26:27]
	s_mov_b32 s5, s24
	s_mov_b32 s7, s10
	s_cbranch_vccnz .LBB22_16
; %bb.15:
	s_add_i32 s5, s24, -1
	s_mov_b64 s[0:1], 0
	s_mov_b32 s7, s6
.LBB22_16:
	v_lshl_add_u32 v8, s24, 11, v0
	v_ashrrev_i32_e32 v9, 31, v8
	v_lshlrev_b64 v[8:9], 2, v[8:9]
	v_mov_b32_e32 v10, s21
	v_add_co_u32_e32 v8, vcc, s20, v8
	v_addc_co_u32_e32 v9, vcc, v10, v9, vcc
	global_load_dword v10, v[8:9], off
	s_load_dwordx2 s[8:9], s[8:9], 0x0
	v_max_f32_e32 v8, v7, v7
	s_waitcnt lgkmcnt(0)
	v_max_f32_e64 v9, s8, s8
	v_max_f32_e32 v8, v8, v9
	v_sub_f32_e32 v9, v7, v8
	v_sub_f32_e32 v11, s8, v8
	v_mul_f32_e32 v12, 0x3fb8aa3b, v9
	v_mul_f32_e32 v13, 0x3fb8aa3b, v11
	v_fma_f32 v14, v9, s2, -v12
	v_rndne_f32_e32 v15, v12
	v_fma_f32 v16, v11, s2, -v13
	v_rndne_f32_e32 v17, v13
	v_fmac_f32_e32 v14, 0x32a5705f, v9
	v_sub_f32_e32 v12, v12, v15
	v_fmac_f32_e32 v16, 0x32a5705f, v11
	v_sub_f32_e32 v13, v13, v17
	v_add_f32_e32 v12, v12, v14
	v_cvt_i32_f32_e32 v15, v15
	v_add_f32_e32 v13, v13, v16
	v_exp_f32_e32 v12, v12
	v_cvt_i32_f32_e32 v17, v17
	v_exp_f32_e32 v13, v13
	v_cmp_ngt_f32_e32 vcc, s16, v9
	v_ldexp_f32 v12, v12, v15
	v_cndmask_b32_e32 v12, 0, v12, vcc
	v_ldexp_f32 v13, v13, v17
	v_cmp_ngt_f32_e32 vcc, s16, v11
	v_cndmask_b32_e32 v13, 0, v13, vcc
	v_cmp_nlt_f32_e32 vcc, s17, v9
	v_cndmask_b32_e32 v12, v5, v12, vcc
	v_cmp_nlt_f32_e32 vcc, s17, v11
	v_cndmask_b32_e32 v13, v5, v13, vcc
	v_cmp_le_f32_e32 vcc, s23, v9
	v_cndmask_b32_e32 v12, 0, v12, vcc
	v_cmp_le_f32_e32 vcc, s23, v11
	v_cndmask_b32_e32 v11, 0, v13, vcc
	v_mul_f32_e32 v9, s9, v11
	v_fmac_f32_e32 v9, v6, v12
	s_waitcnt vmcnt(0)
	v_mul_f32_e32 v10, v10, v11
	v_fmac_f32_e32 v10, v3, v12
	s_cbranch_execnz .LBB22_13
.LBB22_17:
	s_add_i32 s5, s24, -1
	s_mov_b32 s7, s10
	v_mov_b32_e32 v9, v6
	v_mov_b32_e32 v8, v7
	s_waitcnt vmcnt(0)
	v_mov_b32_e32 v10, v3
	s_cbranch_execz .LBB22_22
.LBB22_18:
	s_mov_b32 s10, s7
	s_mov_b32 s24, s5
	v_mov_b32_e32 v6, v9
	v_mov_b32_e32 v7, v8
	s_waitcnt vmcnt(0)
	v_mov_b32_e32 v3, v10
	s_mul_hi_i32 s5, s24, s3
	s_cmp_lg_u64 s[4:5], 0
	s_mul_i32 s8, s24, s3
	s_cbranch_scc1 .LBB22_9
.LBB22_19:
                                        ; implicit-def: $sgpr6_sgpr7
	s_branch .LBB22_10
.LBB22_20:
                                        ; implicit-def: $sgpr10_sgpr11
	s_load_dwordx4 s[12:15], s[4:5], 0x44
	s_branch .LBB22_2
.LBB22_21:
                                        ; implicit-def: $sgpr18_sgpr19
	s_branch .LBB22_5
.LBB22_22:
	v_div_scale_f32 v0, s[0:1], v9, v9, v10
	s_waitcnt vmcnt(0)
	v_div_scale_f32 v3, vcc, v10, v9, v10
	v_rcp_f32_e32 v4, v0
	v_fma_f32 v5, -v0, v4, 1.0
	v_fmac_f32_e32 v4, v5, v4
	v_mul_f32_e32 v5, v3, v4
	v_fma_f32 v6, -v0, v5, v3
	v_fmac_f32_e32 v5, v6, v4
	v_fma_f32 v0, -v0, v5, v3
	v_div_fmas_f32 v0, v0, v4, v5
	v_div_fixup_f32 v0, v0, v9, v10
	global_store_dword v[1:2], v0, off
.LBB22_23:
	s_endpgm
	.section	.rodata,"a",@progbits
	.p2align	6, 0x0
	.amdhsa_kernel _ZL33flash_attn_stream_k_fixup_generalILi256ELi2ELi4EEvPfPK15HIP_vector_typeIfLj2EEiiiiS1_IjLj3EES5_S5_S5_
		.amdhsa_group_segment_fixed_size 0
		.amdhsa_private_segment_fixed_size 0
		.amdhsa_kernarg_size 336
		.amdhsa_user_sgpr_count 6
		.amdhsa_user_sgpr_private_segment_buffer 1
		.amdhsa_user_sgpr_dispatch_ptr 0
		.amdhsa_user_sgpr_queue_ptr 0
		.amdhsa_user_sgpr_kernarg_segment_ptr 1
		.amdhsa_user_sgpr_dispatch_id 0
		.amdhsa_user_sgpr_flat_scratch_init 0
		.amdhsa_user_sgpr_private_segment_size 0
		.amdhsa_uses_dynamic_stack 0
		.amdhsa_system_sgpr_private_segment_wavefront_offset 0
		.amdhsa_system_sgpr_workgroup_id_x 1
		.amdhsa_system_sgpr_workgroup_id_y 1
		.amdhsa_system_sgpr_workgroup_id_z 1
		.amdhsa_system_sgpr_workgroup_info 0
		.amdhsa_system_vgpr_workitem_id 0
		.amdhsa_next_free_vgpr 18
		.amdhsa_next_free_sgpr 36
		.amdhsa_reserve_vcc 1
		.amdhsa_reserve_flat_scratch 0
		.amdhsa_float_round_mode_32 0
		.amdhsa_float_round_mode_16_64 0
		.amdhsa_float_denorm_mode_32 3
		.amdhsa_float_denorm_mode_16_64 3
		.amdhsa_dx10_clamp 1
		.amdhsa_ieee_mode 1
		.amdhsa_fp16_overflow 0
		.amdhsa_exception_fp_ieee_invalid_op 0
		.amdhsa_exception_fp_denorm_src 0
		.amdhsa_exception_fp_ieee_div_zero 0
		.amdhsa_exception_fp_ieee_overflow 0
		.amdhsa_exception_fp_ieee_underflow 0
		.amdhsa_exception_fp_ieee_inexact 0
		.amdhsa_exception_int_div_zero 0
	.end_amdhsa_kernel
	.section	.text._ZL33flash_attn_stream_k_fixup_generalILi256ELi2ELi4EEvPfPK15HIP_vector_typeIfLj2EEiiiiS1_IjLj3EES5_S5_S5_,"axG",@progbits,_ZL33flash_attn_stream_k_fixup_generalILi256ELi2ELi4EEvPfPK15HIP_vector_typeIfLj2EEiiiiS1_IjLj3EES5_S5_S5_,comdat
.Lfunc_end22:
	.size	_ZL33flash_attn_stream_k_fixup_generalILi256ELi2ELi4EEvPfPK15HIP_vector_typeIfLj2EEiiiiS1_IjLj3EES5_S5_S5_, .Lfunc_end22-_ZL33flash_attn_stream_k_fixup_generalILi256ELi2ELi4EEvPfPK15HIP_vector_typeIfLj2EEiiiiS1_IjLj3EES5_S5_S5_
                                        ; -- End function
	.set _ZL33flash_attn_stream_k_fixup_generalILi256ELi2ELi4EEvPfPK15HIP_vector_typeIfLj2EEiiiiS1_IjLj3EES5_S5_S5_.num_vgpr, 18
	.set _ZL33flash_attn_stream_k_fixup_generalILi256ELi2ELi4EEvPfPK15HIP_vector_typeIfLj2EEiiiiS1_IjLj3EES5_S5_S5_.num_agpr, 0
	.set _ZL33flash_attn_stream_k_fixup_generalILi256ELi2ELi4EEvPfPK15HIP_vector_typeIfLj2EEiiiiS1_IjLj3EES5_S5_S5_.numbered_sgpr, 36
	.set _ZL33flash_attn_stream_k_fixup_generalILi256ELi2ELi4EEvPfPK15HIP_vector_typeIfLj2EEiiiiS1_IjLj3EES5_S5_S5_.num_named_barrier, 0
	.set _ZL33flash_attn_stream_k_fixup_generalILi256ELi2ELi4EEvPfPK15HIP_vector_typeIfLj2EEiiiiS1_IjLj3EES5_S5_S5_.private_seg_size, 0
	.set _ZL33flash_attn_stream_k_fixup_generalILi256ELi2ELi4EEvPfPK15HIP_vector_typeIfLj2EEiiiiS1_IjLj3EES5_S5_S5_.uses_vcc, 1
	.set _ZL33flash_attn_stream_k_fixup_generalILi256ELi2ELi4EEvPfPK15HIP_vector_typeIfLj2EEiiiiS1_IjLj3EES5_S5_S5_.uses_flat_scratch, 0
	.set _ZL33flash_attn_stream_k_fixup_generalILi256ELi2ELi4EEvPfPK15HIP_vector_typeIfLj2EEiiiiS1_IjLj3EES5_S5_S5_.has_dyn_sized_stack, 0
	.set _ZL33flash_attn_stream_k_fixup_generalILi256ELi2ELi4EEvPfPK15HIP_vector_typeIfLj2EEiiiiS1_IjLj3EES5_S5_S5_.has_recursion, 0
	.set _ZL33flash_attn_stream_k_fixup_generalILi256ELi2ELi4EEvPfPK15HIP_vector_typeIfLj2EEiiiiS1_IjLj3EES5_S5_S5_.has_indirect_call, 0
	.section	.AMDGPU.csdata,"",@progbits
; Kernel info:
; codeLenInByte = 2940
; TotalNumSgprs: 40
; NumVgprs: 18
; ScratchSize: 0
; MemoryBound: 0
; FloatMode: 240
; IeeeMode: 1
; LDSByteSize: 0 bytes/workgroup (compile time only)
; SGPRBlocks: 4
; VGPRBlocks: 4
; NumSGPRsForWavesPerEU: 40
; NumVGPRsForWavesPerEU: 18
; Occupancy: 10
; WaveLimiterHint : 0
; COMPUTE_PGM_RSRC2:SCRATCH_EN: 0
; COMPUTE_PGM_RSRC2:USER_SGPR: 6
; COMPUTE_PGM_RSRC2:TRAP_HANDLER: 0
; COMPUTE_PGM_RSRC2:TGID_X_EN: 1
; COMPUTE_PGM_RSRC2:TGID_Y_EN: 1
; COMPUTE_PGM_RSRC2:TGID_Z_EN: 1
; COMPUTE_PGM_RSRC2:TIDIG_COMP_CNT: 0
	.section	.text._ZL15flash_attn_tileILi256ELi256ELi1ELi4ELb0EEvPKcS1_S1_S1_S1_PKiPfP15HIP_vector_typeIfLj2EEffffjfiS5_IjLj3EEiiiiiiiiiiiliiliiiiil,"axG",@progbits,_ZL15flash_attn_tileILi256ELi256ELi1ELi4ELb0EEvPKcS1_S1_S1_S1_PKiPfP15HIP_vector_typeIfLj2EEffffjfiS5_IjLj3EEiiiiiiiiiiiliiliiiiil,comdat
	.globl	_ZL15flash_attn_tileILi256ELi256ELi1ELi4ELb0EEvPKcS1_S1_S1_S1_PKiPfP15HIP_vector_typeIfLj2EEffffjfiS5_IjLj3EEiiiiiiiiiiiliiliiiiil ; -- Begin function _ZL15flash_attn_tileILi256ELi256ELi1ELi4ELb0EEvPKcS1_S1_S1_S1_PKiPfP15HIP_vector_typeIfLj2EEffffjfiS5_IjLj3EEiiiiiiiiiiiliiliiiiil
	.p2align	8
	.type	_ZL15flash_attn_tileILi256ELi256ELi1ELi4ELb0EEvPKcS1_S1_S1_S1_PKiPfP15HIP_vector_typeIfLj2EEffffjfiS5_IjLj3EEiiiiiiiiiiiliiliiiiil,@function
_ZL15flash_attn_tileILi256ELi256ELi1ELi4ELb0EEvPKcS1_S1_S1_S1_PKiPfP15HIP_vector_typeIfLj2EEffffjfiS5_IjLj3EEiiiiiiiiiiiliiliiiiil: ; @_ZL15flash_attn_tileILi256ELi256ELi1ELi4ELb0EEvPKcS1_S1_S1_S1_PKiPfP15HIP_vector_typeIfLj2EEffffjfiS5_IjLj3EEiiiiiiiiiiiliiliiiiil
; %bb.0:
	s_load_dwordx4 s[0:3], s[4:5], 0x5c
	s_load_dwordx2 s[28:29], s[4:5], 0x80
	s_load_dwordx2 s[34:35], s[4:5], 0xb8
	s_mov_b64 s[30:31], 0
	s_waitcnt lgkmcnt(0)
	s_ashr_i32 s9, s3, 31
	s_lshr_b32 s9, s9, 30
	s_add_i32 s9, s3, s9
	s_ashr_i32 s9, s9, 2
	v_cvt_f32_u32_e32 v2, s9
	s_sub_i32 s10, 0, s9
	v_rcp_iflag_f32_e32 v2, v2
	v_mul_f32_e32 v2, 0x4f7ffffe, v2
	v_cvt_u32_f32_e32 v2, v2
	v_readfirstlane_b32 s11, v2
	s_mul_i32 s10, s10, s11
	s_mul_hi_u32 s10, s11, s10
	s_add_i32 s11, s11, s10
	s_mul_hi_u32 s10, s8, s11
	s_mul_i32 s11, s10, s9
	s_sub_i32 s11, s8, s11
	s_add_i32 s12, s10, 1
	s_sub_i32 s13, s11, s9
	s_cmp_ge_u32 s11, s9
	s_cselect_b32 s10, s12, s10
	s_cselect_b32 s11, s13, s11
	s_add_i32 s12, s10, 1
	s_cmp_ge_u32 s11, s9
	s_cselect_b32 s33, s12, s10
	s_abs_i32 s9, s29
	v_cvt_f32_u32_e32 v2, s9
	s_lshl_b32 s8, s8, 2
	s_mul_i32 s12, s33, s3
	s_xor_b32 s10, s3, s29
	v_rcp_iflag_f32_e32 v2, v2
	s_sub_i32 s13, 0, s9
	s_sub_i32 s29, s8, s12
	s_abs_i32 s11, s3
	v_mul_f32_e32 v2, 0x4f7ffffe, v2
	v_cvt_u32_f32_e32 v2, v2
	s_ashr_i32 s10, s10, 31
	v_readfirstlane_b32 s8, v2
	s_mul_i32 s13, s13, s8
	s_mul_hi_u32 s12, s8, s13
	s_add_i32 s8, s8, s12
	s_mul_hi_u32 s8, s11, s8
	s_mul_i32 s12, s8, s9
	s_sub_i32 s11, s11, s12
	s_add_i32 s13, s8, 1
	s_sub_i32 s12, s11, s9
	s_cmp_ge_u32 s11, s9
	s_cselect_b32 s8, s13, s8
	s_cselect_b32 s11, s12, s11
	s_add_i32 s12, s8, 1
	s_cmp_ge_u32 s11, s9
	s_cselect_b32 s8, s12, s8
	s_xor_b32 s8, s8, s10
	s_sub_i32 s37, s8, s10
	s_abs_i32 s36, s37
	v_cvt_f32_u32_e32 v2, s36
	s_load_dwordx16 s[8:23], s[4:5], 0x0
	v_rcp_iflag_f32_e32 v2, v2
	s_waitcnt lgkmcnt(0)
	s_cmp_eq_u64 s[14:15], 0
	v_mul_f32_e32 v2, 0x4f7ffffe, v2
	v_cvt_u32_f32_e32 v2, v2
	v_readfirstlane_b32 s38, v2
	s_cbranch_scc1 .LBB23_2
; %bb.1:
	s_abs_i32 s26, s34
	v_cvt_f32_u32_e32 v2, s26
	s_sub_i32 s31, 0, s26
	s_abs_i32 s30, s33
	s_ashr_i32 s27, s33, 31
	v_rcp_iflag_f32_e32 v2, v2
	s_load_dwordx2 s[24:25], s[4:5], 0xc8
	v_mul_f32_e32 v2, 0x4f7ffffe, v2
	v_cvt_u32_f32_e32 v2, v2
	v_readfirstlane_b32 s34, v2
	s_mul_i32 s31, s31, s34
	s_mul_hi_u32 s31, s34, s31
	s_add_i32 s34, s34, s31
	s_mul_hi_u32 s31, s30, s34
	s_mul_i32 s31, s31, s26
	s_sub_i32 s30, s30, s31
	s_sub_i32 s31, s30, s26
	s_cmp_ge_u32 s30, s26
	s_cselect_b32 s30, s31, s30
	s_sub_i32 s31, s30, s26
	s_cmp_ge_u32 s30, s26
	s_cselect_b32 s26, s31, s30
	s_xor_b32 s26, s26, s27
	s_sub_i32 s26, s26, s27
	s_ashr_i32 s27, s26, 31
	s_waitcnt lgkmcnt(0)
	s_mul_hi_u32 s30, s24, s26
	s_mul_i32 s27, s24, s27
	s_mul_i32 s25, s25, s26
	s_add_i32 s27, s30, s27
	s_add_i32 s27, s27, s25
	s_mul_i32 s24, s24, s26
	s_add_u32 s30, s14, s24
	s_addc_u32 s31, s15, s27
.LBB23_2:
	s_load_dwordx4 s[24:27], s[4:5], 0x70
	v_lshrrev_b32_e32 v2, 3, v1
	v_add_u32_e32 v31, s6, v2
	v_mul_hi_u32 v2, s0, v31
	v_bfe_u32 v33, v1, 1, 2
	s_waitcnt lgkmcnt(0)
	s_mul_i32 s14, s33, s26
	s_ashr_i32 s26, s14, 31
	s_mul_i32 s15, s29, s25
	s_add_u32 s8, s8, s14
	s_addc_u32 s9, s9, s26
	s_ashr_i32 s14, s15, 31
	v_add_u32_e32 v2, v31, v2
	s_add_u32 s26, s8, s15
	v_lshrrev_b32_e32 v2, s1, v2
	s_addc_u32 s27, s9, s14
	s_ashr_i32 s9, s25, 31
	s_mov_b32 s8, s25
	v_mul_lo_u32 v2, v2, s2
	s_lshr_b64 s[14:15], s[8:9], 2
	v_mad_u64_u32 v[4:5], s[0:1], s14, v33, 0
	s_ashr_i32 s25, s24, 31
	v_sub_u32_e32 v3, v31, v2
	s_lshr_b64 s[0:1], s[24:25], 2
	v_mad_u64_u32 v[6:7], s[0:1], s0, v3, 0
	s_lshr_b32 s8, s9, 2
	v_mov_b32_e32 v2, v5
	v_mad_u64_u32 v[8:9], s[0:1], s8, v33, v[2:3]
	v_mov_b32_e32 v2, v7
	s_lshr_b32 s0, s25, 2
	v_mad_u64_u32 v[9:10], s[0:1], s0, v3, v[2:3]
	v_mov_b32_e32 v5, v8
	v_lshlrev_b64 v[4:5], 2, v[4:5]
	v_mov_b32_e32 v7, v9
	v_mov_b32_e32 v2, s27
	v_add_co_u32_e32 v8, vcc, s26, v4
	v_addc_co_u32_e32 v2, vcc, v2, v5, vcc
	v_lshlrev_b64 v[4:5], 2, v[6:7]
	v_lshlrev_b32_e32 v34, 4, v0
	v_add_co_u32_e32 v4, vcc, v8, v4
	v_addc_co_u32_e32 v2, vcc, v2, v5, vcc
	v_lshlrev_b32_e32 v5, 9, v1
	v_and_b32_e32 v5, 0x200, v5
	v_add_co_u32_e32 v4, vcc, v4, v5
	v_addc_co_u32_e32 v2, vcc, 0, v2, vcc
	v_add_co_u32_e32 v4, vcc, v4, v34
	v_addc_co_u32_e32 v5, vcc, 0, v2, vcc
	global_load_dwordx4 v[5:8], v[4:5], off
	s_load_dword s0, s[4:5], 0x40
	v_lshlrev_b32_e32 v9, 8, v1
	v_lshrrev_b32_e32 v2, 1, v1
	v_and_b32_e32 v9, 0x100, v9
	v_lshlrev_b32_e32 v4, 3, v0
	v_lshl_or_b32 v2, v2, 9, v9
	v_add_u32_e32 v2, v2, v4
	s_cmp_eq_u64 s[18:19], 0
	s_waitcnt vmcnt(0) lgkmcnt(0)
	v_fma_mixlo_f16 v5, s0, v5, 0
	v_fma_mixlo_f16 v6, s0, v6, 0
	;; [unrolled: 1-line block ×4, first 2 shown]
	v_lshlrev_b32_e32 v6, 16, v6
	v_and_b32_e32 v5, 0xffff, v5
	v_lshlrev_b32_e32 v8, 16, v8
	v_and_b32_e32 v7, 0xffff, v7
	v_or_b32_e32 v5, v6, v5
	v_or3_b32 v6, v8, v7, 0
	v_or3_b32 v5, 0, 0, v5
	ds_write_b64 v2, v[5:6] offset:17408
	s_waitcnt lgkmcnt(0)
	s_barrier
	s_cbranch_scc1 .LBB23_4
; %bb.3:
	s_load_dword s0, s[4:5], 0xd0
	s_mov_b32 s1, 0
	s_waitcnt lgkmcnt(0)
	s_mul_i32 s0, s0, s33
	s_add_i32 s0, s0, s6
	s_lshl_b64 s[0:1], s[0:1], 2
	s_add_u32 s0, s18, s0
	s_addc_u32 s1, s19, s1
	s_load_dword s28, s[0:1], 0x0
.LBB23_4:
	s_lshl_b32 s6, s7, 6
	v_lshlrev_b32_e32 v32, 2, v0
	s_waitcnt lgkmcnt(0)
	s_cmp_lt_i32 s6, s28
	v_mbcnt_lo_u32_b32 v5, -1, 0
	v_and_b32_e32 v35, 1, v1
	s_cbranch_scc1 .LBB23_7
; %bb.5:
	v_mbcnt_hi_u32_b32 v36, -1, v5
	v_and_b32_e32 v2, 0x60, v36
	v_add_u32_e32 v37, 32, v2
	v_xor_b32_e32 v42, 16, v36
	v_xor_b32_e32 v41, 8, v36
	;; [unrolled: 1-line block ×5, first 2 shown]
	v_and_b32_e32 v6, 1, v1
	v_cmp_eq_u32_e64 s[0:1], 0, v0
	s_cbranch_execz .LBB23_8
; %bb.6:
	v_mov_b32_e32 v5, 0
	v_mov_b32_e32 v50, 0
	;; [unrolled: 1-line block ×6, first 2 shown]
	s_branch .LBB23_14
.LBB23_7:
                                        ; implicit-def: $vgpr36
                                        ; implicit-def: $vgpr37
                                        ; implicit-def: $vgpr42
                                        ; implicit-def: $vgpr41
                                        ; implicit-def: $vgpr40
                                        ; implicit-def: $vgpr39
                                        ; implicit-def: $vgpr38
                                        ; implicit-def: $vgpr6
	v_cmp_eq_u32_e64 s[0:1], 0, v0
.LBB23_8:
	s_sub_i32 s8, 0, s36
	s_mul_i32 s8, s8, s38
	s_mul_hi_u32 s8, s38, s8
	s_add_i32 s38, s38, s8
	s_load_dwordx2 s[8:9], s[4:5], 0x8c
	s_load_dwordx4 s[24:27], s[4:5], 0x98
	s_abs_i32 s18, s29
	s_mul_hi_u32 s19, s18, s38
	s_ashr_i32 s34, s29, 31
	s_waitcnt lgkmcnt(0)
	s_ashr_i32 s15, s8, 2
	s_ashr_i32 s8, s33, 31
	;; [unrolled: 1-line block ×4, first 2 shown]
	s_mul_hi_u32 s35, s24, s33
	s_mul_i32 s40, s24, s8
	s_add_i32 s35, s35, s40
	s_mul_i32 s25, s25, s33
	s_ashr_i32 s37, s37, 31
	s_add_i32 s35, s35, s25
	s_mul_i32 s24, s24, s33
	s_add_u32 s10, s10, s24
	s_mul_i32 s25, s19, s36
	s_addc_u32 s11, s11, s35
	s_sub_i32 s18, s18, s25
	s_xor_b32 s24, s34, s37
	s_add_i32 s25, s19, 1
	s_sub_i32 s34, s18, s36
	s_cmp_ge_u32 s18, s36
	s_cselect_b32 s19, s25, s19
	s_cselect_b32 s18, s34, s18
	s_add_i32 s25, s19, 1
	s_cmp_ge_u32 s18, s36
	s_load_dwordx2 s[38:39], s[4:5], 0xa8
	s_cselect_b32 s18, s25, s19
	s_xor_b32 s18, s18, s24
	s_sub_i32 s24, s18, s24
	s_mul_i32 s9, s24, s9
	s_ashr_i32 s19, s9, 31
	s_add_u32 s18, s10, s9
	s_waitcnt lgkmcnt(0)
	s_mul_hi_u32 s9, s38, s33
	s_mul_i32 s8, s38, s8
	s_addc_u32 s19, s11, s19
	s_add_i32 s8, s9, s8
	s_mul_i32 s9, s39, s33
	s_add_i32 s8, s8, s9
	s_mul_i32 s9, s38, s33
	v_lshrrev_b32_e32 v2, 4, v0
	s_add_u32 s9, s12, s9
	s_mul_i32 s24, s24, s27
	v_lshl_add_u32 v6, v1, 1, v2
	s_addc_u32 s8, s13, s8
	s_ashr_i32 s10, s24, 31
	v_mul_lo_u32 v8, s15, v6
	s_add_u32 s12, s9, s24
	v_and_b32_e32 v24, 60, v32
	s_addc_u32 s13, s8, s10
	v_lshlrev_b32_e32 v9, 2, v24
	s_movk_i32 s8, 0x110
	v_mad_u32_u24 v43, v6, s8, v9
	s_lshl_b32 s8, s15, 4
	v_lshlrev_b32_e32 v6, 5, v1
	v_lshlrev_b32_e32 v7, 6, v1
	v_add_u32_e32 v10, s8, v8
	v_and_b32_e32 v16, 32, v6
	v_add_u32_e32 v12, s8, v10
	v_add_u32_e32 v6, v16, v0
	v_and_b32_e32 v17, 0x3f80, v7
	v_mov_b32_e32 v7, 0x4400
	v_add_u32_e32 v14, s8, v12
	v_mul_u32_u24_e32 v47, 0x110, v6
	v_lshl_add_u32 v48, v17, 2, v7
	v_mad_u64_u32 v[6:7], s[8:9], v3, s26, v[6:7]
	v_and_b32_e32 v7, 1, v0
	s_movk_i32 s8, 0xfe
	v_mov_b32_e32 v3, 0x4e00
	v_and_or_b32 v7, v1, s8, v7
	v_lshl_add_u32 v49, v1, 2, v3
	v_lshl_add_u32 v51, v7, 2, v3
	v_add_u32_e32 v3, 0x4c00, v17
	v_lshl_or_b32 v7, v16, 1, v3
	v_mul_lo_u32 v16, s14, v1
	s_lshl_b32 s8, s14, 3
	v_ashrrev_i32_e32 v9, 31, v8
	v_ashrrev_i32_e32 v11, 31, v10
	v_add_u32_e32 v18, s8, v16
	v_add_u32_e32 v20, s8, v18
	;; [unrolled: 1-line block ×3, first 2 shown]
	v_ashrrev_i32_e32 v13, 31, v12
	v_ashrrev_i32_e32 v15, 31, v14
	v_lshlrev_b32_e32 v53, 2, v32
	v_ashrrev_i32_e32 v17, 31, v16
	v_ashrrev_i32_e32 v19, 31, v18
	;; [unrolled: 1-line block ×4, first 2 shown]
	v_mbcnt_hi_u32_b32 v36, -1, v5
	v_mov_b32_e32 v2, 0
	v_lshl_add_u32 v52, v0, 1, v7
	v_lshl_add_u32 v54, v1, 9, v53
	v_lshl_or_b32 v58, v35, 1, v3
	s_add_u32 s8, s4, 0xd0
	v_lshlrev_b64 v[7:8], 2, v[8:9]
	v_lshlrev_b64 v[9:10], 2, v[10:11]
	;; [unrolled: 1-line block ×4, first 2 shown]
	v_and_b32_e32 v3, 0x60, v36
	v_lshlrev_b64 v[15:16], 2, v[16:17]
	v_lshlrev_b64 v[17:18], 2, v[18:19]
	;; [unrolled: 1-line block ×4, first 2 shown]
	v_add_u32_e32 v44, 0x1100, v43
	v_add_u32_e32 v45, 0x2200, v43
	;; [unrolled: 1-line block ×6, first 2 shown]
	v_lshl_add_u32 v59, v35, 9, v4
	s_addc_u32 s9, s5, 0
	v_mov_b32_e32 v63, 0xfeffffff
	v_lshlrev_b32_e32 v60, 2, v24
	v_mov_b32_e32 v61, s31
	v_add_u32_e32 v37, 32, v3
	v_xor_b32_e32 v42, 16, v36
	v_xor_b32_e32 v41, 8, v36
	;; [unrolled: 1-line block ×5, first 2 shown]
	s_mov_b32 s24, 0x3fb8aa3b
	s_mov_b32 s25, 0xc2ce8ed0
	;; [unrolled: 1-line block ×3, first 2 shown]
	v_mov_b32_e32 v62, 0x7f800000
	v_mov_b32_e32 v3, v2
	;; [unrolled: 1-line block ×5, first 2 shown]
.LBB23_9:                               ; =>This Inner Loop Header: Depth=1
	s_mul_hi_i32 s11, s6, s15
	s_mul_i32 s10, s6, s15
	s_lshl_b64 s[10:11], s[10:11], 2
	s_add_u32 s10, s18, s10
	s_addc_u32 s11, s19, s11
	v_mov_b32_e32 v23, s11
	v_add_co_u32_e32 v24, vcc, s10, v7
	v_addc_co_u32_e32 v25, vcc, v23, v8, vcc
	v_add_co_u32_e32 v23, vcc, v24, v60
	v_addc_co_u32_e32 v24, vcc, 0, v25, vcc
	v_mov_b32_e32 v25, s11
	v_add_co_u32_e32 v26, vcc, s10, v9
	v_addc_co_u32_e32 v27, vcc, v25, v10, vcc
	v_add_co_u32_e32 v25, vcc, v26, v60
	v_addc_co_u32_e32 v26, vcc, 0, v27, vcc
	;; [unrolled: 5-line block ×3, first 2 shown]
	v_mov_b32_e32 v29, s11
	v_add_co_u32_e32 v30, vcc, s10, v13
	v_addc_co_u32_e32 v72, vcc, v29, v14, vcc
	v_add_co_u32_e32 v29, vcc, v30, v60
	global_load_dwordx4 v[64:67], v[23:24], off
	global_load_dwordx4 v[68:71], v[25:26], off
	v_addc_co_u32_e32 v30, vcc, 0, v72, vcc
	global_load_dwordx4 v[72:75], v[27:28], off
	global_load_dwordx4 v[76:79], v[29:30], off
	s_waitcnt vmcnt(3)
	ds_write_b128 v43, v[64:67]
	s_waitcnt vmcnt(2)
	ds_write_b128 v44, v[68:71]
	;; [unrolled: 2-line block ×4, first 2 shown]
	s_waitcnt lgkmcnt(0)
	s_barrier
	ds_read_b128 v[65:68], v47
	ds_read_b128 v[69:72], v48
	v_mov_b32_e32 v64, 0
	s_waitcnt lgkmcnt(0)
	;;#ASMSTART
	v_dot2_f32_f16 v64, v65, v69, v64
	;;#ASMEND
	;;#ASMSTART
	v_dot2_f32_f16 v64, v66, v70, v64
	;;#ASMEND
	;;#ASMSTART
	v_dot2_f32_f16 v64, v67, v71, v64
	;;#ASMEND
	;;#ASMSTART
	v_dot2_f32_f16 v64, v68, v72, v64
	;;#ASMEND
	ds_read_b128 v[65:68], v47 offset:16
	ds_read_b128 v[69:72], v48 offset:16
	s_waitcnt lgkmcnt(0)
	;;#ASMSTART
	v_dot2_f32_f16 v64, v65, v69, v64
	;;#ASMEND
	;;#ASMSTART
	v_dot2_f32_f16 v64, v66, v70, v64
	;;#ASMEND
	;;#ASMSTART
	v_dot2_f32_f16 v64, v67, v71, v64
	;;#ASMEND
	;;#ASMSTART
	v_dot2_f32_f16 v64, v68, v72, v64
	;;#ASMEND
	ds_read_b128 v[65:68], v47 offset:32
	ds_read_b128 v[69:72], v48 offset:32
	s_waitcnt lgkmcnt(0)
	;;#ASMSTART
	v_dot2_f32_f16 v64, v65, v69, v64
	;;#ASMEND
	;;#ASMSTART
	v_dot2_f32_f16 v64, v66, v70, v64
	;;#ASMEND
	;;#ASMSTART
	v_dot2_f32_f16 v64, v67, v71, v64
	;;#ASMEND
	;;#ASMSTART
	v_dot2_f32_f16 v64, v68, v72, v64
	;;#ASMEND
	ds_read_b128 v[65:68], v47 offset:48
	ds_read_b128 v[69:72], v48 offset:48
	s_waitcnt lgkmcnt(0)
	;;#ASMSTART
	v_dot2_f32_f16 v64, v65, v69, v64
	;;#ASMEND
	;;#ASMSTART
	v_dot2_f32_f16 v64, v66, v70, v64
	;;#ASMEND
	;;#ASMSTART
	v_dot2_f32_f16 v64, v67, v71, v64
	;;#ASMEND
	;;#ASMSTART
	v_dot2_f32_f16 v64, v68, v72, v64
	;;#ASMEND
	ds_read_b128 v[65:68], v47 offset:64
	ds_read_b128 v[69:72], v48 offset:64
	s_waitcnt lgkmcnt(0)
	;;#ASMSTART
	v_dot2_f32_f16 v64, v65, v69, v64
	;;#ASMEND
	;;#ASMSTART
	v_dot2_f32_f16 v64, v66, v70, v64
	;;#ASMEND
	;;#ASMSTART
	v_dot2_f32_f16 v64, v67, v71, v64
	;;#ASMEND
	;;#ASMSTART
	v_dot2_f32_f16 v64, v68, v72, v64
	;;#ASMEND
	ds_read_b128 v[65:68], v47 offset:80
	ds_read_b128 v[69:72], v48 offset:80
	s_waitcnt lgkmcnt(0)
	;;#ASMSTART
	v_dot2_f32_f16 v64, v65, v69, v64
	;;#ASMEND
	;;#ASMSTART
	v_dot2_f32_f16 v64, v66, v70, v64
	;;#ASMEND
	;;#ASMSTART
	v_dot2_f32_f16 v64, v67, v71, v64
	;;#ASMEND
	;;#ASMSTART
	v_dot2_f32_f16 v64, v68, v72, v64
	;;#ASMEND
	ds_read_b128 v[65:68], v47 offset:96
	ds_read_b128 v[69:72], v48 offset:96
	s_waitcnt lgkmcnt(0)
	;;#ASMSTART
	v_dot2_f32_f16 v64, v65, v69, v64
	;;#ASMEND
	;;#ASMSTART
	v_dot2_f32_f16 v64, v66, v70, v64
	;;#ASMEND
	;;#ASMSTART
	v_dot2_f32_f16 v64, v67, v71, v64
	;;#ASMEND
	;;#ASMSTART
	v_dot2_f32_f16 v64, v68, v72, v64
	;;#ASMEND
	ds_read_b128 v[65:68], v47 offset:112
	ds_read_b128 v[69:72], v48 offset:112
	s_waitcnt lgkmcnt(0)
	;;#ASMSTART
	v_dot2_f32_f16 v64, v65, v69, v64
	;;#ASMEND
	;;#ASMSTART
	v_dot2_f32_f16 v64, v66, v70, v64
	;;#ASMEND
	;;#ASMSTART
	v_dot2_f32_f16 v64, v67, v71, v64
	;;#ASMEND
	;;#ASMSTART
	v_dot2_f32_f16 v64, v68, v72, v64
	;;#ASMEND
	ds_read_b128 v[65:68], v47 offset:128
	ds_read_b128 v[69:72], v48 offset:128
	s_waitcnt lgkmcnt(0)
	;;#ASMSTART
	v_dot2_f32_f16 v64, v65, v69, v64
	;;#ASMEND
	;;#ASMSTART
	v_dot2_f32_f16 v64, v66, v70, v64
	;;#ASMEND
	;;#ASMSTART
	v_dot2_f32_f16 v64, v67, v71, v64
	;;#ASMEND
	;;#ASMSTART
	v_dot2_f32_f16 v64, v68, v72, v64
	;;#ASMEND
	ds_read_b128 v[65:68], v47 offset:144
	ds_read_b128 v[69:72], v48 offset:144
	s_waitcnt lgkmcnt(0)
	;;#ASMSTART
	v_dot2_f32_f16 v64, v65, v69, v64
	;;#ASMEND
	;;#ASMSTART
	v_dot2_f32_f16 v64, v66, v70, v64
	;;#ASMEND
	;;#ASMSTART
	v_dot2_f32_f16 v64, v67, v71, v64
	;;#ASMEND
	;;#ASMSTART
	v_dot2_f32_f16 v64, v68, v72, v64
	;;#ASMEND
	ds_read_b128 v[65:68], v47 offset:160
	ds_read_b128 v[69:72], v48 offset:160
	s_waitcnt lgkmcnt(0)
	;;#ASMSTART
	v_dot2_f32_f16 v64, v65, v69, v64
	;;#ASMEND
	;;#ASMSTART
	v_dot2_f32_f16 v64, v66, v70, v64
	;;#ASMEND
	;;#ASMSTART
	v_dot2_f32_f16 v64, v67, v71, v64
	;;#ASMEND
	;;#ASMSTART
	v_dot2_f32_f16 v64, v68, v72, v64
	;;#ASMEND
	ds_read_b128 v[65:68], v47 offset:176
	ds_read_b128 v[69:72], v48 offset:176
	s_waitcnt lgkmcnt(0)
	;;#ASMSTART
	v_dot2_f32_f16 v64, v65, v69, v64
	;;#ASMEND
	;;#ASMSTART
	v_dot2_f32_f16 v64, v66, v70, v64
	;;#ASMEND
	;;#ASMSTART
	v_dot2_f32_f16 v64, v67, v71, v64
	;;#ASMEND
	;;#ASMSTART
	v_dot2_f32_f16 v64, v68, v72, v64
	;;#ASMEND
	ds_read_b128 v[65:68], v47 offset:192
	ds_read_b128 v[69:72], v48 offset:192
	s_waitcnt lgkmcnt(0)
	;;#ASMSTART
	v_dot2_f32_f16 v64, v65, v69, v64
	;;#ASMEND
	;;#ASMSTART
	v_dot2_f32_f16 v64, v66, v70, v64
	;;#ASMEND
	;;#ASMSTART
	v_dot2_f32_f16 v64, v67, v71, v64
	;;#ASMEND
	;;#ASMSTART
	v_dot2_f32_f16 v64, v68, v72, v64
	;;#ASMEND
	ds_read_b128 v[65:68], v47 offset:208
	ds_read_b128 v[69:72], v48 offset:208
	s_waitcnt lgkmcnt(0)
	;;#ASMSTART
	v_dot2_f32_f16 v64, v65, v69, v64
	;;#ASMEND
	;;#ASMSTART
	v_dot2_f32_f16 v64, v66, v70, v64
	;;#ASMEND
	;;#ASMSTART
	v_dot2_f32_f16 v64, v67, v71, v64
	;;#ASMEND
	;;#ASMSTART
	v_dot2_f32_f16 v64, v68, v72, v64
	;;#ASMEND
	ds_read_b128 v[65:68], v47 offset:224
	ds_read_b128 v[69:72], v48 offset:224
	s_waitcnt lgkmcnt(0)
	;;#ASMSTART
	v_dot2_f32_f16 v64, v65, v69, v64
	;;#ASMEND
	;;#ASMSTART
	v_dot2_f32_f16 v64, v66, v70, v64
	;;#ASMEND
	;;#ASMSTART
	v_dot2_f32_f16 v64, v67, v71, v64
	;;#ASMEND
	;;#ASMSTART
	v_dot2_f32_f16 v64, v68, v72, v64
	;;#ASMEND
	ds_read_b128 v[65:68], v47 offset:240
	ds_read_b128 v[69:72], v48 offset:240
	s_waitcnt lgkmcnt(0)
	;;#ASMSTART
	v_dot2_f32_f16 v64, v65, v69, v64
	;;#ASMEND
	;;#ASMSTART
	v_dot2_f32_f16 v64, v66, v70, v64
	;;#ASMEND
	;;#ASMSTART
	v_dot2_f32_f16 v64, v67, v71, v64
	;;#ASMEND
	;;#ASMSTART
	v_dot2_f32_f16 v64, v68, v72, v64
	;;#ASMEND
	s_barrier
	global_load_dwordx4 v[65:68], v[23:24], off offset:256
	s_nop 0
	global_load_dwordx4 v[23:26], v[25:26], off offset:256
	s_nop 0
	;; [unrolled: 2-line block ×3, first 2 shown]
	global_load_dwordx4 v[27:30], v[29:30], off offset:256
	s_waitcnt vmcnt(3)
	ds_write_b128 v43, v[65:68]
	s_waitcnt vmcnt(2)
	ds_write_b128 v44, v[23:26]
	;; [unrolled: 2-line block ×4, first 2 shown]
	s_waitcnt lgkmcnt(0)
	s_barrier
	ds_read_b128 v[23:26], v47
	ds_read_b128 v[27:30], v48 offset:256
	s_waitcnt lgkmcnt(0)
	;;#ASMSTART
	v_dot2_f32_f16 v64, v23, v27, v64
	;;#ASMEND
	;;#ASMSTART
	v_dot2_f32_f16 v64, v24, v28, v64
	;;#ASMEND
	;;#ASMSTART
	v_dot2_f32_f16 v64, v25, v29, v64
	;;#ASMEND
	;;#ASMSTART
	v_dot2_f32_f16 v64, v26, v30, v64
	;;#ASMEND
	ds_read_b128 v[23:26], v47 offset:16
	ds_read_b128 v[27:30], v48 offset:272
	s_waitcnt lgkmcnt(0)
	;;#ASMSTART
	v_dot2_f32_f16 v64, v23, v27, v64
	;;#ASMEND
	;;#ASMSTART
	v_dot2_f32_f16 v64, v24, v28, v64
	;;#ASMEND
	;;#ASMSTART
	v_dot2_f32_f16 v64, v25, v29, v64
	;;#ASMEND
	;;#ASMSTART
	v_dot2_f32_f16 v64, v26, v30, v64
	;;#ASMEND
	ds_read_b128 v[23:26], v47 offset:32
	;; [unrolled: 15-line block ×15, first 2 shown]
	ds_read_b128 v[27:30], v48 offset:496
	v_add_u32_e32 v65, s6, v6
	v_ashrrev_i32_e32 v66, 31, v65
	v_lshlrev_b64 v[65:66], 1, v[65:66]
	s_waitcnt lgkmcnt(0)
	;;#ASMSTART
	v_dot2_f32_f16 v64, v23, v27, v64
	;;#ASMEND
	v_add_co_u32_e32 v65, vcc, s30, v65
	;;#ASMSTART
	v_dot2_f32_f16 v64, v24, v28, v64
	;;#ASMEND
	v_addc_co_u32_e32 v66, vcc, v61, v66, vcc
	;;#ASMSTART
	v_dot2_f32_f16 v64, v25, v29, v64
	;;#ASMEND
	;;#ASMSTART
	v_dot2_f32_f16 v64, v26, v30, v64
	;;#ASMEND
	global_load_ushort v23, v[65:66], off
	v_cmp_lt_i32_e32 vcc, v42, v37
	v_cndmask_b32_e32 v24, v36, v42, vcc
	v_lshlrev_b32_e32 v25, 2, v24
	v_max_f32_e32 v26, v63, v63
	v_cmp_lt_i32_e32 vcc, v41, v37
	s_waitcnt vmcnt(0)
	v_cvt_f32_f16_e32 v23, v23
	v_add_f32_e32 v24, v64, v23
	v_add_f32_e32 v23, 0x40051340, v24
	v_max_f32_e32 v23, v26, v23
	ds_bpermute_b32 v25, v25, v23
	v_cndmask_b32_e32 v26, v36, v41, vcc
	v_lshlrev_b32_e32 v26, 2, v26
	v_cmp_lt_i32_e32 vcc, v40, v37
	s_waitcnt lgkmcnt(0)
	v_max_f32_e32 v25, v25, v25
	v_max_f32_e32 v23, v23, v25
	ds_bpermute_b32 v25, v26, v23
	v_cndmask_b32_e32 v26, v36, v40, vcc
	v_lshlrev_b32_e32 v26, 2, v26
	v_cmp_lt_i32_e32 vcc, v39, v37
	s_waitcnt lgkmcnt(0)
	v_max_f32_e32 v25, v25, v25
	;; [unrolled: 7-line block ×3, first 2 shown]
	v_max_f32_e32 v23, v23, v25
	ds_bpermute_b32 v25, v26, v23
	v_cndmask_b32_e32 v26, v36, v38, vcc
	v_lshlrev_b32_e32 v26, 2, v26
	s_waitcnt lgkmcnt(0)
	v_max_f32_e32 v25, v25, v25
	v_max_f32_e32 v23, v23, v25
	ds_bpermute_b32 v25, v26, v23
	s_and_saveexec_b64 s[10:11], s[0:1]
	s_cbranch_execz .LBB23_11
; %bb.10:                               ;   in Loop: Header=BB23_9 Depth=1
	s_waitcnt lgkmcnt(0)
	v_max_f32_e32 v25, v25, v25
	v_max_f32_e32 v23, v23, v23
	;; [unrolled: 1-line block ×3, first 2 shown]
	ds_write_b32 v49, v23
.LBB23_11:                              ;   in Loop: Header=BB23_9 Depth=1
	s_or_b64 exec, exec, s[10:11]
	s_waitcnt lgkmcnt(0)
	s_barrier
	ds_read_b32 v23, v51
	v_and_b32_e32 v25, 0x7e, v36
	v_add_u32_e32 v25, 2, v25
	v_cmp_lt_i32_e32 vcc, v38, v25
	v_cndmask_b32_e32 v25, v36, v38, vcc
	v_lshlrev_b32_e32 v25, 2, v25
	s_waitcnt lgkmcnt(0)
	ds_bpermute_b32 v25, v25, v23
	v_max_f32_e32 v23, v23, v23
	s_mul_hi_i32 s11, s6, s14
	s_mul_i32 s10, s6, s14
	s_lshl_b64 s[10:11], s[10:11], 2
	s_waitcnt lgkmcnt(0)
	v_max_f32_e32 v25, v25, v25
	v_max_f32_e32 v23, v23, v25
	v_sub_f32_e32 v24, v24, v23
	v_mul_f32_e32 v25, 0x3fb8aa3b, v24
	v_fma_f32 v26, v24, s24, -v25
	v_rndne_f32_e32 v27, v25
	v_fmac_f32_e32 v26, 0x32a5705f, v24
	v_sub_f32_e32 v25, v25, v27
	v_add_f32_e32 v25, v25, v26
	v_exp_f32_e32 v25, v25
	v_cvt_i32_f32_e32 v26, v27
	v_cmp_ngt_f32_e32 vcc, s25, v24
	s_add_u32 s10, s12, s10
	s_addc_u32 s11, s13, s11
	v_ldexp_f32 v25, v25, v26
	v_cndmask_b32_e32 v25, 0, v25, vcc
	v_cmp_nlt_f32_e32 vcc, s26, v24
	v_cndmask_b32_e32 v24, v62, v25, vcc
	v_sub_f32_e32 v25, v63, v23
	v_mul_f32_e32 v26, 0x3fb8aa3b, v25
	v_fma_f32 v27, v25, s24, -v26
	v_rndne_f32_e32 v28, v26
	v_fmac_f32_e32 v27, 0x32a5705f, v25
	v_sub_f32_e32 v26, v26, v28
	v_add_f32_e32 v26, v26, v27
	v_exp_f32_e32 v26, v26
	v_cvt_i32_f32_e32 v27, v28
	v_cmp_ngt_f32_e32 vcc, s25, v25
	v_ldexp_f32 v26, v26, v27
	v_cndmask_b32_e32 v26, 0, v26, vcc
	v_cmp_nlt_f32_e32 vcc, s26, v25
	v_cndmask_b32_e32 v25, v62, v26, vcc
	v_fma_f32 v50, v50, v25, v24
	v_cvt_f16_f32_e32 v25, v25
	v_mul_u32_u24_e32 v28, 0x10001, v25
	v_pk_mul_f16 v29, v4, v28
	v_cvt_f16_f32_e32 v4, v24
	v_pk_mul_f16 v30, v5, v28
	v_mov_b32_e32 v5, s11
	ds_write_b16 v52, v4
	v_add_co_u32_e32 v4, vcc, s10, v15
	v_addc_co_u32_e32 v5, vcc, v5, v16, vcc
	v_add_co_u32_e32 v4, vcc, v4, v53
	v_addc_co_u32_e32 v5, vcc, 0, v5, vcc
	global_load_dwordx4 v[24:27], v[4:5], off
	v_add_co_u32_e32 v4, vcc, s10, v17
	v_mov_b32_e32 v5, s11
	v_addc_co_u32_e32 v5, vcc, v5, v18, vcc
	v_add_co_u32_e32 v4, vcc, v4, v53
	v_addc_co_u32_e32 v5, vcc, 0, v5, vcc
	s_waitcnt vmcnt(0)
	ds_write_b128 v54, v[24:27]
	global_load_dwordx4 v[24:27], v[4:5], off
	v_add_co_u32_e32 v4, vcc, s10, v19
	v_mov_b32_e32 v5, s11
	v_addc_co_u32_e32 v5, vcc, v5, v20, vcc
	v_add_co_u32_e32 v4, vcc, v4, v53
	v_addc_co_u32_e32 v5, vcc, 0, v5, vcc
	s_waitcnt vmcnt(0)
	ds_write_b128 v55, v[24:27]
	global_load_dwordx4 v[24:27], v[4:5], off
	v_add_co_u32_e32 v4, vcc, s10, v21
	v_mov_b32_e32 v5, s11
	v_addc_co_u32_e32 v5, vcc, v5, v22, vcc
	v_add_co_u32_e32 v4, vcc, v4, v53
	v_addc_co_u32_e32 v5, vcc, 0, v5, vcc
	s_or_b32 s10, s6, 32
	s_mul_hi_i32 s11, s10, s14
	s_mul_i32 s10, s10, s14
	s_lshl_b64 s[10:11], s[10:11], 2
	s_add_u32 s10, s12, s10
	s_addc_u32 s11, s13, s11
	s_waitcnt vmcnt(0)
	ds_write_b128 v56, v[24:27]
	global_load_dwordx4 v[24:27], v[4:5], off
	s_waitcnt vmcnt(0)
	ds_write_b128 v57, v[24:27]
	s_waitcnt lgkmcnt(0)
	s_barrier
	ds_read2_b64 v[24:27], v59 offset1:32
	ds_read_u16 v4, v58
	ds_read_u16 v63, v58 offset:4
	ds_read_u16 v64, v58 offset:8
	;; [unrolled: 1-line block ×15, first 2 shown]
	s_waitcnt lgkmcnt(14)
	v_mul_u32_u24_e32 v4, 0x10001, v4
	v_pk_mul_f16 v5, v24, v4
	v_pk_fma_f16 v24, v2, v28, v5
	v_pk_mul_f16 v2, v25, v4
	v_pk_fma_f16 v25, v3, v28, v2
	v_pk_fma_f16 v26, v26, v4, v29
	;; [unrolled: 1-line block ×3, first 2 shown]
	ds_read2_b64 v[2:5], v59 offset0:128 offset1:160
	v_mul_u32_u24_e32 v28, 0x10001, v63
	s_waitcnt lgkmcnt(10)
	v_mul_u32_u24_e32 v63, 0x10001, v68
	s_waitcnt lgkmcnt(0)
	v_pk_fma_f16 v29, v2, v28, v24
	v_add_u32_e32 v2, 0x800, v59
	v_pk_fma_f16 v3, v3, v28, v25
	v_pk_fma_f16 v4, v4, v28, v26
	;; [unrolled: 1-line block ×3, first 2 shown]
	ds_read2_b64 v[24:27], v2 offset1:32
	v_mul_u32_u24_e32 v28, 0x10001, v64
	s_waitcnt lgkmcnt(0)
	v_pk_fma_f16 v29, v24, v28, v29
	v_pk_fma_f16 v3, v25, v28, v3
	;; [unrolled: 1-line block ×4, first 2 shown]
	ds_read2_b64 v[24:27], v2 offset0:128 offset1:160
	v_mul_u32_u24_e32 v28, 0x10001, v65
	v_mul_u32_u24_e32 v65, 0x10001, v72
	s_waitcnt lgkmcnt(0)
	v_pk_fma_f16 v30, v26, v28, v4
	v_add_u32_e32 v4, 0x1000, v59
	v_pk_fma_f16 v29, v24, v28, v29
	v_pk_fma_f16 v3, v25, v28, v3
	;; [unrolled: 1-line block ×3, first 2 shown]
	ds_read2_b64 v[24:27], v4 offset1:32
	v_mul_u32_u24_e32 v28, 0x10001, v66
	s_waitcnt lgkmcnt(0)
	v_pk_fma_f16 v29, v24, v28, v29
	v_pk_fma_f16 v3, v25, v28, v3
	;; [unrolled: 1-line block ×4, first 2 shown]
	ds_read2_b64 v[24:27], v4 offset0:128 offset1:160
	v_mul_u32_u24_e32 v28, 0x10001, v67
	s_waitcnt lgkmcnt(0)
	v_pk_fma_f16 v29, v24, v28, v29
	v_add_u32_e32 v24, 0x1800, v59
	v_pk_fma_f16 v3, v25, v28, v3
	v_pk_fma_f16 v30, v26, v28, v30
	v_pk_fma_f16 v5, v27, v28, v5
	ds_read2_b64 v[25:28], v24 offset1:32
	s_waitcnt lgkmcnt(0)
	v_pk_fma_f16 v29, v25, v63, v29
	v_pk_fma_f16 v3, v26, v63, v3
	v_pk_fma_f16 v30, v27, v63, v30
	v_pk_fma_f16 v5, v28, v63, v5
	ds_read2_b64 v[25:28], v24 offset0:128 offset1:160
	v_mul_u32_u24_e32 v63, 0x10001, v69
	s_waitcnt lgkmcnt(0)
	v_pk_fma_f16 v3, v26, v63, v3
	v_add_u32_e32 v26, 0x2000, v59
	v_pk_fma_f16 v25, v25, v63, v29
	v_pk_fma_f16 v64, v27, v63, v30
	;; [unrolled: 1-line block ×3, first 2 shown]
	ds_read2_b64 v[27:30], v26 offset1:32
	v_mul_u32_u24_e32 v63, 0x10001, v70
	s_waitcnt lgkmcnt(0)
	v_pk_fma_f16 v25, v27, v63, v25
	v_pk_fma_f16 v3, v28, v63, v3
	;; [unrolled: 1-line block ×4, first 2 shown]
	ds_read2_b64 v[27:30], v26 offset0:128 offset1:160
	v_mul_u32_u24_e32 v63, 0x10001, v71
	s_waitcnt lgkmcnt(0)
	v_pk_fma_f16 v25, v27, v63, v25
	v_pk_fma_f16 v3, v28, v63, v3
	;; [unrolled: 1-line block ×4, first 2 shown]
	v_add_u32_e32 v5, 0x2800, v59
	ds_read2_b64 v[27:30], v5 offset1:32
	s_waitcnt lgkmcnt(0)
	v_pk_fma_f16 v25, v27, v65, v25
	v_pk_fma_f16 v3, v28, v65, v3
	v_pk_fma_f16 v64, v29, v65, v64
	v_pk_fma_f16 v63, v30, v65, v63
	ds_read2_b64 v[27:30], v5 offset0:128 offset1:160
	v_mul_u32_u24_e32 v65, 0x10001, v73
	s_waitcnt lgkmcnt(0)
	v_pk_fma_f16 v66, v28, v65, v3
	v_add_u32_e32 v3, 0x3000, v59
	v_pk_fma_f16 v25, v27, v65, v25
	v_pk_fma_f16 v64, v29, v65, v64
	;; [unrolled: 1-line block ×3, first 2 shown]
	ds_read2_b64 v[27:30], v3 offset1:32
	v_mul_u32_u24_e32 v65, 0x10001, v74
	s_waitcnt lgkmcnt(0)
	v_pk_fma_f16 v25, v27, v65, v25
	v_pk_fma_f16 v66, v28, v65, v66
	;; [unrolled: 1-line block ×4, first 2 shown]
	ds_read2_b64 v[27:30], v3 offset0:128 offset1:160
	v_mul_u32_u24_e32 v65, 0x10001, v75
	s_waitcnt lgkmcnt(0)
	v_pk_fma_f16 v67, v27, v65, v25
	v_add_u32_e32 v25, 0x3800, v59
	v_pk_fma_f16 v66, v28, v65, v66
	v_pk_fma_f16 v64, v29, v65, v64
	;; [unrolled: 1-line block ×3, first 2 shown]
	ds_read2_b64 v[27:30], v25 offset1:32
	v_mul_u32_u24_e32 v65, 0x10001, v76
	s_waitcnt lgkmcnt(0)
	v_pk_fma_f16 v67, v27, v65, v67
	v_pk_fma_f16 v66, v28, v65, v66
	v_pk_fma_f16 v64, v29, v65, v64
	v_pk_fma_f16 v63, v30, v65, v63
	ds_read2_b64 v[27:30], v25 offset0:128 offset1:160
	v_mul_u32_u24_e32 v65, 0x10001, v77
	s_waitcnt lgkmcnt(0)
	s_barrier
	v_pk_fma_f16 v67, v27, v65, v67
	v_pk_fma_f16 v66, v28, v65, v66
	v_add_co_u32_e32 v27, vcc, s10, v15
	v_mov_b32_e32 v28, s11
	v_addc_co_u32_e32 v28, vcc, v28, v16, vcc
	v_add_co_u32_e32 v27, vcc, v27, v53
	v_addc_co_u32_e32 v28, vcc, 0, v28, vcc
	v_pk_fma_f16 v64, v29, v65, v64
	v_pk_fma_f16 v63, v30, v65, v63
	global_load_dwordx4 v[27:30], v[27:28], off
	s_waitcnt vmcnt(0)
	ds_write_b128 v54, v[27:30]
	v_add_co_u32_e32 v27, vcc, s10, v17
	v_mov_b32_e32 v28, s11
	v_addc_co_u32_e32 v28, vcc, v28, v18, vcc
	v_add_co_u32_e32 v27, vcc, v27, v53
	v_addc_co_u32_e32 v28, vcc, 0, v28, vcc
	global_load_dwordx4 v[27:30], v[27:28], off
	s_waitcnt vmcnt(0)
	ds_write_b128 v55, v[27:30]
	v_add_co_u32_e32 v27, vcc, s10, v19
	v_mov_b32_e32 v28, s11
	v_addc_co_u32_e32 v28, vcc, v28, v20, vcc
	v_add_co_u32_e32 v27, vcc, v27, v53
	v_addc_co_u32_e32 v28, vcc, 0, v28, vcc
	;; [unrolled: 8-line block ×3, first 2 shown]
	global_load_dwordx4 v[27:30], v[27:28], off
	s_waitcnt vmcnt(0)
	ds_write_b128 v57, v[27:30]
	s_waitcnt lgkmcnt(0)
	s_barrier
	ds_read2_b64 v[27:30], v59 offset1:32
	ds_read_u16 v65, v58 offset:64
	ds_read_u16 v68, v58 offset:68
	;; [unrolled: 1-line block ×16, first 2 shown]
	s_waitcnt lgkmcnt(14)
	v_mul_u32_u24_e32 v65, 0x10001, v65
	v_pk_fma_f16 v67, v27, v65, v67
	v_pk_fma_f16 v66, v28, v65, v66
	v_pk_fma_f16 v64, v29, v65, v64
	v_pk_fma_f16 v63, v30, v65, v63
	ds_read2_b64 v[27:30], v59 offset0:128 offset1:160
	v_mul_u32_u24_e32 v65, 0x10001, v68
	s_waitcnt lgkmcnt(0)
	v_pk_fma_f16 v67, v27, v65, v67
	v_pk_fma_f16 v66, v28, v65, v66
	v_pk_fma_f16 v64, v29, v65, v64
	v_pk_fma_f16 v63, v30, v65, v63
	ds_read2_b64 v[27:30], v2 offset1:32
	v_mul_u32_u24_e32 v65, 0x10001, v69
	s_waitcnt lgkmcnt(0)
	v_pk_fma_f16 v67, v27, v65, v67
	v_pk_fma_f16 v66, v28, v65, v66
	v_pk_fma_f16 v64, v29, v65, v64
	v_pk_fma_f16 v63, v30, v65, v63
	ds_read2_b64 v[27:30], v2 offset0:128 offset1:160
	v_mul_u32_u24_e32 v2, 0x10001, v70
	s_waitcnt lgkmcnt(0)
	v_pk_fma_f16 v65, v27, v2, v67
	v_pk_fma_f16 v66, v28, v2, v66
	v_pk_fma_f16 v64, v29, v2, v64
	v_pk_fma_f16 v2, v30, v2, v63
	ds_read2_b64 v[27:30], v4 offset1:32
	v_mul_u32_u24_e32 v63, 0x10001, v71
	s_waitcnt lgkmcnt(0)
	;; [unrolled: 14-line block ×4, first 2 shown]
	v_pk_fma_f16 v24, v27, v4, v24
	v_pk_fma_f16 v63, v28, v4, v63
	;; [unrolled: 1-line block ×3, first 2 shown]
	ds_read2_b64 v[26:29], v26 offset0:128 offset1:160
	v_pk_fma_f16 v2, v30, v4, v2
	v_mul_u32_u24_e32 v4, 0x10001, v76
	s_waitcnt lgkmcnt(0)
	v_pk_fma_f16 v24, v26, v4, v24
	v_pk_fma_f16 v30, v27, v4, v63
	v_pk_fma_f16 v63, v28, v4, v64
	v_pk_fma_f16 v2, v29, v4, v2
	ds_read2_b64 v[26:29], v5 offset1:32
	v_mul_u32_u24_e32 v4, 0x10001, v77
	s_waitcnt lgkmcnt(0)
	v_pk_fma_f16 v24, v26, v4, v24
	v_pk_fma_f16 v30, v27, v4, v30
	v_pk_fma_f16 v63, v28, v4, v63
	v_pk_fma_f16 v2, v29, v4, v2
	ds_read2_b64 v[26:29], v5 offset0:128 offset1:160
	v_mul_u32_u24_e32 v4, 0x10001, v78
	s_waitcnt lgkmcnt(0)
	v_pk_fma_f16 v5, v26, v4, v24
	v_pk_fma_f16 v24, v27, v4, v30
	v_pk_fma_f16 v30, v28, v4, v63
	v_pk_fma_f16 v2, v29, v4, v2
	ds_read2_b64 v[26:29], v3 offset1:32
	v_mul_u32_u24_e32 v4, 0x10001, v79
	s_waitcnt lgkmcnt(0)
	v_pk_fma_f16 v26, v26, v4, v5
	v_pk_fma_f16 v24, v27, v4, v24
	v_pk_fma_f16 v27, v28, v4, v30
	v_pk_fma_f16 v28, v29, v4, v2
	ds_read2_b64 v[2:5], v3 offset0:128 offset1:160
	;; [unrolled: 14-line block ×3, first 2 shown]
	s_waitcnt lgkmcnt(0)
	s_barrier
	s_load_dword s10, s[8:9], 0x4
	v_mul_u32_u24_e32 v25, 0x10001, v82
	v_pk_fma_f16 v2, v2, v25, v26
	v_pk_fma_f16 v3, v3, v25, v24
	;; [unrolled: 1-line block ×3, first 2 shown]
	s_waitcnt lgkmcnt(0)
	s_lshl_b32 s10, s10, 6
	s_add_i32 s6, s10, s6
	v_pk_fma_f16 v5, v5, v25, v28
	s_cmp_ge_i32 s6, s28
	s_cbranch_scc1 .LBB23_13
; %bb.12:                               ;   in Loop: Header=BB23_9 Depth=1
	v_mov_b32_e32 v63, v23
	s_branch .LBB23_9
.LBB23_13:
	v_mov_b32_e32 v6, v35
.LBB23_14:
	v_cmp_lt_i32_e32 vcc, v42, v37
	v_cndmask_b32_e32 v7, v36, v42, vcc
	v_lshlrev_b32_e32 v7, 2, v7
	ds_bpermute_b32 v7, v7, v50
	v_cmp_lt_i32_e32 vcc, v41, v37
	v_cndmask_b32_e32 v8, v36, v41, vcc
	v_lshlrev_b32_e32 v8, 2, v8
	v_cmp_lt_i32_e32 vcc, v40, v37
	s_waitcnt lgkmcnt(0)
	v_add_f32_e32 v7, v50, v7
	ds_bpermute_b32 v8, v8, v7
	v_cndmask_b32_e32 v9, v36, v40, vcc
	v_lshlrev_b32_e32 v9, 2, v9
	v_cmp_lt_i32_e32 vcc, v39, v37
	v_cmp_ne_u32_e64 s[0:1], 0, v6
	s_waitcnt lgkmcnt(0)
	v_add_f32_e32 v7, v7, v8
	ds_bpermute_b32 v8, v9, v7
	v_cndmask_b32_e32 v9, v36, v39, vcc
	v_lshlrev_b32_e32 v9, 2, v9
	v_cmp_lt_i32_e32 vcc, v38, v37
	s_waitcnt lgkmcnt(0)
	v_add_f32_e32 v7, v7, v8
	ds_bpermute_b32 v8, v9, v7
	v_cndmask_b32_e32 v9, v36, v38, vcc
	v_lshlrev_b32_e32 v9, 2, v9
	v_cmp_eq_u32_e32 vcc, 0, v6
	s_waitcnt lgkmcnt(0)
	v_add_f32_e32 v7, v7, v8
	ds_bpermute_b32 v8, v9, v7
	s_waitcnt lgkmcnt(0)
	v_add_f32_e32 v24, v7, v8
	s_and_saveexec_b64 s[8:9], s[0:1]
	s_xor_b64 s[8:9], exec, s[8:9]
	s_cbranch_execnz .LBB23_18
; %bb.15:
	s_andn2_saveexec_b64 s[0:1], s[8:9]
	s_cbranch_execnz .LBB23_21
.LBB23_16:
	s_or_b64 exec, exec, s[0:1]
	s_and_saveexec_b64 s[0:1], vcc
	s_cbranch_execnz .LBB23_22
.LBB23_17:
	s_endpgm
.LBB23_18:
	v_lshl_add_u32 v6, v1, 9, v34
	v_cmp_eq_u32_e64 s[0:1], 0, v0
	ds_write_b128 v6, v[2:5]
	s_and_saveexec_b64 s[10:11], s[0:1]
; %bb.19:
	v_lshlrev_b32_e32 v1, 2, v1
	ds_write_b32 v1, v24 offset:17408
; %bb.20:
	s_or_b64 exec, exec, s[10:11]
                                        ; implicit-def: $vgpr1
                                        ; implicit-def: $vgpr34
	s_andn2_saveexec_b64 s[0:1], s[8:9]
	s_cbranch_execz .LBB23_16
.LBB23_21:
	v_lshl_add_u32 v6, v1, 9, v34
	v_lshlrev_b32_e32 v1, 2, v1
	s_waitcnt lgkmcnt(0)
	s_barrier
	ds_read_b128 v[6:9], v6 offset:512
	ds_read_b32 v1, v1 offset:17412
	s_waitcnt lgkmcnt(1)
	v_pk_add_f16 v2, v6, v2
	v_pk_add_f16 v3, v7, v3
	;; [unrolled: 1-line block ×4, first 2 shown]
	s_waitcnt lgkmcnt(0)
	v_add_f32_e32 v24, v24, v1
	s_or_b64 exec, exec, s[0:1]
	s_and_saveexec_b64 s[0:1], vcc
	s_cbranch_execz .LBB23_17
.LBB23_22:
	s_cmp_eq_u64 s[16:17], 0
	s_cselect_b64 s[0:1], -1, 0
	s_cmp_lg_u32 s7, 0
	s_cselect_b64 s[8:9], -1, 0
	s_or_b64 s[0:1], s[8:9], s[0:1]
	v_add_u32_e32 v6, s29, v33
	s_and_b64 vcc, exec, s[0:1]
	s_cbranch_vccnz .LBB23_24
; %bb.23:
	v_ashrrev_i32_e32 v7, 31, v6
	v_lshlrev_b64 v[7:8], 2, v[6:7]
	v_mov_b32_e32 v1, s17
	v_add_co_u32_e32 v7, vcc, s16, v7
	v_addc_co_u32_e32 v8, vcc, v1, v8, vcc
	global_load_dword v1, v[7:8], off
	v_max_f32_e32 v7, v23, v23
	s_mov_b32 s0, 0x3fb8aa3b
	s_mov_b32 s1, 0xc2ce8ed0
	s_waitcnt vmcnt(0)
	v_max_f32_e32 v8, v1, v1
	v_max_f32_e32 v7, v7, v8
	v_sub_f32_e32 v8, v23, v7
	v_sub_f32_e32 v1, v1, v7
	v_mul_f32_e32 v9, 0x3fb8aa3b, v8
	v_mul_f32_e32 v10, 0x3fb8aa3b, v1
	v_fma_f32 v11, v8, s0, -v9
	v_rndne_f32_e32 v12, v9
	v_fma_f32 v13, v1, s0, -v10
	v_rndne_f32_e32 v14, v10
	v_fmac_f32_e32 v11, 0x32a5705f, v8
	v_sub_f32_e32 v9, v9, v12
	v_fmac_f32_e32 v13, 0x32a5705f, v1
	v_sub_f32_e32 v10, v10, v14
	v_add_f32_e32 v9, v9, v11
	v_cvt_i32_f32_e32 v12, v12
	v_add_f32_e32 v10, v10, v13
	v_exp_f32_e32 v9, v9
	v_cvt_i32_f32_e32 v14, v14
	v_exp_f32_e32 v10, v10
	v_cmp_ngt_f32_e32 vcc, s1, v8
	v_ldexp_f32 v9, v9, v12
	s_mov_b32 s0, 0x42b17218
	v_ldexp_f32 v10, v10, v14
	v_cndmask_b32_e32 v9, 0, v9, vcc
	v_cmp_ngt_f32_e32 vcc, s1, v1
	v_mov_b32_e32 v11, 0x7f800000
	v_cndmask_b32_e32 v10, 0, v10, vcc
	v_cmp_nlt_f32_e32 vcc, s0, v8
	v_cndmask_b32_e32 v8, v11, v9, vcc
	v_cvt_f16_f32_e32 v9, v8
	v_cmp_nlt_f32_e32 vcc, s0, v1
	v_cndmask_b32_e32 v1, v11, v10, vcc
	v_fmac_f32_e32 v1, v24, v8
	v_mov_b32_e32 v24, v1
	v_mul_u32_u24_e32 v1, 0x10001, v9
	v_pk_mul_f16 v2, v2, v1
	v_pk_mul_f16 v3, v3, v1
	;; [unrolled: 1-line block ×4, first 2 shown]
	v_mov_b32_e32 v23, v7
.LBB23_24:
	v_div_scale_f32 v1, s[0:1], v24, v24, 1.0
	v_div_scale_f32 v8, vcc, 1.0, v24, 1.0
	v_cmp_eq_u32_e64 s[0:1], 0, v0
	s_mul_i32 s33, s33, s2
	s_load_dword s4, s[4:5], 0xd4
	v_cvt_f32_f16_sdwa v11, v2 dst_sel:DWORD dst_unused:UNUSED_PAD src0_sel:WORD_1
	v_cvt_f32_f16_e32 v12, v2
	v_mov_b32_e32 v7, 0
	v_add_u32_e32 v2, s33, v31
	v_cvt_f32_f16_sdwa v10, v3 dst_sel:DWORD dst_unused:UNUSED_PAD src0_sel:WORD_1
	v_cvt_f32_f16_e32 v3, v3
	v_cvt_f32_f16_sdwa v14, v5 dst_sel:DWORD dst_unused:UNUSED_PAD src0_sel:WORD_1
	v_cvt_f32_f16_e32 v5, v5
	s_waitcnt lgkmcnt(0)
	s_cmp_lg_u32 s4, 1
	v_rcp_f32_e32 v0, v1
	v_cvt_f32_f16_sdwa v15, v4 dst_sel:DWORD dst_unused:UNUSED_PAD src0_sel:WORD_1
	v_cvt_f32_f16_e32 v16, v4
	v_fma_f32 v9, -v1, v0, 1.0
	v_fmac_f32_e32 v0, v9, v0
	v_mul_f32_e32 v9, v8, v0
	v_fma_f32 v13, -v1, v9, v8
	v_fmac_f32_e32 v9, v13, v0
	v_fma_f32 v1, -v1, v9, v8
	v_div_fmas_f32 v13, v1, v0, v9
	v_mad_u64_u32 v[0:1], s[2:3], v2, s3, v[6:7]
	s_cselect_b64 s[2:3], -1, 0
	v_mov_b32_e32 v9, s21
	v_mul_lo_u32 v0, s4, v0
	s_and_b64 s[0:1], s[0:1], s[2:3]
	v_add_u32_e32 v0, s7, v0
	v_lshl_add_u32 v6, v0, 8, v32
	v_lshlrev_b64 v[1:2], 2, v[6:7]
	v_add_u32_e32 v6, 0x80, v6
	v_add_co_u32_e32 v8, vcc, s20, v1
	v_addc_co_u32_e32 v9, vcc, v9, v2, vcc
	v_div_fixup_f32 v1, v13, v24, 1.0
	v_cndmask_b32_e64 v13, v1, 1.0, s[2:3]
	v_mul_f32_e32 v4, v13, v10
	v_mul_f32_e32 v3, v13, v3
	;; [unrolled: 1-line block ×4, first 2 shown]
	global_store_dwordx4 v[8:9], v[1:4], off
	s_nop 0
	v_mul_f32_e32 v3, v13, v5
	v_lshlrev_b64 v[5:6], 2, v[6:7]
	v_mov_b32_e32 v7, s21
	v_add_co_u32_e32 v5, vcc, s20, v5
	v_mul_f32_e32 v4, v13, v14
	v_mul_f32_e32 v2, v13, v15
	;; [unrolled: 1-line block ×3, first 2 shown]
	v_addc_co_u32_e32 v6, vcc, v7, v6, vcc
	global_store_dwordx4 v[5:6], v[1:4], off
	s_and_b64 exec, exec, s[0:1]
	s_cbranch_execz .LBB23_17
; %bb.25:
	v_ashrrev_i32_e32 v1, 31, v0
	v_lshlrev_b64 v[0:1], 3, v[0:1]
	v_mov_b32_e32 v2, s23
	v_add_co_u32_e32 v0, vcc, s22, v0
	v_addc_co_u32_e32 v1, vcc, v2, v1, vcc
	global_store_dwordx2 v[0:1], v[23:24], off
	s_endpgm
	.section	.rodata,"a",@progbits
	.p2align	6, 0x0
	.amdhsa_kernel _ZL15flash_attn_tileILi256ELi256ELi1ELi4ELb0EEvPKcS1_S1_S1_S1_PKiPfP15HIP_vector_typeIfLj2EEffffjfiS5_IjLj3EEiiiiiiiiiiiliiliiiiil
		.amdhsa_group_segment_fixed_size 20000
		.amdhsa_private_segment_fixed_size 0
		.amdhsa_kernarg_size 464
		.amdhsa_user_sgpr_count 6
		.amdhsa_user_sgpr_private_segment_buffer 1
		.amdhsa_user_sgpr_dispatch_ptr 0
		.amdhsa_user_sgpr_queue_ptr 0
		.amdhsa_user_sgpr_kernarg_segment_ptr 1
		.amdhsa_user_sgpr_dispatch_id 0
		.amdhsa_user_sgpr_flat_scratch_init 0
		.amdhsa_user_sgpr_private_segment_size 0
		.amdhsa_uses_dynamic_stack 0
		.amdhsa_system_sgpr_private_segment_wavefront_offset 0
		.amdhsa_system_sgpr_workgroup_id_x 1
		.amdhsa_system_sgpr_workgroup_id_y 1
		.amdhsa_system_sgpr_workgroup_id_z 1
		.amdhsa_system_sgpr_workgroup_info 0
		.amdhsa_system_vgpr_workitem_id 1
		.amdhsa_next_free_vgpr 83
		.amdhsa_next_free_sgpr 98
		.amdhsa_reserve_vcc 1
		.amdhsa_reserve_flat_scratch 0
		.amdhsa_float_round_mode_32 0
		.amdhsa_float_round_mode_16_64 0
		.amdhsa_float_denorm_mode_32 3
		.amdhsa_float_denorm_mode_16_64 3
		.amdhsa_dx10_clamp 1
		.amdhsa_ieee_mode 1
		.amdhsa_fp16_overflow 0
		.amdhsa_exception_fp_ieee_invalid_op 0
		.amdhsa_exception_fp_denorm_src 0
		.amdhsa_exception_fp_ieee_div_zero 0
		.amdhsa_exception_fp_ieee_overflow 0
		.amdhsa_exception_fp_ieee_underflow 0
		.amdhsa_exception_fp_ieee_inexact 0
		.amdhsa_exception_int_div_zero 0
	.end_amdhsa_kernel
	.section	.text._ZL15flash_attn_tileILi256ELi256ELi1ELi4ELb0EEvPKcS1_S1_S1_S1_PKiPfP15HIP_vector_typeIfLj2EEffffjfiS5_IjLj3EEiiiiiiiiiiiliiliiiiil,"axG",@progbits,_ZL15flash_attn_tileILi256ELi256ELi1ELi4ELb0EEvPKcS1_S1_S1_S1_PKiPfP15HIP_vector_typeIfLj2EEffffjfiS5_IjLj3EEiiiiiiiiiiiliiliiiiil,comdat
.Lfunc_end23:
	.size	_ZL15flash_attn_tileILi256ELi256ELi1ELi4ELb0EEvPKcS1_S1_S1_S1_PKiPfP15HIP_vector_typeIfLj2EEffffjfiS5_IjLj3EEiiiiiiiiiiiliiliiiiil, .Lfunc_end23-_ZL15flash_attn_tileILi256ELi256ELi1ELi4ELb0EEvPKcS1_S1_S1_S1_PKiPfP15HIP_vector_typeIfLj2EEffffjfiS5_IjLj3EEiiiiiiiiiiiliiliiiiil
                                        ; -- End function
	.set _ZL15flash_attn_tileILi256ELi256ELi1ELi4ELb0EEvPKcS1_S1_S1_S1_PKiPfP15HIP_vector_typeIfLj2EEffffjfiS5_IjLj3EEiiiiiiiiiiiliiliiiiil.num_vgpr, 83
	.set _ZL15flash_attn_tileILi256ELi256ELi1ELi4ELb0EEvPKcS1_S1_S1_S1_PKiPfP15HIP_vector_typeIfLj2EEffffjfiS5_IjLj3EEiiiiiiiiiiiliiliiiiil.num_agpr, 0
	.set _ZL15flash_attn_tileILi256ELi256ELi1ELi4ELb0EEvPKcS1_S1_S1_S1_PKiPfP15HIP_vector_typeIfLj2EEffffjfiS5_IjLj3EEiiiiiiiiiiiliiliiiiil.numbered_sgpr, 41
	.set _ZL15flash_attn_tileILi256ELi256ELi1ELi4ELb0EEvPKcS1_S1_S1_S1_PKiPfP15HIP_vector_typeIfLj2EEffffjfiS5_IjLj3EEiiiiiiiiiiiliiliiiiil.num_named_barrier, 0
	.set _ZL15flash_attn_tileILi256ELi256ELi1ELi4ELb0EEvPKcS1_S1_S1_S1_PKiPfP15HIP_vector_typeIfLj2EEffffjfiS5_IjLj3EEiiiiiiiiiiiliiliiiiil.private_seg_size, 0
	.set _ZL15flash_attn_tileILi256ELi256ELi1ELi4ELb0EEvPKcS1_S1_S1_S1_PKiPfP15HIP_vector_typeIfLj2EEffffjfiS5_IjLj3EEiiiiiiiiiiiliiliiiiil.uses_vcc, 1
	.set _ZL15flash_attn_tileILi256ELi256ELi1ELi4ELb0EEvPKcS1_S1_S1_S1_PKiPfP15HIP_vector_typeIfLj2EEffffjfiS5_IjLj3EEiiiiiiiiiiiliiliiiiil.uses_flat_scratch, 0
	.set _ZL15flash_attn_tileILi256ELi256ELi1ELi4ELb0EEvPKcS1_S1_S1_S1_PKiPfP15HIP_vector_typeIfLj2EEffffjfiS5_IjLj3EEiiiiiiiiiiiliiliiiiil.has_dyn_sized_stack, 0
	.set _ZL15flash_attn_tileILi256ELi256ELi1ELi4ELb0EEvPKcS1_S1_S1_S1_PKiPfP15HIP_vector_typeIfLj2EEffffjfiS5_IjLj3EEiiiiiiiiiiiliiliiiiil.has_recursion, 0
	.set _ZL15flash_attn_tileILi256ELi256ELi1ELi4ELb0EEvPKcS1_S1_S1_S1_PKiPfP15HIP_vector_typeIfLj2EEffffjfiS5_IjLj3EEiiiiiiiiiiiliiliiiiil.has_indirect_call, 0
	.section	.AMDGPU.csdata,"",@progbits
; Kernel info:
; codeLenInByte = 7596
; TotalNumSgprs: 45
; NumVgprs: 83
; ScratchSize: 0
; MemoryBound: 0
; FloatMode: 240
; IeeeMode: 1
; LDSByteSize: 20000 bytes/workgroup (compile time only)
; SGPRBlocks: 12
; VGPRBlocks: 20
; NumSGPRsForWavesPerEU: 102
; NumVGPRsForWavesPerEU: 83
; Occupancy: 3
; WaveLimiterHint : 1
; COMPUTE_PGM_RSRC2:SCRATCH_EN: 0
; COMPUTE_PGM_RSRC2:USER_SGPR: 6
; COMPUTE_PGM_RSRC2:TRAP_HANDLER: 0
; COMPUTE_PGM_RSRC2:TGID_X_EN: 1
; COMPUTE_PGM_RSRC2:TGID_Y_EN: 1
; COMPUTE_PGM_RSRC2:TGID_Z_EN: 1
; COMPUTE_PGM_RSRC2:TIDIG_COMP_CNT: 1
	.section	.text._ZL33flash_attn_stream_k_fixup_uniformILi256ELi1ELi4EEvPfPK15HIP_vector_typeIfLj2EEiiiiiiS1_IjLj3EES5_S5_,"axG",@progbits,_ZL33flash_attn_stream_k_fixup_uniformILi256ELi1ELi4EEvPfPK15HIP_vector_typeIfLj2EEiiiiiiS1_IjLj3EES5_S5_,comdat
	.globl	_ZL33flash_attn_stream_k_fixup_uniformILi256ELi1ELi4EEvPfPK15HIP_vector_typeIfLj2EEiiiiiiS1_IjLj3EES5_S5_ ; -- Begin function _ZL33flash_attn_stream_k_fixup_uniformILi256ELi1ELi4EEvPfPK15HIP_vector_typeIfLj2EEiiiiiiS1_IjLj3EES5_S5_
	.p2align	8
	.type	_ZL33flash_attn_stream_k_fixup_uniformILi256ELi1ELi4EEvPfPK15HIP_vector_typeIfLj2EEiiiiiiS1_IjLj3EES5_S5_,@function
_ZL33flash_attn_stream_k_fixup_uniformILi256ELi1ELi4EEvPfPK15HIP_vector_typeIfLj2EEiiiiiiS1_IjLj3EES5_S5_: ; @_ZL33flash_attn_stream_k_fixup_uniformILi256ELi1ELi4EEvPfPK15HIP_vector_typeIfLj2EEiiiiiiS1_IjLj3EES5_S5_
; %bb.0:
	s_load_dwordx8 s[12:19], s[4:5], 0x1c
	s_load_dwordx2 s[10:11], s[4:5], 0x10
	s_load_dwordx4 s[0:3], s[4:5], 0x3c
	s_waitcnt lgkmcnt(0)
	s_mul_hi_u32 s9, s15, s6
	s_add_i32 s9, s6, s9
	s_lshr_b32 s9, s9, s16
	s_mul_i32 s15, s9, s17
	s_sub_i32 s16, s6, s15
	s_mul_hi_u32 s15, s16, s18
	s_add_i32 s15, s16, s15
	s_lshr_b32 s15, s15, s19
	s_mul_i32 s0, s15, s0
	s_sub_i32 s0, s16, s0
	;; [unrolled: 5-line block ×3, first 2 shown]
	s_lshl_b32 s17, s1, 2
	s_add_i32 s16, s16, s7
	s_cmp_lt_i32 s16, s10
	s_cselect_b64 s[0:1], -1, 0
	s_add_i32 s17, s17, s8
	s_cmp_lt_i32 s17, s13
	s_cselect_b64 s[2:3], -1, 0
	s_and_b64 s[0:1], s[0:1], s[2:3]
	s_andn2_b64 vcc, exec, s[0:1]
	s_cbranch_vccnz .LBB24_6
; %bb.1:
	s_mul_i32 s9, s9, s10
	s_load_dwordx4 s[0:3], s[4:5], 0x0
	s_mul_i32 s15, s15, s13
	s_add_i32 s4, s16, s9
	s_mul_i32 s4, s4, s11
	s_add_i32 s5, s17, s15
	s_add_i32 s5, s5, s4
	v_lshl_or_b32 v1, s5, 8, v0
	v_ashrrev_i32_e32 v2, 31, v1
	v_lshlrev_b64 v[1:2], 2, v[1:2]
	s_waitcnt lgkmcnt(0)
	v_mov_b32_e32 v3, s1
	v_add_co_u32_e32 v1, vcc, s0, v1
	v_addc_co_u32_e32 v2, vcc, v3, v2, vcc
	global_load_dword v8, v[1:2], off
	s_mul_i32 s9, s14, s6
	s_add_i32 s4, s9, s14
	s_add_i32 s0, s7, s4
	s_lshl_b32 s0, s0, 2
	s_add_i32 s0, s0, s8
	s_add_i32 s0, s0, -4
	s_ashr_i32 s1, s0, 31
	s_lshl_b64 s[0:1], s[0:1], 3
	s_add_u32 s0, s2, s0
	s_addc_u32 s1, s3, s1
	s_load_dword s5, s[0:1], 0x4
	s_add_i32 s10, s4, -2
	s_cmp_lt_i32 s10, s9
	s_cbranch_scc1 .LBB24_4
; %bb.2:
	s_lshl_b32 s10, s12, 4
	s_ashr_i32 s11, s10, 31
	s_lshl_b64 s[10:11], s[10:11], 2
	s_add_u32 s10, s2, s10
	s_addc_u32 s13, s3, s11
	s_load_dword s0, s[0:1], 0x0
	s_add_i32 s6, s6, 1
	s_lshl_b32 s1, s8, 8
	s_add_i32 s12, s7, s12
	s_mul_i32 s6, s14, s6
	s_lshl_b32 s7, s7, 10
	s_add_i32 s12, s12, s4
	s_lshl_b32 s6, s6, 10
	s_add_i32 s1, s1, s7
	s_add_i32 s11, s4, -1
	s_lshl_b32 s4, s12, 2
	s_add_i32 s1, s1, s6
	s_add_i32 s4, s8, s4
	v_or_b32_e32 v0, s1, v0
	s_add_i32 s4, s4, -8
	v_add_u32_e32 v3, 0xfffff800, v0
	s_waitcnt lgkmcnt(0)
	v_mov_b32_e32 v7, s5
	v_mov_b32_e32 v6, s0
	;; [unrolled: 1-line block ×3, first 2 shown]
	s_mov_b32 s6, 0x3fb8aa3b
	s_mov_b32 s7, 0xc2ce8ed0
	s_mov_b32 s8, 0x42b17218
	v_mov_b32_e32 v5, 0x7f800000
	s_mov_b32 s12, 0xc1a00000
.LBB24_3:                               ; =>This Inner Loop Header: Depth=1
	v_ashrrev_i32_e32 v4, 31, v3
	v_lshlrev_b64 v[9:10], 2, v[3:4]
	s_ashr_i32 s5, s4, 31
	v_add_co_u32_e32 v9, vcc, s10, v9
	v_addc_co_u32_e32 v10, vcc, v0, v10, vcc
	global_load_dword v4, v[9:10], off
	s_lshl_b64 s[0:1], s[4:5], 3
	s_add_u32 s0, s2, s0
	s_addc_u32 s1, s3, s1
	s_load_dwordx2 s[14:15], s[0:1], 0x0
	s_waitcnt vmcnt(1)
	v_mov_b32_e32 v9, v8
	v_max_f32_e32 v8, v6, v6
	v_mov_b32_e32 v10, v7
	s_add_i32 s11, s11, -1
	s_waitcnt lgkmcnt(0)
	v_max_f32_e64 v7, s14, s14
	v_max_f32_e32 v7, v8, v7
	v_sub_f32_e32 v11, s14, v7
	v_sub_f32_e32 v8, v6, v7
	v_mul_f32_e32 v12, 0x3fb8aa3b, v11
	v_mov_b32_e32 v6, v7
	v_mul_f32_e32 v7, 0x3fb8aa3b, v8
	v_fma_f32 v15, v11, s6, -v12
	v_rndne_f32_e32 v16, v12
	v_fma_f32 v13, v8, s6, -v7
	v_rndne_f32_e32 v14, v7
	v_fmac_f32_e32 v15, 0x32a5705f, v11
	v_sub_f32_e32 v12, v12, v16
	v_fmac_f32_e32 v13, 0x32a5705f, v8
	v_sub_f32_e32 v7, v7, v14
	v_add_f32_e32 v12, v12, v15
	v_cvt_i32_f32_e32 v16, v16
	v_add_f32_e32 v7, v7, v13
	v_exp_f32_e32 v12, v12
	v_cvt_i32_f32_e32 v14, v14
	v_exp_f32_e32 v7, v7
	v_cmp_ngt_f32_e32 vcc, s7, v11
	v_ldexp_f32 v12, v12, v16
	v_cmp_ngt_f32_e64 s[0:1], s7, v8
	v_ldexp_f32 v7, v7, v14
	v_cndmask_b32_e32 v12, 0, v12, vcc
	v_cmp_nlt_f32_e32 vcc, s8, v11
	v_cndmask_b32_e64 v7, 0, v7, s[0:1]
	v_cmp_nlt_f32_e64 s[0:1], s8, v8
	v_cndmask_b32_e32 v12, v5, v12, vcc
	v_cmp_le_f32_e32 vcc, s12, v11
	v_cndmask_b32_e64 v7, v5, v7, s[0:1]
	v_cmp_le_f32_e64 s[0:1], s12, v8
	v_cndmask_b32_e32 v8, 0, v12, vcc
	s_add_i32 s4, s4, -4
	v_cndmask_b32_e64 v11, 0, v7, s[0:1]
	v_mul_f32_e32 v7, s15, v8
	v_add_u32_e32 v3, 0xfffffc00, v3
	s_cmp_le_i32 s11, s9
	v_fmac_f32_e32 v7, v10, v11
	s_waitcnt vmcnt(0)
	v_mul_f32_e32 v8, v4, v8
	v_fmac_f32_e32 v8, v9, v11
	s_cbranch_scc0 .LBB24_3
	s_branch .LBB24_5
.LBB24_4:
	s_waitcnt lgkmcnt(0)
	v_mov_b32_e32 v7, s5
.LBB24_5:
	s_waitcnt vmcnt(0)
	v_div_scale_f32 v0, s[0:1], v7, v7, v8
	v_div_scale_f32 v3, vcc, v8, v7, v8
	v_rcp_f32_e32 v4, v0
	v_fma_f32 v5, -v0, v4, 1.0
	v_fmac_f32_e32 v4, v5, v4
	v_mul_f32_e32 v5, v3, v4
	v_fma_f32 v6, -v0, v5, v3
	v_fmac_f32_e32 v5, v6, v4
	v_fma_f32 v0, -v0, v5, v3
	v_div_fmas_f32 v0, v0, v4, v5
	v_div_fixup_f32 v0, v0, v7, v8
	global_store_dword v[1:2], v0, off
.LBB24_6:
	s_endpgm
	.section	.rodata,"a",@progbits
	.p2align	6, 0x0
	.amdhsa_kernel _ZL33flash_attn_stream_k_fixup_uniformILi256ELi1ELi4EEvPfPK15HIP_vector_typeIfLj2EEiiiiiiS1_IjLj3EES5_S5_
		.amdhsa_group_segment_fixed_size 0
		.amdhsa_private_segment_fixed_size 0
		.amdhsa_kernarg_size 76
		.amdhsa_user_sgpr_count 6
		.amdhsa_user_sgpr_private_segment_buffer 1
		.amdhsa_user_sgpr_dispatch_ptr 0
		.amdhsa_user_sgpr_queue_ptr 0
		.amdhsa_user_sgpr_kernarg_segment_ptr 1
		.amdhsa_user_sgpr_dispatch_id 0
		.amdhsa_user_sgpr_flat_scratch_init 0
		.amdhsa_user_sgpr_private_segment_size 0
		.amdhsa_uses_dynamic_stack 0
		.amdhsa_system_sgpr_private_segment_wavefront_offset 0
		.amdhsa_system_sgpr_workgroup_id_x 1
		.amdhsa_system_sgpr_workgroup_id_y 1
		.amdhsa_system_sgpr_workgroup_id_z 1
		.amdhsa_system_sgpr_workgroup_info 0
		.amdhsa_system_vgpr_workitem_id 0
		.amdhsa_next_free_vgpr 17
		.amdhsa_next_free_sgpr 20
		.amdhsa_reserve_vcc 1
		.amdhsa_reserve_flat_scratch 0
		.amdhsa_float_round_mode_32 0
		.amdhsa_float_round_mode_16_64 0
		.amdhsa_float_denorm_mode_32 3
		.amdhsa_float_denorm_mode_16_64 3
		.amdhsa_dx10_clamp 1
		.amdhsa_ieee_mode 1
		.amdhsa_fp16_overflow 0
		.amdhsa_exception_fp_ieee_invalid_op 0
		.amdhsa_exception_fp_denorm_src 0
		.amdhsa_exception_fp_ieee_div_zero 0
		.amdhsa_exception_fp_ieee_overflow 0
		.amdhsa_exception_fp_ieee_underflow 0
		.amdhsa_exception_fp_ieee_inexact 0
		.amdhsa_exception_int_div_zero 0
	.end_amdhsa_kernel
	.section	.text._ZL33flash_attn_stream_k_fixup_uniformILi256ELi1ELi4EEvPfPK15HIP_vector_typeIfLj2EEiiiiiiS1_IjLj3EES5_S5_,"axG",@progbits,_ZL33flash_attn_stream_k_fixup_uniformILi256ELi1ELi4EEvPfPK15HIP_vector_typeIfLj2EEiiiiiiS1_IjLj3EES5_S5_,comdat
.Lfunc_end24:
	.size	_ZL33flash_attn_stream_k_fixup_uniformILi256ELi1ELi4EEvPfPK15HIP_vector_typeIfLj2EEiiiiiiS1_IjLj3EES5_S5_, .Lfunc_end24-_ZL33flash_attn_stream_k_fixup_uniformILi256ELi1ELi4EEvPfPK15HIP_vector_typeIfLj2EEiiiiiiS1_IjLj3EES5_S5_
                                        ; -- End function
	.set _ZL33flash_attn_stream_k_fixup_uniformILi256ELi1ELi4EEvPfPK15HIP_vector_typeIfLj2EEiiiiiiS1_IjLj3EES5_S5_.num_vgpr, 17
	.set _ZL33flash_attn_stream_k_fixup_uniformILi256ELi1ELi4EEvPfPK15HIP_vector_typeIfLj2EEiiiiiiS1_IjLj3EES5_S5_.num_agpr, 0
	.set _ZL33flash_attn_stream_k_fixup_uniformILi256ELi1ELi4EEvPfPK15HIP_vector_typeIfLj2EEiiiiiiS1_IjLj3EES5_S5_.numbered_sgpr, 20
	.set _ZL33flash_attn_stream_k_fixup_uniformILi256ELi1ELi4EEvPfPK15HIP_vector_typeIfLj2EEiiiiiiS1_IjLj3EES5_S5_.num_named_barrier, 0
	.set _ZL33flash_attn_stream_k_fixup_uniformILi256ELi1ELi4EEvPfPK15HIP_vector_typeIfLj2EEiiiiiiS1_IjLj3EES5_S5_.private_seg_size, 0
	.set _ZL33flash_attn_stream_k_fixup_uniformILi256ELi1ELi4EEvPfPK15HIP_vector_typeIfLj2EEiiiiiiS1_IjLj3EES5_S5_.uses_vcc, 1
	.set _ZL33flash_attn_stream_k_fixup_uniformILi256ELi1ELi4EEvPfPK15HIP_vector_typeIfLj2EEiiiiiiS1_IjLj3EES5_S5_.uses_flat_scratch, 0
	.set _ZL33flash_attn_stream_k_fixup_uniformILi256ELi1ELi4EEvPfPK15HIP_vector_typeIfLj2EEiiiiiiS1_IjLj3EES5_S5_.has_dyn_sized_stack, 0
	.set _ZL33flash_attn_stream_k_fixup_uniformILi256ELi1ELi4EEvPfPK15HIP_vector_typeIfLj2EEiiiiiiS1_IjLj3EES5_S5_.has_recursion, 0
	.set _ZL33flash_attn_stream_k_fixup_uniformILi256ELi1ELi4EEvPfPK15HIP_vector_typeIfLj2EEiiiiiiS1_IjLj3EES5_S5_.has_indirect_call, 0
	.section	.AMDGPU.csdata,"",@progbits
; Kernel info:
; codeLenInByte = 828
; TotalNumSgprs: 24
; NumVgprs: 17
; ScratchSize: 0
; MemoryBound: 0
; FloatMode: 240
; IeeeMode: 1
; LDSByteSize: 0 bytes/workgroup (compile time only)
; SGPRBlocks: 2
; VGPRBlocks: 4
; NumSGPRsForWavesPerEU: 24
; NumVGPRsForWavesPerEU: 17
; Occupancy: 10
; WaveLimiterHint : 0
; COMPUTE_PGM_RSRC2:SCRATCH_EN: 0
; COMPUTE_PGM_RSRC2:USER_SGPR: 6
; COMPUTE_PGM_RSRC2:TRAP_HANDLER: 0
; COMPUTE_PGM_RSRC2:TGID_X_EN: 1
; COMPUTE_PGM_RSRC2:TGID_Y_EN: 1
; COMPUTE_PGM_RSRC2:TGID_Z_EN: 1
; COMPUTE_PGM_RSRC2:TIDIG_COMP_CNT: 0
	.section	.text._ZL33flash_attn_stream_k_fixup_generalILi256ELi1ELi4EEvPfPK15HIP_vector_typeIfLj2EEiiiiS1_IjLj3EES5_S5_S5_,"axG",@progbits,_ZL33flash_attn_stream_k_fixup_generalILi256ELi1ELi4EEvPfPK15HIP_vector_typeIfLj2EEiiiiS1_IjLj3EES5_S5_S5_,comdat
	.globl	_ZL33flash_attn_stream_k_fixup_generalILi256ELi1ELi4EEvPfPK15HIP_vector_typeIfLj2EEiiiiS1_IjLj3EES5_S5_S5_ ; -- Begin function _ZL33flash_attn_stream_k_fixup_generalILi256ELi1ELi4EEvPfPK15HIP_vector_typeIfLj2EEiiiiS1_IjLj3EES5_S5_S5_
	.p2align	8
	.type	_ZL33flash_attn_stream_k_fixup_generalILi256ELi1ELi4EEvPfPK15HIP_vector_typeIfLj2EEiiiiS1_IjLj3EES5_S5_S5_,@function
_ZL33flash_attn_stream_k_fixup_generalILi256ELi1ELi4EEvPfPK15HIP_vector_typeIfLj2EEiiiiS1_IjLj3EES5_S5_S5_: ; @_ZL33flash_attn_stream_k_fixup_generalILi256ELi1ELi4EEvPfPK15HIP_vector_typeIfLj2EEiiiiS1_IjLj3EES5_S5_S5_
; %bb.0:
	s_load_dwordx4 s[0:3], s[4:5], 0x10
	s_load_dword s9, s[4:5], 0x50
	s_mov_b32 s12, 0
	s_waitcnt lgkmcnt(0)
	s_mul_hi_i32 s13, s3, s6
	s_cmp_lg_u64 s[12:13], 0
	s_mul_i32 s18, s3, s6
	s_cbranch_scc0 .LBB25_20
; %bb.1:
	s_add_u32 s10, s9, 0
	s_addc_u32 s11, 0, 0
	s_xor_b64 s[10:11], s[10:11], 0
	v_cvt_f32_u32_e32 v1, s10
	v_cvt_f32_u32_e32 v2, s11
	s_sub_u32 s12, 0, s10
	s_subb_u32 s19, 0, s11
	v_madmk_f32 v1, v2, 0x4f800000, v1
	v_rcp_f32_e32 v1, v1
	v_mul_f32_e32 v1, 0x5f7ffffc, v1
	v_mul_f32_e32 v2, 0x2f800000, v1
	v_trunc_f32_e32 v2, v2
	v_madmk_f32 v1, v2, 0xcf800000, v1
	v_cvt_u32_f32_e32 v2, v2
	v_cvt_u32_f32_e32 v1, v1
	v_readfirstlane_b32 s20, v2
	v_readfirstlane_b32 s14, v1
	s_mul_i32 s15, s12, s20
	s_mul_hi_u32 s22, s12, s14
	s_mul_i32 s21, s19, s14
	s_add_i32 s15, s22, s15
	s_add_i32 s15, s15, s21
	s_mul_i32 s23, s12, s14
	s_mul_i32 s22, s14, s15
	s_mul_hi_u32 s24, s14, s23
	s_mul_hi_u32 s21, s14, s15
	s_add_u32 s22, s24, s22
	s_addc_u32 s21, 0, s21
	s_mul_hi_u32 s25, s20, s23
	s_mul_i32 s23, s20, s23
	s_add_u32 s22, s22, s23
	s_mul_hi_u32 s24, s20, s15
	s_addc_u32 s21, s21, s25
	s_addc_u32 s22, s24, 0
	s_mul_i32 s15, s20, s15
	s_add_u32 s15, s21, s15
	s_addc_u32 s21, 0, s22
	s_add_u32 s22, s14, s15
	s_cselect_b64 s[14:15], -1, 0
	s_cmp_lg_u64 s[14:15], 0
	s_addc_u32 s20, s20, s21
	s_mul_i32 s14, s12, s20
	s_mul_hi_u32 s15, s12, s22
	s_add_i32 s14, s15, s14
	s_mul_i32 s19, s19, s22
	s_add_i32 s14, s14, s19
	s_mul_i32 s12, s12, s22
	s_mul_hi_u32 s19, s20, s12
	s_mul_i32 s21, s20, s12
	s_mul_i32 s24, s22, s14
	s_mul_hi_u32 s12, s22, s12
	s_mul_hi_u32 s23, s22, s14
	s_add_u32 s12, s12, s24
	s_addc_u32 s23, 0, s23
	s_add_u32 s12, s12, s21
	s_mul_hi_u32 s15, s20, s14
	s_addc_u32 s12, s23, s19
	s_addc_u32 s15, s15, 0
	s_mul_i32 s14, s20, s14
	s_add_u32 s12, s12, s14
	s_addc_u32 s19, 0, s15
	s_add_u32 s21, s22, s12
	s_cselect_b64 s[14:15], -1, 0
	s_cmp_lg_u64 s[14:15], 0
	s_addc_u32 s19, s20, s19
	s_ashr_i32 s14, s13, 31
	s_add_u32 s12, s18, s14
	s_mov_b32 s15, s14
	s_addc_u32 s13, s13, s14
	s_xor_b64 s[12:13], s[12:13], s[14:15]
	s_mul_i32 s22, s12, s19
	s_mul_hi_u32 s23, s12, s21
	s_mul_hi_u32 s20, s12, s19
	s_add_u32 s22, s23, s22
	s_addc_u32 s20, 0, s20
	s_mul_hi_u32 s24, s13, s21
	s_mul_i32 s21, s13, s21
	s_add_u32 s21, s22, s21
	s_mul_hi_u32 s23, s13, s19
	s_addc_u32 s20, s20, s24
	s_addc_u32 s21, s23, 0
	s_mul_i32 s19, s13, s19
	s_add_u32 s19, s20, s19
	s_addc_u32 s24, 0, s21
	s_mul_i32 s20, s10, s24
	s_mul_hi_u32 s21, s10, s19
	s_add_i32 s20, s21, s20
	s_mul_i32 s21, s11, s19
	s_add_i32 s25, s20, s21
	s_sub_i32 s22, s13, s25
	s_mul_i32 s20, s10, s19
	s_sub_u32 s12, s12, s20
	s_cselect_b64 s[20:21], -1, 0
	s_cmp_lg_u64 s[20:21], 0
	s_subb_u32 s26, s22, s11
	s_sub_u32 s27, s12, s10
	s_cselect_b64 s[22:23], -1, 0
	s_cmp_lg_u64 s[22:23], 0
	s_subb_u32 s22, s26, 0
	s_cmp_ge_u32 s22, s11
	s_cselect_b32 s23, -1, 0
	s_cmp_ge_u32 s27, s10
	s_cselect_b32 s26, -1, 0
	s_cmp_eq_u32 s22, s11
	s_cselect_b32 s22, s26, s23
	s_add_u32 s23, s19, 1
	s_addc_u32 s26, s24, 0
	s_add_u32 s27, s19, 2
	s_addc_u32 s28, s24, 0
	s_cmp_lg_u32 s22, 0
	s_cselect_b32 s22, s27, s23
	s_cselect_b32 s23, s28, s26
	s_cmp_lg_u64 s[20:21], 0
	s_subb_u32 s13, s13, s25
	s_cmp_ge_u32 s13, s11
	s_cselect_b32 s20, -1, 0
	s_cmp_ge_u32 s12, s10
	s_cselect_b32 s10, -1, 0
	s_cmp_eq_u32 s13, s11
	s_cselect_b32 s10, s10, s20
	s_cmp_lg_u32 s10, 0
	s_cselect_b32 s11, s23, s24
	s_cselect_b32 s10, s22, s19
	s_xor_b64 s[12:13], s[14:15], 0
	s_xor_b64 s[10:11], s[10:11], s[12:13]
	s_sub_u32 s10, s10, s12
	s_load_dwordx4 s[12:15], s[4:5], 0x44
	s_cbranch_execnz .LBB25_3
.LBB25_2:
	v_cvt_f32_u32_e32 v1, s9
	s_sub_i32 s10, 0, s9
	v_rcp_iflag_f32_e32 v1, v1
	v_mul_f32_e32 v1, 0x4f7ffffe, v1
	v_cvt_u32_f32_e32 v1, v1
	v_readfirstlane_b32 s11, v1
	s_mul_i32 s10, s10, s11
	s_mul_hi_u32 s10, s11, s10
	s_add_i32 s11, s11, s10
	s_mul_hi_u32 s10, s18, s11
	s_waitcnt lgkmcnt(0)
	s_mul_i32 s15, s10, s9
	s_sub_i32 s15, s18, s15
	s_add_i32 s11, s10, 1
	s_sub_i32 s16, s15, s9
	s_cmp_ge_u32 s15, s9
	s_cselect_b32 s10, s11, s10
	s_cselect_b32 s15, s16, s15
	s_add_i32 s11, s10, 1
	s_cmp_ge_u32 s15, s9
	s_cselect_b32 s10, s11, s10
.LBB25_3:
	s_add_i32 s11, s6, 1
	s_mul_hi_i32 s21, s3, s11
	s_mov_b32 s20, 0
	s_cmp_lg_u64 s[20:21], 0
	s_mul_i32 s11, s3, s11
	s_cbranch_scc0 .LBB25_21
; %bb.4:
	s_add_u32 s16, s9, 0
	s_addc_u32 s17, 0, 0
	s_xor_b64 s[18:19], s[16:17], 0
	v_cvt_f32_u32_e32 v1, s18
	v_cvt_f32_u32_e32 v2, s19
	s_waitcnt lgkmcnt(0)
	s_sub_u32 s15, 0, s18
	s_subb_u32 s20, 0, s19
	v_madmk_f32 v1, v2, 0x4f800000, v1
	v_rcp_f32_e32 v1, v1
	v_mul_f32_e32 v1, 0x5f7ffffc, v1
	v_mul_f32_e32 v2, 0x2f800000, v1
	v_trunc_f32_e32 v2, v2
	v_madmk_f32 v1, v2, 0xcf800000, v1
	v_cvt_u32_f32_e32 v2, v2
	v_cvt_u32_f32_e32 v1, v1
	v_readfirstlane_b32 s24, v2
	v_readfirstlane_b32 s22, v1
	s_mul_i32 s23, s15, s24
	s_mul_hi_u32 s26, s15, s22
	s_mul_i32 s25, s20, s22
	s_add_i32 s23, s26, s23
	s_add_i32 s23, s23, s25
	s_mul_i32 s27, s15, s22
	s_mul_i32 s26, s22, s23
	s_mul_hi_u32 s28, s22, s27
	s_mul_hi_u32 s25, s22, s23
	s_add_u32 s26, s28, s26
	s_addc_u32 s25, 0, s25
	s_mul_hi_u32 s29, s24, s27
	s_mul_i32 s27, s24, s27
	s_add_u32 s26, s26, s27
	s_mul_hi_u32 s28, s24, s23
	s_addc_u32 s25, s25, s29
	s_addc_u32 s26, s28, 0
	s_mul_i32 s23, s24, s23
	s_add_u32 s23, s25, s23
	s_addc_u32 s25, 0, s26
	s_add_u32 s26, s22, s23
	s_cselect_b64 s[22:23], -1, 0
	s_cmp_lg_u64 s[22:23], 0
	s_addc_u32 s24, s24, s25
	s_mul_i32 s22, s15, s24
	s_mul_hi_u32 s23, s15, s26
	s_add_i32 s22, s23, s22
	s_mul_i32 s20, s20, s26
	s_add_i32 s22, s22, s20
	s_mul_i32 s15, s15, s26
	s_mul_hi_u32 s23, s24, s15
	s_mul_i32 s25, s24, s15
	s_mul_i32 s28, s26, s22
	s_mul_hi_u32 s15, s26, s15
	s_mul_hi_u32 s27, s26, s22
	s_add_u32 s15, s15, s28
	s_addc_u32 s27, 0, s27
	s_add_u32 s15, s15, s25
	s_mul_hi_u32 s20, s24, s22
	s_addc_u32 s15, s27, s23
	s_addc_u32 s20, s20, 0
	s_mul_i32 s22, s24, s22
	s_add_u32 s15, s15, s22
	s_addc_u32 s20, 0, s20
	s_add_u32 s15, s26, s15
	s_cselect_b64 s[22:23], -1, 0
	s_cmp_lg_u64 s[22:23], 0
	s_addc_u32 s24, s24, s20
	s_ashr_i32 s22, s21, 31
	s_add_u32 s20, s11, s22
	s_mov_b32 s23, s22
	s_addc_u32 s21, s21, s22
	s_xor_b64 s[20:21], s[20:21], s[22:23]
	s_mul_i32 s26, s20, s24
	s_mul_hi_u32 s27, s20, s15
	s_mul_hi_u32 s25, s20, s24
	s_add_u32 s26, s27, s26
	s_addc_u32 s25, 0, s25
	s_mul_hi_u32 s28, s21, s15
	s_mul_i32 s15, s21, s15
	s_add_u32 s15, s26, s15
	s_mul_hi_u32 s27, s21, s24
	s_addc_u32 s15, s25, s28
	s_addc_u32 s25, s27, 0
	s_mul_i32 s24, s21, s24
	s_add_u32 s15, s15, s24
	s_addc_u32 s28, 0, s25
	s_mul_i32 s24, s18, s28
	s_mul_hi_u32 s25, s18, s15
	s_add_i32 s24, s25, s24
	s_mul_i32 s25, s19, s15
	s_add_i32 s29, s24, s25
	s_sub_i32 s26, s21, s29
	s_mul_i32 s24, s18, s15
	s_sub_u32 s20, s20, s24
	s_cselect_b64 s[24:25], -1, 0
	s_cmp_lg_u64 s[24:25], 0
	s_subb_u32 s30, s26, s19
	s_sub_u32 s31, s20, s18
	s_cselect_b64 s[26:27], -1, 0
	s_cmp_lg_u64 s[26:27], 0
	s_subb_u32 s26, s30, 0
	s_cmp_ge_u32 s26, s19
	s_cselect_b32 s27, -1, 0
	s_cmp_ge_u32 s31, s18
	s_cselect_b32 s30, -1, 0
	s_cmp_eq_u32 s26, s19
	s_cselect_b32 s26, s30, s27
	s_add_u32 s27, s15, 1
	s_addc_u32 s30, s28, 0
	s_add_u32 s31, s15, 2
	s_addc_u32 s33, s28, 0
	s_cmp_lg_u32 s26, 0
	s_cselect_b32 s26, s31, s27
	s_cselect_b32 s27, s33, s30
	s_cmp_lg_u64 s[24:25], 0
	s_subb_u32 s21, s21, s29
	s_cmp_ge_u32 s21, s19
	s_cselect_b32 s24, -1, 0
	s_cmp_ge_u32 s20, s18
	s_cselect_b32 s18, -1, 0
	s_cmp_eq_u32 s21, s19
	s_cselect_b32 s18, s18, s24
	s_cmp_lg_u32 s18, 0
	s_cselect_b32 s19, s27, s28
	s_cselect_b32 s18, s26, s15
	s_xor_b64 s[20:21], s[22:23], 0
	s_xor_b64 s[18:19], s[18:19], s[20:21]
	s_sub_u32 s18, s18, s20
	s_cbranch_execnz .LBB25_6
.LBB25_5:
	v_cvt_f32_u32_e32 v1, s9
	s_waitcnt lgkmcnt(0)
	s_sub_i32 s15, 0, s9
	v_rcp_iflag_f32_e32 v1, v1
	v_mul_f32_e32 v1, 0x4f7ffffe, v1
	v_cvt_u32_f32_e32 v1, v1
	v_readfirstlane_b32 s16, v1
	s_mul_i32 s15, s15, s16
	s_mul_hi_u32 s15, s16, s15
	s_add_i32 s16, s16, s15
	s_mul_hi_u32 s15, s11, s16
	s_mul_i32 s17, s15, s9
	s_sub_i32 s11, s11, s17
	s_add_i32 s16, s15, 1
	s_sub_i32 s17, s11, s9
	s_cmp_ge_u32 s11, s9
	s_cselect_b32 s15, s16, s15
	s_cselect_b32 s11, s17, s11
	s_add_i32 s16, s15, 1
	s_cmp_ge_u32 s11, s9
	s_cselect_b32 s18, s16, s15
.LBB25_6:
	s_cmp_eq_u32 s10, s18
	s_waitcnt lgkmcnt(0)
	s_mul_hi_u32 s11, s10, s12
	s_cselect_b64 s[16:17], -1, 0
	s_add_i32 s11, s11, s10
	s_lshr_b32 s11, s11, s13
	s_mul_i32 s15, s11, s14
	s_cmp_eq_u32 s15, s10
	s_mul_hi_u32 s15, s18, s12
	s_cselect_b64 s[20:21], -1, 0
	s_add_i32 s15, s15, s18
	s_lshr_b32 s15, s15, s13
	s_cmp_eq_u32 s11, s15
	s_mul_i32 s15, s15, s14
	s_cselect_b64 s[22:23], -1, 0
	s_cmp_lg_u32 s15, s18
	s_cselect_b64 s[18:19], -1, 0
	s_and_b64 s[18:19], s[22:23], s[18:19]
	s_or_b64 s[16:17], s[16:17], s[20:21]
	s_or_b64 s[16:17], s[16:17], s[18:19]
	s_and_b64 vcc, exec, s[16:17]
	s_cbranch_vccnz .LBB25_23
; %bb.7:
	s_load_dwordx8 s[20:27], s[4:5], 0x20
	s_load_dword s15, s[4:5], 0x40
	s_waitcnt lgkmcnt(0)
	s_mul_hi_u32 s16, s10, s20
	s_add_i32 s16, s16, s10
	s_lshr_b32 s20, s16, s21
	s_mul_i32 s16, s20, s22
	s_sub_i32 s16, s10, s16
	s_mul_hi_u32 s17, s16, s23
	s_add_i32 s17, s16, s17
	s_lshr_b32 s21, s17, s24
	s_mul_i32 s17, s21, s25
	s_sub_i32 s16, s16, s17
	;; [unrolled: 5-line block ×3, first 2 shown]
	s_mul_hi_u32 s16, s15, s12
	s_add_i32 s15, s15, s16
	s_lshr_b32 s23, s15, s13
	s_lshl_b32 s24, s17, 2
	s_add_i32 s23, s23, s7
	s_cmp_lt_i32 s23, s0
	s_cselect_b64 s[16:17], -1, 0
	s_add_i32 s24, s24, s8
	s_cmp_lt_i32 s24, s2
	s_cselect_b64 s[18:19], -1, 0
	s_and_b64 s[16:17], s[16:17], s[18:19]
	s_andn2_b64 vcc, exec, s[16:17]
	s_cbranch_vccnz .LBB25_23
; %bb.8:
	s_load_dwordx4 s[16:19], s[4:5], 0x0
	s_mov_b32 s4, 0
	s_lshl_b32 s26, s9, 4
	s_mov_b32 s27, s4
	s_lshl_b64 s[26:27], s[26:27], 2
	s_waitcnt lgkmcnt(0)
	s_add_u32 s15, s18, s26
	s_mul_i32 s20, s20, s0
	s_addc_u32 s22, s19, s27
	s_mul_i32 s21, s21, s2
	s_add_i32 s0, s23, s20
	s_mul_i32 s0, s0, s1
	s_add_i32 s1, s24, s21
	s_add_i32 s1, s1, s0
	v_lshl_or_b32 v1, s1, 8, v0
	v_ashrrev_i32_e32 v2, 31, v1
	v_lshlrev_b64 v[1:2], 2, v[1:2]
	v_mov_b32_e32 v3, s17
	v_add_co_u32_e32 v1, vcc, s16, v1
	v_addc_co_u32_e32 v2, vcc, v3, v2, vcc
	global_load_dword v3, v[1:2], off
	s_add_i32 s0, s7, s6
	v_cvt_f32_u32_e32 v4, s9
	s_lshl_b32 s0, s0, 2
	s_add_i32 s0, s0, s8
	s_ashr_i32 s1, s0, 31
	s_lshl_b64 s[0:1], s[0:1], 3
	v_rcp_iflag_f32_e32 v4, v4
	s_add_u32 s0, s18, s0
	s_addc_u32 s1, s19, s1
	s_load_dwordx2 s[0:1], s[0:1], 0x0
	v_mul_f32_e32 v4, 0x4f7ffffe, v4
	v_cvt_u32_f32_e32 v4, v4
	s_add_i32 s25, s6, -1
	v_lshl_or_b32 v0, s8, 8, v0
	s_waitcnt lgkmcnt(0)
	v_mov_b32_e32 v6, s1
	v_mov_b32_e32 v7, s0
	s_mov_b32 s2, 0x3fb8aa3b
	s_mov_b32 s6, 0xc2ce8ed0
	;; [unrolled: 1-line block ×4, first 2 shown]
	v_mov_b32_e32 v5, 0x7f800000
	s_mul_hi_i32 s5, s25, s3
	s_cmp_lg_u64 s[4:5], 0
	s_mul_i32 s20, s25, s3
	s_cbranch_scc0 .LBB25_19
.LBB25_9:
	s_add_u32 s0, s9, 0
	s_addc_u32 s1, 0, 0
	s_xor_b64 s[0:1], s[0:1], 0
	v_cvt_f32_u32_e32 v8, s0
	v_cvt_f32_u32_e32 v9, s1
	s_sub_u32 s21, 0, s0
	s_subb_u32 s26, 0, s1
	v_mac_f32_e32 v8, 0x4f800000, v9
	v_rcp_f32_e32 v8, v8
	v_mul_f32_e32 v8, 0x5f7ffffc, v8
	v_mul_f32_e32 v9, 0x2f800000, v8
	v_trunc_f32_e32 v9, v9
	v_mac_f32_e32 v8, 0xcf800000, v9
	v_cvt_u32_f32_e32 v9, v9
	v_cvt_u32_f32_e32 v8, v8
	v_readfirstlane_b32 s27, v9
	v_readfirstlane_b32 s16, v8
	s_mul_i32 s17, s21, s27
	s_mul_hi_u32 s29, s21, s16
	s_mul_i32 s28, s26, s16
	s_add_i32 s17, s29, s17
	s_mul_i32 s30, s21, s16
	s_add_i32 s17, s17, s28
	s_mul_i32 s29, s16, s17
	s_mul_hi_u32 s31, s16, s30
	s_mul_hi_u32 s28, s16, s17
	s_add_u32 s29, s31, s29
	s_addc_u32 s28, 0, s28
	s_mul_hi_u32 s33, s27, s30
	s_mul_i32 s30, s27, s30
	s_add_u32 s29, s29, s30
	s_mul_hi_u32 s31, s27, s17
	s_addc_u32 s28, s28, s33
	s_addc_u32 s29, s31, 0
	s_mul_i32 s17, s27, s17
	s_add_u32 s17, s28, s17
	s_addc_u32 s28, 0, s29
	s_add_u32 s29, s16, s17
	s_cselect_b64 s[16:17], -1, 0
	s_cmp_lg_u64 s[16:17], 0
	s_addc_u32 s27, s27, s28
	s_mul_i32 s16, s21, s27
	s_mul_hi_u32 s17, s21, s29
	s_add_i32 s16, s17, s16
	s_mul_i32 s26, s26, s29
	s_add_i32 s16, s16, s26
	s_mul_i32 s21, s21, s29
	s_mul_hi_u32 s26, s27, s21
	s_mul_i32 s28, s27, s21
	s_mul_i32 s31, s29, s16
	s_mul_hi_u32 s21, s29, s21
	s_mul_hi_u32 s30, s29, s16
	s_add_u32 s21, s21, s31
	s_addc_u32 s30, 0, s30
	s_add_u32 s21, s21, s28
	s_mul_hi_u32 s17, s27, s16
	s_addc_u32 s21, s30, s26
	s_addc_u32 s17, s17, 0
	s_mul_i32 s16, s27, s16
	s_add_u32 s16, s21, s16
	s_addc_u32 s21, 0, s17
	s_add_u32 s28, s29, s16
	s_cselect_b64 s[16:17], -1, 0
	s_cmp_lg_u64 s[16:17], 0
	s_addc_u32 s21, s27, s21
	s_ashr_i32 s16, s5, 31
	s_add_u32 s26, s20, s16
	s_mov_b32 s17, s16
	s_addc_u32 s27, s5, s16
	s_xor_b64 s[26:27], s[26:27], s[16:17]
	s_mul_i32 s29, s26, s21
	s_mul_hi_u32 s30, s26, s28
	s_mul_hi_u32 s5, s26, s21
	s_add_u32 s29, s30, s29
	s_addc_u32 s5, 0, s5
	s_mul_hi_u32 s31, s27, s28
	s_mul_i32 s28, s27, s28
	s_add_u32 s28, s29, s28
	s_mul_hi_u32 s30, s27, s21
	s_addc_u32 s5, s5, s31
	s_addc_u32 s28, s30, 0
	s_mul_i32 s21, s27, s21
	s_add_u32 s5, s5, s21
	s_addc_u32 s21, 0, s28
	s_mul_i32 s28, s0, s21
	s_mul_hi_u32 s29, s0, s5
	s_add_i32 s28, s29, s28
	s_mul_i32 s29, s1, s5
	s_add_i32 s33, s28, s29
	s_sub_i32 s30, s27, s33
	s_mul_i32 s28, s0, s5
	s_sub_u32 s26, s26, s28
	s_cselect_b64 s[28:29], -1, 0
	s_cmp_lg_u64 s[28:29], 0
	s_subb_u32 s34, s30, s1
	s_sub_u32 s35, s26, s0
	s_cselect_b64 s[30:31], -1, 0
	s_cmp_lg_u64 s[30:31], 0
	s_subb_u32 s30, s34, 0
	s_cmp_ge_u32 s30, s1
	s_cselect_b32 s31, -1, 0
	s_cmp_ge_u32 s35, s0
	s_cselect_b32 s34, -1, 0
	s_cmp_eq_u32 s30, s1
	s_cselect_b32 s30, s34, s31
	s_add_u32 s31, s5, 1
	s_addc_u32 s34, s21, 0
	s_add_u32 s35, s5, 2
	s_addc_u32 s36, s21, 0
	s_cmp_lg_u32 s30, 0
	s_cselect_b32 s30, s35, s31
	s_cselect_b32 s31, s36, s34
	s_cmp_lg_u64 s[28:29], 0
	s_subb_u32 s27, s27, s33
	s_cmp_ge_u32 s27, s1
	s_cselect_b32 s28, -1, 0
	s_cmp_ge_u32 s26, s0
	s_cselect_b32 s0, -1, 0
	s_cmp_eq_u32 s27, s1
	s_cselect_b32 s0, s0, s28
	s_cmp_lg_u32 s0, 0
	s_cselect_b32 s1, s31, s21
	s_cselect_b32 s0, s30, s5
	s_xor_b64 s[16:17], s[16:17], 0
	s_xor_b64 s[0:1], s[0:1], s[16:17]
	s_sub_u32 s16, s0, s16
	s_cbranch_execnz .LBB25_11
.LBB25_10:
	s_sub_i32 s0, 0, s9
	v_readfirstlane_b32 s1, v4
	s_mul_i32 s0, s0, s1
	s_mul_hi_u32 s0, s1, s0
	s_add_i32 s1, s1, s0
	s_mul_hi_u32 s0, s20, s1
	s_mul_i32 s5, s0, s9
	s_sub_i32 s5, s20, s5
	s_add_i32 s1, s0, 1
	s_sub_i32 s16, s5, s9
	s_cmp_ge_u32 s5, s9
	s_cselect_b32 s0, s1, s0
	s_cselect_b32 s5, s16, s5
	s_add_i32 s1, s0, 1
	s_cmp_ge_u32 s5, s9
	s_cselect_b32 s16, s1, s0
.LBB25_11:
	s_cmp_lg_u32 s10, s16
	s_mov_b64 s[20:21], -1
                                        ; implicit-def: $sgpr0_sgpr1
                                        ; implicit-def: $vgpr10
                                        ; implicit-def: $vgpr8
                                        ; implicit-def: $vgpr9
                                        ; implicit-def: $sgpr5
                                        ; implicit-def: $sgpr17
	s_cbranch_scc1 .LBB25_14
; %bb.12:
	s_andn2_b64 vcc, exec, s[20:21]
	s_cbranch_vccz .LBB25_17
.LBB25_13:
	s_andn2_b64 vcc, exec, s[0:1]
	s_cbranch_vccnz .LBB25_18
	s_branch .LBB25_22
.LBB25_14:
	s_add_i32 s26, s25, s7
	s_add_i32 s0, s26, s9
	s_lshl_b32 s0, s0, 2
	s_add_i32 s0, s0, s8
	s_mov_b32 s1, s4
	s_lshl_b64 s[0:1], s[0:1], 3
	s_add_u32 s20, s18, s0
	s_mul_hi_u32 s0, s16, s12
	s_addc_u32 s21, s19, s1
	s_add_i32 s0, s0, s16
	s_lshr_b32 s5, s0, s13
	s_mul_i32 s0, s5, s14
	s_cmp_eq_u32 s0, s16
	s_cselect_b64 s[0:1], -1, 0
	s_cmp_lt_u32 s5, s11
	s_cselect_b64 s[28:29], -1, 0
	s_or_b64 s[28:29], s[28:29], s[0:1]
	s_mov_b64 s[0:1], -1
	s_and_b64 vcc, exec, s[28:29]
	s_mov_b32 s5, s25
	s_mov_b32 s17, s10
	s_cbranch_vccnz .LBB25_16
; %bb.15:
	s_add_i32 s5, s25, -1
	s_mov_b64 s[0:1], 0
	s_mov_b32 s17, s16
.LBB25_16:
	v_lshl_add_u32 v8, s26, 10, v0
	v_ashrrev_i32_e32 v9, 31, v8
	v_lshlrev_b64 v[8:9], 2, v[8:9]
	v_mov_b32_e32 v10, s22
	v_add_co_u32_e32 v8, vcc, s15, v8
	v_addc_co_u32_e32 v9, vcc, v10, v9, vcc
	global_load_dword v10, v[8:9], off
	s_load_dwordx2 s[20:21], s[20:21], 0x0
	v_max_f32_e32 v8, v7, v7
	s_waitcnt lgkmcnt(0)
	v_max_f32_e64 v9, s20, s20
	v_max_f32_e32 v8, v8, v9
	v_sub_f32_e32 v9, v7, v8
	v_sub_f32_e32 v11, s20, v8
	v_mul_f32_e32 v12, 0x3fb8aa3b, v9
	v_mul_f32_e32 v13, 0x3fb8aa3b, v11
	v_fma_f32 v14, v9, s2, -v12
	v_rndne_f32_e32 v15, v12
	v_fma_f32 v16, v11, s2, -v13
	v_rndne_f32_e32 v17, v13
	v_fmac_f32_e32 v14, 0x32a5705f, v9
	v_sub_f32_e32 v12, v12, v15
	v_fmac_f32_e32 v16, 0x32a5705f, v11
	v_sub_f32_e32 v13, v13, v17
	v_add_f32_e32 v12, v12, v14
	v_cvt_i32_f32_e32 v15, v15
	v_add_f32_e32 v13, v13, v16
	v_exp_f32_e32 v12, v12
	v_cvt_i32_f32_e32 v17, v17
	v_exp_f32_e32 v13, v13
	v_cmp_ngt_f32_e32 vcc, s6, v9
	v_ldexp_f32 v12, v12, v15
	v_cndmask_b32_e32 v12, 0, v12, vcc
	v_ldexp_f32 v13, v13, v17
	v_cmp_ngt_f32_e32 vcc, s6, v11
	v_cndmask_b32_e32 v13, 0, v13, vcc
	v_cmp_nlt_f32_e32 vcc, s23, v9
	v_cndmask_b32_e32 v12, v5, v12, vcc
	v_cmp_nlt_f32_e32 vcc, s23, v11
	v_cndmask_b32_e32 v13, v5, v13, vcc
	v_cmp_le_f32_e32 vcc, s24, v9
	v_cndmask_b32_e32 v12, 0, v12, vcc
	v_cmp_le_f32_e32 vcc, s24, v11
	v_cndmask_b32_e32 v11, 0, v13, vcc
	v_mul_f32_e32 v9, s21, v11
	v_fmac_f32_e32 v9, v6, v12
	s_waitcnt vmcnt(0)
	v_mul_f32_e32 v10, v10, v11
	v_fmac_f32_e32 v10, v3, v12
	s_cbranch_execnz .LBB25_13
.LBB25_17:
	s_add_i32 s5, s25, -1
	s_mov_b32 s17, s10
	v_mov_b32_e32 v9, v6
	v_mov_b32_e32 v8, v7
	s_waitcnt vmcnt(0)
	v_mov_b32_e32 v10, v3
	s_cbranch_execz .LBB25_22
.LBB25_18:
	s_mov_b32 s10, s17
	s_mov_b32 s25, s5
	v_mov_b32_e32 v6, v9
	v_mov_b32_e32 v7, v8
	s_waitcnt vmcnt(0)
	v_mov_b32_e32 v3, v10
	s_mul_hi_i32 s5, s25, s3
	s_cmp_lg_u64 s[4:5], 0
	s_mul_i32 s20, s25, s3
	s_cbranch_scc1 .LBB25_9
.LBB25_19:
                                        ; implicit-def: $sgpr16_sgpr17
	s_branch .LBB25_10
.LBB25_20:
                                        ; implicit-def: $sgpr10_sgpr11
	s_load_dwordx4 s[12:15], s[4:5], 0x44
	s_branch .LBB25_2
.LBB25_21:
                                        ; implicit-def: $sgpr18_sgpr19
	s_branch .LBB25_5
.LBB25_22:
	v_div_scale_f32 v0, s[0:1], v9, v9, v10
	s_waitcnt vmcnt(0)
	v_div_scale_f32 v3, vcc, v10, v9, v10
	v_rcp_f32_e32 v4, v0
	v_fma_f32 v5, -v0, v4, 1.0
	v_fmac_f32_e32 v4, v5, v4
	v_mul_f32_e32 v5, v3, v4
	v_fma_f32 v6, -v0, v5, v3
	v_fmac_f32_e32 v5, v6, v4
	v_fma_f32 v0, -v0, v5, v3
	v_div_fmas_f32 v0, v0, v4, v5
	v_div_fixup_f32 v0, v0, v9, v10
	global_store_dword v[1:2], v0, off
.LBB25_23:
	s_endpgm
	.section	.rodata,"a",@progbits
	.p2align	6, 0x0
	.amdhsa_kernel _ZL33flash_attn_stream_k_fixup_generalILi256ELi1ELi4EEvPfPK15HIP_vector_typeIfLj2EEiiiiS1_IjLj3EES5_S5_S5_
		.amdhsa_group_segment_fixed_size 0
		.amdhsa_private_segment_fixed_size 0
		.amdhsa_kernarg_size 336
		.amdhsa_user_sgpr_count 6
		.amdhsa_user_sgpr_private_segment_buffer 1
		.amdhsa_user_sgpr_dispatch_ptr 0
		.amdhsa_user_sgpr_queue_ptr 0
		.amdhsa_user_sgpr_kernarg_segment_ptr 1
		.amdhsa_user_sgpr_dispatch_id 0
		.amdhsa_user_sgpr_flat_scratch_init 0
		.amdhsa_user_sgpr_private_segment_size 0
		.amdhsa_uses_dynamic_stack 0
		.amdhsa_system_sgpr_private_segment_wavefront_offset 0
		.amdhsa_system_sgpr_workgroup_id_x 1
		.amdhsa_system_sgpr_workgroup_id_y 1
		.amdhsa_system_sgpr_workgroup_id_z 1
		.amdhsa_system_sgpr_workgroup_info 0
		.amdhsa_system_vgpr_workitem_id 0
		.amdhsa_next_free_vgpr 18
		.amdhsa_next_free_sgpr 37
		.amdhsa_reserve_vcc 1
		.amdhsa_reserve_flat_scratch 0
		.amdhsa_float_round_mode_32 0
		.amdhsa_float_round_mode_16_64 0
		.amdhsa_float_denorm_mode_32 3
		.amdhsa_float_denorm_mode_16_64 3
		.amdhsa_dx10_clamp 1
		.amdhsa_ieee_mode 1
		.amdhsa_fp16_overflow 0
		.amdhsa_exception_fp_ieee_invalid_op 0
		.amdhsa_exception_fp_denorm_src 0
		.amdhsa_exception_fp_ieee_div_zero 0
		.amdhsa_exception_fp_ieee_overflow 0
		.amdhsa_exception_fp_ieee_underflow 0
		.amdhsa_exception_fp_ieee_inexact 0
		.amdhsa_exception_int_div_zero 0
	.end_amdhsa_kernel
	.section	.text._ZL33flash_attn_stream_k_fixup_generalILi256ELi1ELi4EEvPfPK15HIP_vector_typeIfLj2EEiiiiS1_IjLj3EES5_S5_S5_,"axG",@progbits,_ZL33flash_attn_stream_k_fixup_generalILi256ELi1ELi4EEvPfPK15HIP_vector_typeIfLj2EEiiiiS1_IjLj3EES5_S5_S5_,comdat
.Lfunc_end25:
	.size	_ZL33flash_attn_stream_k_fixup_generalILi256ELi1ELi4EEvPfPK15HIP_vector_typeIfLj2EEiiiiS1_IjLj3EES5_S5_S5_, .Lfunc_end25-_ZL33flash_attn_stream_k_fixup_generalILi256ELi1ELi4EEvPfPK15HIP_vector_typeIfLj2EEiiiiS1_IjLj3EES5_S5_S5_
                                        ; -- End function
	.set _ZL33flash_attn_stream_k_fixup_generalILi256ELi1ELi4EEvPfPK15HIP_vector_typeIfLj2EEiiiiS1_IjLj3EES5_S5_S5_.num_vgpr, 18
	.set _ZL33flash_attn_stream_k_fixup_generalILi256ELi1ELi4EEvPfPK15HIP_vector_typeIfLj2EEiiiiS1_IjLj3EES5_S5_S5_.num_agpr, 0
	.set _ZL33flash_attn_stream_k_fixup_generalILi256ELi1ELi4EEvPfPK15HIP_vector_typeIfLj2EEiiiiS1_IjLj3EES5_S5_S5_.numbered_sgpr, 37
	.set _ZL33flash_attn_stream_k_fixup_generalILi256ELi1ELi4EEvPfPK15HIP_vector_typeIfLj2EEiiiiS1_IjLj3EES5_S5_S5_.num_named_barrier, 0
	.set _ZL33flash_attn_stream_k_fixup_generalILi256ELi1ELi4EEvPfPK15HIP_vector_typeIfLj2EEiiiiS1_IjLj3EES5_S5_S5_.private_seg_size, 0
	.set _ZL33flash_attn_stream_k_fixup_generalILi256ELi1ELi4EEvPfPK15HIP_vector_typeIfLj2EEiiiiS1_IjLj3EES5_S5_S5_.uses_vcc, 1
	.set _ZL33flash_attn_stream_k_fixup_generalILi256ELi1ELi4EEvPfPK15HIP_vector_typeIfLj2EEiiiiS1_IjLj3EES5_S5_S5_.uses_flat_scratch, 0
	.set _ZL33flash_attn_stream_k_fixup_generalILi256ELi1ELi4EEvPfPK15HIP_vector_typeIfLj2EEiiiiS1_IjLj3EES5_S5_S5_.has_dyn_sized_stack, 0
	.set _ZL33flash_attn_stream_k_fixup_generalILi256ELi1ELi4EEvPfPK15HIP_vector_typeIfLj2EEiiiiS1_IjLj3EES5_S5_S5_.has_recursion, 0
	.set _ZL33flash_attn_stream_k_fixup_generalILi256ELi1ELi4EEvPfPK15HIP_vector_typeIfLj2EEiiiiS1_IjLj3EES5_S5_S5_.has_indirect_call, 0
	.section	.AMDGPU.csdata,"",@progbits
; Kernel info:
; codeLenInByte = 2920
; TotalNumSgprs: 41
; NumVgprs: 18
; ScratchSize: 0
; MemoryBound: 0
; FloatMode: 240
; IeeeMode: 1
; LDSByteSize: 0 bytes/workgroup (compile time only)
; SGPRBlocks: 5
; VGPRBlocks: 4
; NumSGPRsForWavesPerEU: 41
; NumVGPRsForWavesPerEU: 18
; Occupancy: 10
; WaveLimiterHint : 0
; COMPUTE_PGM_RSRC2:SCRATCH_EN: 0
; COMPUTE_PGM_RSRC2:USER_SGPR: 6
; COMPUTE_PGM_RSRC2:TRAP_HANDLER: 0
; COMPUTE_PGM_RSRC2:TGID_X_EN: 1
; COMPUTE_PGM_RSRC2:TGID_Y_EN: 1
; COMPUTE_PGM_RSRC2:TGID_Z_EN: 1
; COMPUTE_PGM_RSRC2:TIDIG_COMP_CNT: 0
	.section	.text._ZL15flash_attn_tileILi256ELi256ELi16ELi2ELb0EEvPKcS1_S1_S1_S1_PKiPfP15HIP_vector_typeIfLj2EEffffjfiS5_IjLj3EEiiiiiiiiiiiliiliiiiil,"axG",@progbits,_ZL15flash_attn_tileILi256ELi256ELi16ELi2ELb0EEvPKcS1_S1_S1_S1_PKiPfP15HIP_vector_typeIfLj2EEffffjfiS5_IjLj3EEiiiiiiiiiiiliiliiiiil,comdat
	.globl	_ZL15flash_attn_tileILi256ELi256ELi16ELi2ELb0EEvPKcS1_S1_S1_S1_PKiPfP15HIP_vector_typeIfLj2EEffffjfiS5_IjLj3EEiiiiiiiiiiiliiliiiiil ; -- Begin function _ZL15flash_attn_tileILi256ELi256ELi16ELi2ELb0EEvPKcS1_S1_S1_S1_PKiPfP15HIP_vector_typeIfLj2EEffffjfiS5_IjLj3EEiiiiiiiiiiiliiliiiiil
	.p2align	8
	.type	_ZL15flash_attn_tileILi256ELi256ELi16ELi2ELb0EEvPKcS1_S1_S1_S1_PKiPfP15HIP_vector_typeIfLj2EEffffjfiS5_IjLj3EEiiiiiiiiiiiliiliiiiil,@function
_ZL15flash_attn_tileILi256ELi256ELi16ELi2ELb0EEvPKcS1_S1_S1_S1_PKiPfP15HIP_vector_typeIfLj2EEffffjfiS5_IjLj3EEiiiiiiiiiiiliiliiiiil: ; @_ZL15flash_attn_tileILi256ELi256ELi16ELi2ELb0EEvPKcS1_S1_S1_S1_PKiPfP15HIP_vector_typeIfLj2EEffffjfiS5_IjLj3EEiiiiiiiiiiiliiliiiiil
; %bb.0:
	s_load_dwordx4 s[0:3], s[4:5], 0x5c
	s_load_dwordx2 s[30:31], s[4:5], 0x80
	s_load_dwordx2 s[36:37], s[4:5], 0xb8
	s_mov_b64 s[34:35], 0
	s_waitcnt lgkmcnt(0)
	s_lshr_b32 s9, s3, 31
	s_add_i32 s9, s3, s9
	s_ashr_i32 s9, s9, 1
	v_cvt_f32_u32_e32 v2, s9
	s_sub_i32 s10, 0, s9
	v_rcp_iflag_f32_e32 v2, v2
	v_mul_f32_e32 v2, 0x4f7ffffe, v2
	v_cvt_u32_f32_e32 v2, v2
	v_readfirstlane_b32 s11, v2
	s_mul_i32 s10, s10, s11
	s_mul_hi_u32 s10, s11, s10
	s_add_i32 s11, s11, s10
	s_mul_hi_u32 s10, s8, s11
	s_mul_i32 s11, s10, s9
	s_sub_i32 s11, s8, s11
	s_add_i32 s12, s10, 1
	s_sub_i32 s13, s11, s9
	s_cmp_ge_u32 s11, s9
	s_cselect_b32 s10, s12, s10
	s_cselect_b32 s11, s13, s11
	s_add_i32 s12, s10, 1
	s_cmp_ge_u32 s11, s9
	s_cselect_b32 s33, s12, s10
	s_abs_i32 s9, s31
	v_cvt_f32_u32_e32 v2, s9
	s_lshl_b32 s8, s8, 1
	s_mul_i32 s12, s33, s3
	s_sub_i32 s13, 0, s9
	v_rcp_iflag_f32_e32 v2, v2
	s_sub_i32 s28, s8, s12
	s_abs_i32 s11, s3
	s_xor_b32 s10, s3, s31
	v_mul_f32_e32 v2, 0x4f7ffffe, v2
	v_cvt_u32_f32_e32 v2, v2
	s_ashr_i32 s10, s10, 31
	v_readfirstlane_b32 s8, v2
	s_mul_i32 s13, s13, s8
	s_mul_hi_u32 s12, s8, s13
	s_add_i32 s8, s8, s12
	s_mul_hi_u32 s8, s11, s8
	s_mul_i32 s12, s8, s9
	s_sub_i32 s11, s11, s12
	s_add_i32 s13, s8, 1
	s_sub_i32 s12, s11, s9
	s_cmp_ge_u32 s11, s9
	s_cselect_b32 s8, s13, s8
	s_cselect_b32 s11, s12, s11
	s_add_i32 s12, s8, 1
	s_cmp_ge_u32 s11, s9
	s_cselect_b32 s8, s12, s8
	s_xor_b32 s8, s8, s10
	s_sub_i32 s31, s8, s10
	s_abs_i32 s29, s31
	v_cvt_f32_u32_e32 v2, s29
	s_load_dwordx16 s[8:23], s[4:5], 0x0
	v_rcp_iflag_f32_e32 v2, v2
	s_waitcnt lgkmcnt(0)
	s_cmp_eq_u64 s[14:15], 0
	v_mul_f32_e32 v2, 0x4f7ffffe, v2
	v_cvt_u32_f32_e32 v2, v2
	v_readfirstlane_b32 s38, v2
	s_cbranch_scc1 .LBB26_2
; %bb.1:
	s_abs_i32 s26, s36
	v_cvt_f32_u32_e32 v2, s26
	s_sub_i32 s35, 0, s26
	s_abs_i32 s34, s33
	s_ashr_i32 s27, s33, 31
	v_rcp_iflag_f32_e32 v2, v2
	s_load_dwordx2 s[24:25], s[4:5], 0xc8
	v_mul_f32_e32 v2, 0x4f7ffffe, v2
	v_cvt_u32_f32_e32 v2, v2
	v_readfirstlane_b32 s36, v2
	s_mul_i32 s35, s35, s36
	s_mul_hi_u32 s35, s36, s35
	s_add_i32 s36, s36, s35
	s_mul_hi_u32 s35, s34, s36
	s_mul_i32 s35, s35, s26
	s_sub_i32 s34, s34, s35
	s_sub_i32 s35, s34, s26
	s_cmp_ge_u32 s34, s26
	s_cselect_b32 s34, s35, s34
	s_sub_i32 s35, s34, s26
	s_cmp_ge_u32 s34, s26
	s_cselect_b32 s26, s35, s34
	s_xor_b32 s26, s26, s27
	s_sub_i32 s26, s26, s27
	s_ashr_i32 s27, s26, 31
	s_waitcnt lgkmcnt(0)
	s_mul_hi_u32 s34, s24, s26
	s_mul_i32 s27, s24, s27
	s_mul_i32 s25, s25, s26
	s_add_i32 s27, s34, s27
	s_add_i32 s27, s27, s25
	s_mul_i32 s24, s24, s26
	s_add_u32 s34, s14, s24
	s_addc_u32 s35, s15, s27
.LBB26_2:
	s_lshl_b32 s14, s6, 4
	v_lshlrev_b32_e32 v22, 1, v1
	s_load_dwordx4 s[24:27], s[4:5], 0x70
	v_add_u32_e32 v23, s14, v22
	v_mul_hi_u32 v2, v23, s0
	v_lshlrev_b32_e32 v40, 4, v0
	v_lshlrev_b32_e32 v21, 2, v1
	s_waitcnt lgkmcnt(0)
	s_mul_i32 s15, s33, s26
	v_add_u32_e32 v2, v23, v2
	s_ashr_i32 s27, s15, 31
	v_lshrrev_b32_e32 v2, s1, v2
	s_mul_i32 s26, s28, s25
	s_add_u32 s8, s8, s15
	v_mul_lo_u32 v2, v2, s2
	s_addc_u32 s9, s9, s27
	s_ashr_i32 s15, s26, 31
	s_add_u32 s36, s8, s26
	s_addc_u32 s15, s9, s15
	s_ashr_i32 s27, s24, 31
	s_mov_b32 s26, s24
	s_lshr_b64 s[8:9], s[26:27], 2
	v_sub_u32_e32 v2, v23, v2
	v_mad_u64_u32 v[3:4], s[40:41], s8, v2, 0
	s_lshr_b32 s39, s27, 2
	v_or_b32_e32 v45, 2, v21
	v_mad_u64_u32 v[4:5], s[26:27], s39, v2, v[4:5]
	v_lshrrev_b32_e32 v19, 1, v45
	v_add_u32_e32 v20, s14, v19
	v_lshlrev_b64 v[12:13], 2, v[3:4]
	v_mov_b32_e32 v3, s15
	v_add_co_u32_e32 v4, vcc, s36, v12
	v_addc_co_u32_e32 v3, vcc, v3, v13, vcc
	v_add_co_u32_e32 v14, vcc, v4, v40
	v_addc_co_u32_e32 v15, vcc, 0, v3, vcc
	global_load_dwordx4 v[4:7], v[14:15], off
	global_load_dwordx4 v[8:11], v[14:15], off offset:512
	v_mul_hi_u32 v3, v20, s0
	s_ashr_i32 s9, s25, 31
	s_and_b32 s24, s25, -4
	s_add_u32 s26, s36, s24
	v_add_u32_e32 v3, v20, v3
	v_lshrrev_b32_e32 v3, s1, v3
	v_mul_lo_u32 v3, v3, s2
	s_addc_u32 s27, s15, s9
	v_mov_b32_e32 v14, s27
	v_add_co_u32_e32 v12, vcc, s26, v12
	v_sub_u32_e32 v18, v20, v3
	v_mad_u64_u32 v[16:17], s[24:25], s8, v18, 0
	v_addc_co_u32_e32 v13, vcc, v14, v13, vcc
	v_mov_b32_e32 v3, v17
	v_add_co_u32_e32 v24, vcc, v12, v40
	v_addc_co_u32_e32 v25, vcc, 0, v13, vcc
	global_load_dwordx4 v[12:15], v[24:25], off
	s_cmp_eq_u64 s[18:19], 0
	global_load_dwordx4 v[25:28], v[24:25], off offset:512
	s_waitcnt vmcnt(3)
	v_mad_u64_u32 v[17:18], s[24:25], s39, v18, v[3:4]
	v_mov_b32_e32 v3, s15
	v_lshlrev_b64 v[29:30], 2, v[16:17]
	v_or_b32_e32 v16, 3, v21
	v_lshrrev_b32_e32 v17, 1, v16
	v_add_u32_e32 v18, s14, v17
	v_mul_hi_u32 v21, v18, s0
	v_add_co_u32_e32 v24, vcc, s36, v29
	v_addc_co_u32_e32 v3, vcc, v3, v30, vcc
	v_add_u32_e32 v21, v18, v21
	v_lshrrev_b32_e32 v21, s1, v21
	v_mul_lo_u32 v21, v21, s2
	v_add_co_u32_e32 v33, vcc, v24, v40
	v_addc_co_u32_e32 v34, vcc, 0, v3, vcc
	v_sub_u32_e32 v21, v18, v21
	v_mad_u64_u32 v[37:38], s[8:9], s8, v21, 0
	global_load_dwordx4 v[29:32], v[33:34], off
	v_lshlrev_b32_e32 v24, 11, v1
	v_mov_b32_e32 v3, v38
	v_mad_u64_u32 v[38:39], s[8:9], s39, v21, v[3:4]
	v_mov_b32_e32 v3, s27
	s_load_dword s8, s[4:5], 0x40
	v_lshlrev_b64 v[37:38], 2, v[37:38]
	v_add_co_u32_e32 v21, vcc, s26, v37
	v_addc_co_u32_e32 v3, vcc, v3, v38, vcc
	v_add_co_u32_e32 v41, vcc, v21, v40
	v_addc_co_u32_e32 v42, vcc, 0, v3, vcc
	global_load_dwordx4 v[37:40], v[41:42], off
	s_waitcnt lgkmcnt(0)
	v_fma_mixlo_f16 v4, s8, v4, 0
	global_load_dwordx4 v[33:36], v[33:34], off offset:512
	v_fma_mixlo_f16 v5, s8, v5, 0
	global_load_dwordx4 v[41:44], v[41:42], off offset:512
	v_lshlrev_b32_e32 v5, 16, v5
	v_and_b32_e32 v4, 0xffff, v4
	v_or_b32_e32 v4, v5, v4
	v_fma_mixlo_f16 v5, s8, v6, 0
	v_fma_mixlo_f16 v6, s8, v7, 0
	v_lshlrev_b32_e32 v6, 16, v6
	v_and_b32_e32 v5, 0xffff, v5
	v_or3_b32 v5, v6, v5, 0
	s_waitcnt vmcnt(6)
	v_fma_mixlo_f16 v6, s8, v8, 0
	v_fma_mixlo_f16 v7, s8, v9, 0
	v_lshlrev_b32_e32 v7, 16, v7
	v_and_b32_e32 v6, 0xffff, v6
	v_or_b32_e32 v6, v7, v6
	v_fma_mixlo_f16 v7, s8, v10, 0
	v_fma_mixlo_f16 v8, s8, v11, 0
	v_lshlrev_b32_e32 v3, 3, v0
	v_lshlrev_b32_e32 v8, 16, v8
	v_and_b32_e32 v7, 0xffff, v7
	v_or_b32_e32 v21, v3, v24
	v_or3_b32 v4, 0, 0, v4
	v_or3_b32 v7, v8, v7, 0
	;; [unrolled: 1-line block ×3, first 2 shown]
	ds_write2_b64 v21, v[4:5], v[6:7] offset1:32
	s_waitcnt vmcnt(5)
	v_fma_mixlo_f16 v4, s8, v12, 0
	v_fma_mixlo_f16 v5, s8, v13, 0
	v_lshlrev_b32_e32 v5, 16, v5
	v_and_b32_e32 v4, 0xffff, v4
	v_or_b32_e32 v4, v5, v4
	v_fma_mixlo_f16 v5, s8, v14, 0
	v_fma_mixlo_f16 v6, s8, v15, 0
	v_lshlrev_b32_e32 v6, 16, v6
	v_and_b32_e32 v5, 0xffff, v5
	v_or3_b32 v5, v6, v5, 0
	s_waitcnt vmcnt(4)
	v_fma_mixlo_f16 v6, s8, v25, 0
	v_fma_mixlo_f16 v7, s8, v26, 0
	v_lshlrev_b32_e32 v7, 16, v7
	v_and_b32_e32 v6, 0xffff, v6
	v_or_b32_e32 v6, v7, v6
	v_fma_mixlo_f16 v7, s8, v27, 0
	v_fma_mixlo_f16 v8, s8, v28, 0
	v_lshlrev_b32_e32 v8, 16, v8
	v_and_b32_e32 v7, 0xffff, v7
	v_or3_b32 v4, 0, 0, v4
	v_or3_b32 v7, v8, v7, 0
	;; [unrolled: 1-line block ×3, first 2 shown]
	ds_write2_b64 v21, v[4:5], v[6:7] offset0:64 offset1:96
	v_lshl_add_u32 v8, v45, 9, v3
	s_waitcnt vmcnt(3)
	v_fma_mixlo_f16 v4, s8, v29, 0
	v_fma_mixlo_f16 v5, s8, v30, 0
	v_lshlrev_b32_e32 v5, 16, v5
	v_and_b32_e32 v4, 0xffff, v4
	v_or_b32_e32 v4, v5, v4
	v_fma_mixlo_f16 v5, s8, v31, 0
	v_fma_mixlo_f16 v6, s8, v32, 0
	v_lshlrev_b32_e32 v6, 16, v6
	v_and_b32_e32 v5, 0xffff, v5
	v_or3_b32 v5, v6, v5, 0
	v_or3_b32 v4, 0, 0, v4
	s_waitcnt vmcnt(1)
	v_fma_mixlo_f16 v6, s8, v33, 0
	v_fma_mixlo_f16 v7, s8, v34, 0
	v_lshlrev_b32_e32 v7, 16, v7
	v_and_b32_e32 v6, 0xffff, v6
	v_or_b32_e32 v6, v7, v6
	v_fma_mixlo_f16 v7, s8, v35, 0
	v_fma_mixlo_f16 v9, s8, v36, 0
	v_lshlrev_b32_e32 v9, 16, v9
	v_and_b32_e32 v7, 0xffff, v7
	v_or3_b32 v7, v9, v7, 0
	v_or3_b32 v6, 0, 0, v6
	ds_write2_b64 v8, v[4:5], v[6:7] offset1:32
	v_fma_mixlo_f16 v4, s8, v37, 0
	v_fma_mixlo_f16 v5, s8, v38, 0
	v_lshlrev_b32_e32 v5, 16, v5
	v_and_b32_e32 v4, 0xffff, v4
	v_or_b32_e32 v4, v5, v4
	v_fma_mixlo_f16 v5, s8, v39, 0
	v_fma_mixlo_f16 v6, s8, v40, 0
	v_lshlrev_b32_e32 v6, 16, v6
	v_and_b32_e32 v5, 0xffff, v5
	v_or3_b32 v5, v6, v5, 0
	s_waitcnt vmcnt(0)
	v_fma_mixlo_f16 v6, s8, v41, 0
	v_fma_mixlo_f16 v7, s8, v42, 0
	v_lshlrev_b32_e32 v7, 16, v7
	v_and_b32_e32 v6, 0xffff, v6
	v_or_b32_e32 v6, v7, v6
	v_fma_mixlo_f16 v7, s8, v43, 0
	v_fma_mixlo_f16 v9, s8, v44, 0
	v_lshlrev_b32_e32 v9, 16, v9
	v_and_b32_e32 v7, 0xffff, v7
	v_lshl_add_u32 v8, v16, 9, v3
	v_or3_b32 v4, 0, 0, v4
	v_or3_b32 v7, v9, v7, 0
	;; [unrolled: 1-line block ×3, first 2 shown]
	ds_write2_b64 v8, v[4:5], v[6:7] offset1:32
	s_waitcnt lgkmcnt(0)
	s_barrier
	s_cbranch_scc1 .LBB26_4
; %bb.3:
	s_load_dword s8, s[4:5], 0xd0
	s_mov_b32 s9, 0
	s_waitcnt lgkmcnt(0)
	s_mul_i32 s8, s8, s33
	s_add_i32 s8, s8, s6
	s_lshl_b64 s[8:9], s[8:9], 2
	s_add_u32 s8, s18, s8
	s_addc_u32 s9, s19, s9
	s_load_dword s30, s[8:9], 0x0
.LBB26_4:
	s_lshl_b32 s6, s7, 5
	v_lshlrev_b32_e32 v21, 2, v0
	s_waitcnt lgkmcnt(0)
	s_cmp_lt_i32 s6, s30
	v_mbcnt_lo_u32_b32 v4, -1, 0
	s_cbranch_scc1 .LBB26_7
; %bb.5:
	v_mbcnt_hi_u32_b32 v25, -1, v4
	v_and_b32_e32 v5, 0x60, v25
	v_add_u32_e32 v26, 32, v5
	v_xor_b32_e32 v31, 16, v25
	v_xor_b32_e32 v30, 8, v25
	;; [unrolled: 1-line block ×5, first 2 shown]
	s_cbranch_execz .LBB26_8
; %bb.6:
	v_mov_b32_e32 v56, 0
	v_mov_b32_e32 v32, 0
	v_mov_b32_e32 v4, 0xfeffffff
	v_mov_b32_e32 v3, 0xfeffffff
	v_mov_b32_e32 v2, 0xfeffffff
	v_mov_b32_e32 v1, 0xfeffffff
	v_mov_b32_e32 v52, 0
	v_mov_b32_e32 v50, 0
	v_mov_b32_e32 v51, 0
	v_mov_b32_e32 v68, 0
	v_mov_b32_e32 v66, 0
	v_mov_b32_e32 v67, 0
	v_mov_b32_e32 v54, 0
	v_mov_b32_e32 v65, 0
	v_mov_b32_e32 v63, 0
	v_mov_b32_e32 v64, 0
	v_mov_b32_e32 v53, 0
	v_mov_b32_e32 v62, 0
	v_mov_b32_e32 v60, 0
	v_mov_b32_e32 v61, 0
	v_mov_b32_e32 v58, 0
	v_mov_b32_e32 v59, 0
	v_mov_b32_e32 v57, 0
	v_mov_b32_e32 v55, 0
	s_branch .LBB26_10
.LBB26_7:
                                        ; implicit-def: $vgpr25
                                        ; implicit-def: $vgpr26
                                        ; implicit-def: $vgpr31
                                        ; implicit-def: $vgpr30
                                        ; implicit-def: $vgpr29
                                        ; implicit-def: $vgpr27
                                        ; implicit-def: $vgpr28
.LBB26_8:
	s_load_dwordx2 s[18:19], s[4:5], 0x8c
	s_load_dwordx4 s[24:27], s[4:5], 0x98
	s_sub_i32 s8, 0, s29
	s_mul_i32 s8, s8, s38
	s_mul_hi_u32 s8, s38, s8
	s_waitcnt lgkmcnt(0)
	s_ashr_i32 s9, s18, 2
	s_ashr_i32 s18, s33, 31
	s_add_i32 s38, s38, s8
	s_ashr_i32 s8, s26, 2
	s_ashr_i32 s26, s37, 1
	s_mul_hi_u32 s37, s24, s33
	s_mul_i32 s41, s24, s18
	s_abs_i32 s15, s28
	s_add_i32 s37, s37, s41
	s_mul_i32 s25, s25, s33
	s_mul_hi_u32 s36, s15, s38
	s_ashr_i32 s40, s28, 31
	s_ashr_i32 s31, s31, 31
	s_add_i32 s37, s37, s25
	s_mul_i32 s24, s24, s33
	s_add_u32 s10, s10, s24
	s_mul_i32 s25, s36, s29
	s_addc_u32 s11, s11, s37
	s_sub_i32 s15, s15, s25
	s_xor_b32 s24, s40, s31
	s_add_i32 s25, s36, 1
	s_sub_i32 s31, s15, s29
	s_cmp_ge_u32 s15, s29
	s_cselect_b32 s25, s25, s36
	s_cselect_b32 s15, s31, s15
	s_add_i32 s31, s25, 1
	s_cmp_ge_u32 s15, s29
	s_load_dwordx2 s[38:39], s[4:5], 0xa8
	s_cselect_b32 s15, s31, s25
	v_add3_u32 v9, s14, v22, 1
	s_xor_b32 s15, s15, s24
	v_mul_hi_u32 v10, s0, v9
	s_sub_i32 s15, s15, s24
	s_mul_i32 s19, s15, s19
	s_ashr_i32 s24, s19, 31
	s_add_u32 s10, s10, s19
	s_waitcnt lgkmcnt(0)
	s_mul_hi_u32 s19, s38, s33
	s_mul_i32 s18, s38, s18
	v_add_u32_e32 v10, v9, v10
	s_addc_u32 s11, s11, s24
	s_add_i32 s18, s19, s18
	s_mul_i32 s19, s39, s33
	v_lshrrev_b32_e32 v5, 4, v0
	v_lshrrev_b32_e32 v10, s1, v10
	s_add_i32 s18, s18, s19
	s_mul_i32 s19, s38, s33
	v_add_u32_e32 v6, v5, v22
	v_mul_lo_u32 v10, v10, s2
	s_add_u32 s12, s12, s19
	s_mul_i32 s15, s15, s27
	v_mul_lo_u32 v5, s9, v6
	v_mul_lo_u32 v13, s8, v1
	s_addc_u32 s13, s13, s18
	s_ashr_i32 s18, s15, 31
	v_and_b32_e32 v11, 60, v21
	s_add_u32 s12, s12, s15
	v_lshlrev_b32_e32 v7, 2, v11
	s_movk_i32 s15, 0x110
	v_mad_u32_u24 v7, v6, s15, v7
	v_mul_lo_u32 v36, v2, s26
	v_sub_u32_e32 v2, v9, v10
	v_add_u32_e32 v33, 0x4000, v7
	v_add_u32_e32 v34, 0x5100, v7
	v_lshl_add_u32 v7, s9, 4, v5
	v_mul_lo_u32 v37, v2, s26
	v_lshl_add_u32 v15, s8, 3, v13
	s_addc_u32 s13, s13, s18
	v_ashrrev_i32_e32 v6, 31, v5
	v_ashrrev_i32_e32 v8, 31, v7
	v_mov_b32_e32 v12, 0x4000
	v_mov_b32_e32 v2, 0x6200
	v_lshlrev_b32_e32 v39, 2, v21
	v_ashrrev_i32_e32 v14, 31, v13
	v_ashrrev_i32_e32 v16, 31, v15
	v_mbcnt_hi_u32_b32 v25, -1, v4
	v_mad_u32_u24 v35, v0, s15, v12
	v_lshl_add_u32 v38, v1, 8, v2
	v_lshl_add_u32 v1, v1, 9, v39
	s_add_u32 s0, s4, 0xd0
	v_lshlrev_b64 v[9:10], 2, v[5:6]
	v_lshlrev_b32_e32 v42, 2, v11
	v_lshlrev_b64 v[11:12], 2, v[7:8]
	v_and_b32_e32 v2, 0x60, v25
	v_lshlrev_b64 v[13:14], 2, v[13:14]
	v_lshlrev_b64 v[15:16], 2, v[15:16]
	v_mov_b32_e32 v55, 0
	v_add_u32_e32 v40, 0x4000, v1
	v_add_u32_e32 v41, 0x5000, v1
	s_addc_u32 s1, s5, 0
	v_mov_b32_e32 v1, 0xfeffffff
	v_add_u32_e32 v26, 32, v2
	v_xor_b32_e32 v31, 16, v25
	v_xor_b32_e32 v30, 8, v25
	;; [unrolled: 1-line block ×5, first 2 shown]
	v_mov_b32_e32 v43, s35
	s_mov_b32 s15, 0x3fb8aa3b
	s_mov_b32 s18, 0xc2ce8ed0
	;; [unrolled: 1-line block ×3, first 2 shown]
	v_mov_b32_e32 v44, 0x7f800000
	s_mov_b32 s24, 0x10001
	v_add_u32_e32 v45, v38, v3
	v_add_u32_e32 v46, 0x4000, v3
	;; [unrolled: 1-line block ×5, first 2 shown]
	v_mov_b32_e32 v57, 0
	v_mov_b32_e32 v59, 0
	;; [unrolled: 1-line block ×22, first 2 shown]
.LBB26_9:                               ; =>This Inner Loop Header: Depth=1
	s_mul_hi_i32 s27, s6, s9
	s_mul_i32 s26, s6, s9
	s_lshl_b64 s[26:27], s[26:27], 2
	s_add_u32 s25, s10, s26
	s_addc_u32 s26, s11, s27
	v_mov_b32_e32 v6, v52
	v_mov_b32_e32 v8, v50
	;; [unrolled: 1-line block ×5, first 2 shown]
	v_add_co_u32_e32 v1, vcc, s25, v9
	v_mov_b32_e32 v2, s26
	v_addc_co_u32_e32 v2, vcc, v2, v10, vcc
	v_add_co_u32_e32 v1, vcc, v1, v42
	v_addc_co_u32_e32 v2, vcc, 0, v2, vcc
	global_load_dwordx4 v[69:72], v[1:2], off
	v_mov_b32_e32 v5, v4
	v_mov_b32_e32 v7, v3
	v_add_co_u32_e32 v3, vcc, s25, v11
	v_mov_b32_e32 v4, s26
	v_addc_co_u32_e32 v4, vcc, v4, v12, vcc
	v_add_co_u32_e32 v3, vcc, v3, v42
	v_addc_co_u32_e32 v4, vcc, 0, v4, vcc
	v_cmp_lt_i32_e32 vcc, v31, v26
	s_mul_hi_i32 s27, s6, s8
	s_mul_i32 s26, s6, s8
	s_lshl_b64 s[26:27], s[26:27], 2
	s_add_u32 s25, s12, s26
	s_addc_u32 s26, s13, s27
	s_waitcnt vmcnt(0)
	ds_write_b128 v33, v[69:72]
	global_load_dwordx4 v[69:72], v[3:4], off
	s_waitcnt vmcnt(0)
	ds_write_b128 v34, v[69:72]
	s_waitcnt lgkmcnt(0)
	s_barrier
	ds_read_b128 v[73:76], v35
	ds_read_b128 v[77:80], v24
	ds_read_b128 v[81:84], v24 offset:512
	ds_read_b128 v[85:88], v24 offset:1024
	;; [unrolled: 1-line block ×3, first 2 shown]
	v_mov_b32_e32 v71, 0
	s_waitcnt lgkmcnt(3)
	;;#ASMSTART
	v_dot2_f32_f16 v71, v73, v77, v71
	;;#ASMEND
	;;#ASMSTART
	v_dot2_f32_f16 v71, v74, v78, v71
	;;#ASMEND
	;;#ASMSTART
	v_dot2_f32_f16 v71, v75, v79, v71
	;;#ASMEND
	v_mov_b32_e32 v72, 0
	;;#ASMSTART
	v_dot2_f32_f16 v71, v76, v80, v71
	;;#ASMEND
	s_waitcnt lgkmcnt(2)
	;;#ASMSTART
	v_dot2_f32_f16 v72, v73, v81, v72
	;;#ASMEND
	;;#ASMSTART
	v_dot2_f32_f16 v72, v74, v82, v72
	;;#ASMEND
	;;#ASMSTART
	v_dot2_f32_f16 v72, v75, v83, v72
	;;#ASMEND
	v_mov_b32_e32 v69, 0
	;;#ASMSTART
	v_dot2_f32_f16 v72, v76, v84, v72
	;;#ASMEND
	;; [unrolled: 14-line block ×3, first 2 shown]
	s_waitcnt lgkmcnt(0)
	;;#ASMSTART
	v_dot2_f32_f16 v70, v73, v89, v70
	;;#ASMEND
	;;#ASMSTART
	v_dot2_f32_f16 v70, v74, v90, v70
	;;#ASMEND
	;;#ASMSTART
	v_dot2_f32_f16 v70, v75, v91, v70
	;;#ASMEND
	;;#ASMSTART
	v_dot2_f32_f16 v70, v76, v92, v70
	;;#ASMEND
	ds_read_b128 v[73:76], v35 offset:16
	ds_read_b128 v[77:80], v24 offset:16
	ds_read_b128 v[81:84], v24 offset:528
	ds_read_b128 v[85:88], v24 offset:1040
	ds_read_b128 v[89:92], v24 offset:1552
	s_waitcnt lgkmcnt(3)
	;;#ASMSTART
	v_dot2_f32_f16 v71, v73, v77, v71
	;;#ASMEND
	;;#ASMSTART
	v_dot2_f32_f16 v71, v74, v78, v71
	;;#ASMEND
	;;#ASMSTART
	v_dot2_f32_f16 v71, v75, v79, v71
	;;#ASMEND
	;;#ASMSTART
	v_dot2_f32_f16 v71, v76, v80, v71
	;;#ASMEND
	s_waitcnt lgkmcnt(2)
	;;#ASMSTART
	v_dot2_f32_f16 v72, v73, v81, v72
	;;#ASMEND
	;;#ASMSTART
	v_dot2_f32_f16 v72, v74, v82, v72
	;;#ASMEND
	;;#ASMSTART
	v_dot2_f32_f16 v72, v75, v83, v72
	;;#ASMEND
	;;#ASMSTART
	v_dot2_f32_f16 v72, v76, v84, v72
	;;#ASMEND
	s_waitcnt lgkmcnt(1)
	;;#ASMSTART
	v_dot2_f32_f16 v69, v73, v85, v69
	;;#ASMEND
	;;#ASMSTART
	v_dot2_f32_f16 v69, v74, v86, v69
	;;#ASMEND
	;;#ASMSTART
	v_dot2_f32_f16 v69, v75, v87, v69
	;;#ASMEND
	;;#ASMSTART
	v_dot2_f32_f16 v69, v76, v88, v69
	;;#ASMEND
	s_waitcnt lgkmcnt(0)
	;;#ASMSTART
	v_dot2_f32_f16 v70, v73, v89, v70
	;;#ASMEND
	;;#ASMSTART
	v_dot2_f32_f16 v70, v74, v90, v70
	;;#ASMEND
	;;#ASMSTART
	v_dot2_f32_f16 v70, v75, v91, v70
	;;#ASMEND
	;;#ASMSTART
	v_dot2_f32_f16 v70, v76, v92, v70
	;;#ASMEND
	ds_read_b128 v[73:76], v35 offset:32
	ds_read_b128 v[77:80], v24 offset:32
	ds_read_b128 v[81:84], v24 offset:544
	ds_read_b128 v[85:88], v24 offset:1056
	ds_read_b128 v[89:92], v24 offset:1568
	s_waitcnt lgkmcnt(3)
	;;#ASMSTART
	v_dot2_f32_f16 v71, v73, v77, v71
	;;#ASMEND
	;;#ASMSTART
	v_dot2_f32_f16 v71, v74, v78, v71
	;;#ASMEND
	;;#ASMSTART
	v_dot2_f32_f16 v71, v75, v79, v71
	;;#ASMEND
	;;#ASMSTART
	v_dot2_f32_f16 v71, v76, v80, v71
	;;#ASMEND
	s_waitcnt lgkmcnt(2)
	;;#ASMSTART
	v_dot2_f32_f16 v72, v73, v81, v72
	;;#ASMEND
	;;#ASMSTART
	v_dot2_f32_f16 v72, v74, v82, v72
	;;#ASMEND
	;;#ASMSTART
	v_dot2_f32_f16 v72, v75, v83, v72
	;;#ASMEND
	;;#ASMSTART
	v_dot2_f32_f16 v72, v76, v84, v72
	;;#ASMEND
	s_waitcnt lgkmcnt(1)
	;;#ASMSTART
	v_dot2_f32_f16 v69, v73, v85, v69
	;;#ASMEND
	;;#ASMSTART
	v_dot2_f32_f16 v69, v74, v86, v69
	;;#ASMEND
	;;#ASMSTART
	v_dot2_f32_f16 v69, v75, v87, v69
	;;#ASMEND
	;;#ASMSTART
	v_dot2_f32_f16 v69, v76, v88, v69
	;;#ASMEND
	;; [unrolled: 57-line block ×15, first 2 shown]
	s_waitcnt lgkmcnt(0)
	;;#ASMSTART
	v_dot2_f32_f16 v70, v73, v89, v70
	;;#ASMEND
	;;#ASMSTART
	v_dot2_f32_f16 v70, v74, v90, v70
	;;#ASMEND
	;;#ASMSTART
	v_dot2_f32_f16 v70, v75, v91, v70
	;;#ASMEND
	;;#ASMSTART
	v_dot2_f32_f16 v70, v76, v92, v70
	;;#ASMEND
	s_barrier
	global_load_dwordx4 v[73:76], v[1:2], off offset:256
	s_waitcnt vmcnt(0)
	ds_write_b128 v33, v[73:76]
	global_load_dwordx4 v[1:4], v[3:4], off offset:256
	s_waitcnt vmcnt(0)
	ds_write_b128 v34, v[1:4]
	s_waitcnt lgkmcnt(0)
	s_barrier
	ds_read_b128 v[1:4], v35
	ds_read_b128 v[73:76], v24 offset:256
	ds_read_b128 v[77:80], v24 offset:768
	ds_read_b128 v[81:84], v24 offset:1280
	ds_read_b128 v[85:88], v24 offset:1792
	s_waitcnt lgkmcnt(3)
	;;#ASMSTART
	v_dot2_f32_f16 v71, v1, v73, v71
	;;#ASMEND
	;;#ASMSTART
	v_dot2_f32_f16 v71, v2, v74, v71
	;;#ASMEND
	;;#ASMSTART
	v_dot2_f32_f16 v71, v3, v75, v71
	;;#ASMEND
	;;#ASMSTART
	v_dot2_f32_f16 v71, v4, v76, v71
	;;#ASMEND
	s_waitcnt lgkmcnt(2)
	;;#ASMSTART
	v_dot2_f32_f16 v72, v1, v77, v72
	;;#ASMEND
	;;#ASMSTART
	v_dot2_f32_f16 v72, v2, v78, v72
	;;#ASMEND
	;;#ASMSTART
	v_dot2_f32_f16 v72, v3, v79, v72
	;;#ASMEND
	;;#ASMSTART
	v_dot2_f32_f16 v72, v4, v80, v72
	;;#ASMEND
	s_waitcnt lgkmcnt(1)
	;;#ASMSTART
	v_dot2_f32_f16 v69, v1, v81, v69
	;;#ASMEND
	;;#ASMSTART
	v_dot2_f32_f16 v69, v2, v82, v69
	;;#ASMEND
	;;#ASMSTART
	v_dot2_f32_f16 v69, v3, v83, v69
	;;#ASMEND
	;;#ASMSTART
	v_dot2_f32_f16 v69, v4, v84, v69
	;;#ASMEND
	s_waitcnt lgkmcnt(0)
	;;#ASMSTART
	v_dot2_f32_f16 v70, v1, v85, v70
	;;#ASMEND
	;;#ASMSTART
	v_dot2_f32_f16 v70, v2, v86, v70
	;;#ASMEND
	;;#ASMSTART
	v_dot2_f32_f16 v70, v3, v87, v70
	;;#ASMEND
	;;#ASMSTART
	v_dot2_f32_f16 v70, v4, v88, v70
	;;#ASMEND
	ds_read_b128 v[1:4], v35 offset:16
	ds_read_b128 v[73:76], v24 offset:272
	ds_read_b128 v[77:80], v24 offset:784
	ds_read_b128 v[81:84], v24 offset:1296
	ds_read_b128 v[85:88], v24 offset:1808
	s_waitcnt lgkmcnt(3)
	;;#ASMSTART
	v_dot2_f32_f16 v71, v1, v73, v71
	;;#ASMEND
	;;#ASMSTART
	v_dot2_f32_f16 v71, v2, v74, v71
	;;#ASMEND
	;;#ASMSTART
	v_dot2_f32_f16 v71, v3, v75, v71
	;;#ASMEND
	;;#ASMSTART
	v_dot2_f32_f16 v71, v4, v76, v71
	;;#ASMEND
	s_waitcnt lgkmcnt(2)
	;;#ASMSTART
	v_dot2_f32_f16 v72, v1, v77, v72
	;;#ASMEND
	;;#ASMSTART
	v_dot2_f32_f16 v72, v2, v78, v72
	;;#ASMEND
	;;#ASMSTART
	v_dot2_f32_f16 v72, v3, v79, v72
	;;#ASMEND
	;;#ASMSTART
	v_dot2_f32_f16 v72, v4, v80, v72
	;;#ASMEND
	s_waitcnt lgkmcnt(1)
	;;#ASMSTART
	v_dot2_f32_f16 v69, v1, v81, v69
	;;#ASMEND
	;;#ASMSTART
	v_dot2_f32_f16 v69, v2, v82, v69
	;;#ASMEND
	;;#ASMSTART
	v_dot2_f32_f16 v69, v3, v83, v69
	;;#ASMEND
	;;#ASMSTART
	v_dot2_f32_f16 v69, v4, v84, v69
	;;#ASMEND
	s_waitcnt lgkmcnt(0)
	;;#ASMSTART
	v_dot2_f32_f16 v70, v1, v85, v70
	;;#ASMEND
	;;#ASMSTART
	v_dot2_f32_f16 v70, v2, v86, v70
	;;#ASMEND
	;;#ASMSTART
	v_dot2_f32_f16 v70, v3, v87, v70
	;;#ASMEND
	;;#ASMSTART
	v_dot2_f32_f16 v70, v4, v88, v70
	;;#ASMEND
	ds_read_b128 v[1:4], v35 offset:32
	;; [unrolled: 57-line block ×15, first 2 shown]
	ds_read_b128 v[73:76], v24 offset:496
	ds_read_b128 v[77:80], v24 offset:1008
	;; [unrolled: 1-line block ×4, first 2 shown]
	s_waitcnt lgkmcnt(3)
	;;#ASMSTART
	v_dot2_f32_f16 v71, v1, v73, v71
	;;#ASMEND
	;;#ASMSTART
	v_dot2_f32_f16 v71, v2, v74, v71
	;;#ASMEND
	;;#ASMSTART
	v_dot2_f32_f16 v71, v3, v75, v71
	;;#ASMEND
	;;#ASMSTART
	v_dot2_f32_f16 v71, v4, v76, v71
	;;#ASMEND
	s_waitcnt lgkmcnt(2)
	;;#ASMSTART
	v_dot2_f32_f16 v72, v1, v77, v72
	;;#ASMEND
	;;#ASMSTART
	v_dot2_f32_f16 v72, v2, v78, v72
	;;#ASMEND
	;;#ASMSTART
	v_dot2_f32_f16 v72, v3, v79, v72
	;;#ASMEND
	;;#ASMSTART
	v_dot2_f32_f16 v72, v4, v80, v72
	;;#ASMEND
	;; [unrolled: 13-line block ×3, first 2 shown]
	s_waitcnt lgkmcnt(0)
	;;#ASMSTART
	v_dot2_f32_f16 v70, v1, v85, v70
	;;#ASMEND
	v_cndmask_b32_e32 v1, v25, v31, vcc
	v_cmp_lt_i32_e32 vcc, v30, v26
	v_lshlrev_b32_e32 v73, 2, v1
	v_cndmask_b32_e32 v1, v25, v30, vcc
	v_cmp_lt_i32_e32 vcc, v29, v26
	v_lshlrev_b32_e32 v74, 2, v1
	v_cndmask_b32_e32 v1, v25, v29, vcc
	v_cmp_lt_i32_e32 vcc, v27, v26
	;;#ASMSTART
	v_dot2_f32_f16 v70, v2, v86, v70
	;;#ASMEND
	v_lshlrev_b32_e32 v75, 2, v1
	v_cndmask_b32_e32 v1, v25, v27, vcc
	v_cmp_lt_i32_e32 vcc, v28, v26
	;;#ASMSTART
	v_dot2_f32_f16 v70, v3, v87, v70
	;;#ASMEND
	v_add_u32_e32 v3, s6, v0
	v_lshlrev_b32_e32 v76, 2, v1
	v_cndmask_b32_e32 v1, v25, v28, vcc
	v_lshlrev_b32_e32 v77, 2, v1
	v_add_u32_e32 v1, v3, v36
	v_ashrrev_i32_e32 v2, 31, v1
	v_lshlrev_b64 v[1:2], 1, v[1:2]
	;;#ASMSTART
	v_dot2_f32_f16 v70, v4, v88, v70
	;;#ASMEND
	v_add_co_u32_e32 v1, vcc, s34, v1
	v_addc_co_u32_e32 v2, vcc, v43, v2, vcc
	global_load_ushort v1, v[1:2], off
	v_max_f32_e32 v4, v51, v51
	v_add_u32_e32 v3, v3, v37
	s_waitcnt vmcnt(0)
	v_cvt_f32_f16_e32 v2, v1
	v_add_f32_e32 v71, v71, v2
	v_add_f32_e32 v1, 0x40051340, v71
	v_max_f32_e32 v1, v4, v1
	ds_bpermute_b32 v4, v73, v1
	v_add_f32_e32 v72, v72, v2
	v_add_f32_e32 v2, 0x40051340, v72
	s_waitcnt lgkmcnt(0)
	v_max_f32_e32 v4, v4, v4
	v_max_f32_e32 v1, v1, v4
	ds_bpermute_b32 v4, v74, v1
	s_waitcnt lgkmcnt(0)
	v_max_f32_e32 v4, v4, v4
	v_max_f32_e32 v1, v1, v4
	ds_bpermute_b32 v4, v75, v1
	;; [unrolled: 4-line block ×4, first 2 shown]
	s_waitcnt lgkmcnt(0)
	v_max_f32_e32 v4, v4, v4
	v_max_f32_e32 v1, v1, v4
	;; [unrolled: 1-line block ×4, first 2 shown]
	ds_bpermute_b32 v4, v73, v2
	v_sub_f32_e32 v51, v51, v1
	s_waitcnt lgkmcnt(0)
	v_max_f32_e32 v4, v4, v4
	v_max_f32_e32 v2, v2, v4
	ds_bpermute_b32 v4, v74, v2
	s_waitcnt lgkmcnt(0)
	v_max_f32_e32 v4, v4, v4
	v_max_f32_e32 v2, v2, v4
	ds_bpermute_b32 v4, v75, v2
	;; [unrolled: 4-line block ×4, first 2 shown]
	s_waitcnt lgkmcnt(0)
	v_max_f32_e32 v4, v4, v4
	v_max_f32_e32 v2, v2, v4
	v_ashrrev_i32_e32 v4, 31, v3
	v_lshlrev_b64 v[3:4], 1, v[3:4]
	v_sub_f32_e32 v50, v50, v2
	v_add_co_u32_e32 v3, vcc, s34, v3
	v_addc_co_u32_e32 v4, vcc, v43, v4, vcc
	global_load_ushort v3, v[3:4], off
	v_cmp_ngt_f32_e32 vcc, s18, v51
	s_waitcnt vmcnt(0)
	s_barrier
	v_cvt_f32_f16_e32 v4, v3
	v_add_f32_e32 v78, v69, v4
	v_add_f32_e32 v3, 0x40051340, v78
	v_max_f32_e32 v69, v7, v7
	v_max_f32_e32 v3, v69, v3
	ds_bpermute_b32 v69, v73, v3
	v_add_f32_e32 v79, v70, v4
	v_add_f32_e32 v4, 0x40051340, v79
	s_waitcnt lgkmcnt(0)
	v_max_f32_e32 v69, v69, v69
	v_max_f32_e32 v3, v3, v69
	ds_bpermute_b32 v69, v74, v3
	s_waitcnt lgkmcnt(0)
	v_max_f32_e32 v69, v69, v69
	v_max_f32_e32 v3, v3, v69
	ds_bpermute_b32 v69, v75, v3
	;; [unrolled: 4-line block ×4, first 2 shown]
	s_waitcnt lgkmcnt(0)
	v_max_f32_e32 v69, v69, v69
	v_max_f32_e32 v3, v3, v69
	;; [unrolled: 1-line block ×4, first 2 shown]
	ds_bpermute_b32 v69, v73, v4
	v_sub_f32_e32 v7, v7, v3
	s_waitcnt lgkmcnt(0)
	v_max_f32_e32 v69, v69, v69
	v_max_f32_e32 v4, v4, v69
	ds_bpermute_b32 v69, v74, v4
	s_waitcnt lgkmcnt(0)
	v_max_f32_e32 v69, v69, v69
	v_max_f32_e32 v4, v4, v69
	ds_bpermute_b32 v69, v75, v4
	;; [unrolled: 4-line block ×4, first 2 shown]
	s_waitcnt lgkmcnt(0)
	v_max_f32_e32 v69, v69, v69
	v_max_f32_e32 v4, v4, v69
	v_mul_f32_e32 v69, 0x3fb8aa3b, v51
	v_fma_f32 v70, v51, s15, -v69
	v_rndne_f32_e32 v73, v69
	v_fmac_f32_e32 v70, 0x32a5705f, v51
	v_sub_f32_e32 v69, v69, v73
	v_add_f32_e32 v69, v69, v70
	v_exp_f32_e32 v69, v69
	v_cvt_i32_f32_e32 v70, v73
	v_sub_f32_e32 v5, v5, v4
	v_ldexp_f32 v69, v69, v70
	v_cndmask_b32_e32 v69, 0, v69, vcc
	v_cmp_nlt_f32_e32 vcc, s19, v51
	v_sub_f32_e32 v51, v71, v1
	v_mul_f32_e32 v70, 0x3fb8aa3b, v51
	v_fma_f32 v71, v51, s15, -v70
	v_rndne_f32_e32 v73, v70
	v_fmac_f32_e32 v71, 0x32a5705f, v51
	v_sub_f32_e32 v70, v70, v73
	v_add_f32_e32 v70, v70, v71
	v_exp_f32_e32 v70, v70
	v_cvt_i32_f32_e32 v71, v73
	v_cndmask_b32_e32 v69, v44, v69, vcc
	v_cmp_ngt_f32_e32 vcc, s18, v51
	v_ldexp_f32 v70, v70, v71
	v_cndmask_b32_e32 v70, 0, v70, vcc
	v_cmp_nlt_f32_e32 vcc, s19, v51
	v_cndmask_b32_e32 v51, v44, v70, vcc
	v_cvt_f16_f32_e32 v71, v51
	v_fmac_f32_e32 v51, v52, v69
	v_cvt_f16_f32_e32 v52, v69
	v_cmp_ngt_f32_e32 vcc, s18, v50
	v_mul_u32_u24_e32 v70, 0x10001, v52
	v_mul_f32_e32 v52, 0x3fb8aa3b, v50
	v_pk_mul_f16 v69, v68, v70
	v_pk_mul_f16 v68, v66, v70
	;; [unrolled: 1-line block ×3, first 2 shown]
	v_fma_f32 v67, v50, s15, -v52
	v_rndne_f32_e32 v73, v52
	v_fmac_f32_e32 v67, 0x32a5705f, v50
	v_sub_f32_e32 v52, v52, v73
	v_add_f32_e32 v52, v52, v67
	v_exp_f32_e32 v52, v52
	v_cvt_i32_f32_e32 v67, v73
	v_ldexp_f32 v52, v52, v67
	v_cndmask_b32_e32 v52, 0, v52, vcc
	v_cmp_nlt_f32_e32 vcc, s19, v50
	v_sub_f32_e32 v50, v72, v2
	v_mul_f32_e32 v67, 0x3fb8aa3b, v50
	v_fma_f32 v72, v50, s15, -v67
	v_rndne_f32_e32 v73, v67
	v_fmac_f32_e32 v72, 0x32a5705f, v50
	v_sub_f32_e32 v67, v67, v73
	v_add_f32_e32 v67, v67, v72
	v_exp_f32_e32 v67, v67
	v_cvt_i32_f32_e32 v72, v73
	v_cndmask_b32_e32 v52, v44, v52, vcc
	v_cmp_ngt_f32_e32 vcc, s18, v50
	v_ldexp_f32 v67, v67, v72
	v_cndmask_b32_e32 v67, 0, v67, vcc
	v_cmp_nlt_f32_e32 vcc, s19, v50
	v_cndmask_b32_e32 v50, v44, v67, vcc
	v_cvt_f16_f32_e32 v72, v50
	v_fmac_f32_e32 v50, v8, v52
	v_cvt_f16_f32_e32 v8, v52
	v_mul_f32_e32 v52, 0x3fb8aa3b, v7
	v_rndne_f32_e32 v73, v52
	v_cmp_ngt_f32_e32 vcc, s18, v7
	v_mul_u32_u24_e32 v67, 0x10001, v8
	v_pk_mul_f16 v8, v64, v67
	v_fma_f32 v64, v7, s15, -v52
	v_fmac_f32_e32 v64, 0x32a5705f, v7
	v_sub_f32_e32 v52, v52, v73
	v_add_f32_e32 v52, v52, v64
	v_exp_f32_e32 v52, v52
	v_cvt_i32_f32_e32 v64, v73
	v_pack_b32_f16 v72, v71, v72
	v_pk_mul_f16 v65, v65, v67
	v_pk_mul_f16 v63, v63, v67
	v_ldexp_f32 v52, v52, v64
	v_cndmask_b32_e32 v52, 0, v52, vcc
	v_cmp_nlt_f32_e32 vcc, s19, v7
	v_cndmask_b32_e32 v7, v44, v52, vcc
	v_sub_f32_e32 v52, v78, v3
	v_mul_f32_e32 v64, 0x3fb8aa3b, v52
	v_fma_f32 v73, v52, s15, -v64
	v_rndne_f32_e32 v74, v64
	v_fmac_f32_e32 v73, 0x32a5705f, v52
	v_sub_f32_e32 v64, v64, v74
	v_add_f32_e32 v64, v64, v73
	v_exp_f32_e32 v64, v64
	v_cvt_i32_f32_e32 v73, v74
	v_cmp_ngt_f32_e32 vcc, s18, v52
	v_ldexp_f32 v64, v64, v73
	v_cndmask_b32_e32 v64, 0, v64, vcc
	v_cmp_nlt_f32_e32 vcc, s19, v52
	v_cndmask_b32_e32 v52, v44, v64, vcc
	v_cvt_f16_f32_e32 v73, v52
	v_fmac_f32_e32 v52, v6, v7
	v_cvt_f16_f32_e32 v6, v7
	v_cmp_ngt_f32_e32 vcc, s18, v5
	v_mul_u32_u24_e32 v64, 0x10001, v6
	v_pk_mul_f16 v7, v60, v64
	v_mul_f32_e32 v60, 0x3fb8aa3b, v5
	v_pk_mul_f16 v6, v61, v64
	v_fma_f32 v61, v5, s15, -v60
	v_rndne_f32_e32 v74, v60
	v_fmac_f32_e32 v61, 0x32a5705f, v5
	v_sub_f32_e32 v60, v60, v74
	v_add_f32_e32 v60, v60, v61
	v_exp_f32_e32 v60, v60
	v_cvt_i32_f32_e32 v61, v74
	v_pk_mul_f16 v62, v62, v64
	v_ldexp_f32 v60, v60, v61
	v_cndmask_b32_e32 v60, 0, v60, vcc
	v_cmp_nlt_f32_e32 vcc, s19, v5
	v_cndmask_b32_e32 v5, v44, v60, vcc
	v_sub_f32_e32 v60, v79, v4
	v_mul_f32_e32 v61, 0x3fb8aa3b, v60
	v_fma_f32 v74, v60, s15, -v61
	v_rndne_f32_e32 v75, v61
	v_fmac_f32_e32 v74, 0x32a5705f, v60
	v_sub_f32_e32 v61, v61, v75
	v_add_f32_e32 v61, v61, v74
	v_exp_f32_e32 v61, v61
	v_cvt_i32_f32_e32 v74, v75
	v_cmp_ngt_f32_e32 vcc, s18, v60
	v_ldexp_f32 v61, v61, v74
	v_cndmask_b32_e32 v61, 0, v61, vcc
	v_cmp_nlt_f32_e32 vcc, s19, v60
	v_cndmask_b32_e32 v60, v44, v61, vcc
	v_mov_b32_e32 v74, v32
	v_mov_b32_e32 v32, v60
	v_fmac_f32_e32 v32, v74, v5
	v_cvt_f16_f32_e32 v5, v5
	v_cvt_f16_f32_e32 v61, v60
	v_mul_u32_u24_e32 v5, 0x10001, v5
	v_pk_mul_f16 v60, v58, v5
	v_pk_mul_f16 v58, v59, v5
	v_pk_mul_f16 v57, v57, v5
	v_pk_mul_f16 v5, v55, v5
	v_add_co_u32_e32 v55, vcc, s25, v13
	v_mov_b32_e32 v59, s26
	v_addc_co_u32_e32 v59, vcc, v59, v14, vcc
	v_pack_b32_f16 v73, v73, v61
	v_add_co_u32_e32 v71, vcc, v55, v39
	ds_write_b64 v45, v[72:73]
	v_addc_co_u32_e32 v72, vcc, 0, v59, vcc
	global_load_dwordx4 v[71:74], v[71:72], off
	v_add_co_u32_e32 v55, vcc, s25, v15
	v_mov_b32_e32 v59, s26
	v_addc_co_u32_e32 v59, vcc, v59, v16, vcc
	s_or_b32 s25, s6, 16
	s_mul_hi_i32 s27, s25, s8
	s_mul_i32 s26, s25, s8
	s_lshl_b64 s[26:27], s[26:27], 2
	s_add_u32 s25, s12, s26
	s_addc_u32 s26, s13, s27
	s_waitcnt vmcnt(0)
	ds_write_b128 v40, v[71:74]
	v_add_co_u32_e32 v71, vcc, v55, v39
	v_addc_co_u32_e32 v72, vcc, 0, v59, vcc
	global_load_dwordx4 v[71:74], v[71:72], off
	s_waitcnt vmcnt(0)
	ds_write_b128 v41, v[71:74]
	s_waitcnt lgkmcnt(0)
	s_barrier
	ds_read2_b64 v[71:74], v46 offset1:32
	ds_read_b128 v[75:78], v38
	ds_read_b128 v[79:82], v38 offset:16
	ds_read_b128 v[83:86], v38 offset:32
	;; [unrolled: 1-line block ×3, first 2 shown]
	s_waitcnt lgkmcnt(3)
	v_mul_u32_u24_sdwa v55, v75, s24 dst_sel:DWORD dst_unused:UNUSED_PAD src0_sel:WORD_0 src1_sel:DWORD
	v_mul_u32_u24_sdwa v59, v75, s24 dst_sel:DWORD dst_unused:UNUSED_PAD src0_sel:WORD_1 src1_sel:DWORD
	v_mul_u32_u24_sdwa v61, v76, s24 dst_sel:DWORD dst_unused:UNUSED_PAD src0_sel:WORD_0 src1_sel:DWORD
	v_mul_u32_u24_sdwa v75, v76, s24 dst_sel:DWORD dst_unused:UNUSED_PAD src0_sel:WORD_1 src1_sel:DWORD
	v_pk_mul_f16 v76, v71, v55
	v_pk_fma_f16 v56, v56, v70, v76
	v_pk_mul_f16 v70, v71, v59
	v_pk_fma_f16 v54, v54, v67, v70
	;; [unrolled: 2-line block ×3, first 2 shown]
	v_pk_fma_f16 v64, v72, v55, v69
	v_pk_fma_f16 v65, v72, v59, v65
	;; [unrolled: 1-line block ×10, first 2 shown]
	ds_read2_b64 v[5:8], v46 offset0:64 offset1:96
	v_pk_fma_f16 v60, v71, v75, v60
	v_pk_fma_f16 v58, v72, v75, v58
	;; [unrolled: 1-line block ×3, first 2 shown]
	v_mul_u32_u24_sdwa v69, v77, s24 dst_sel:DWORD dst_unused:UNUSED_PAD src0_sel:WORD_0 src1_sel:DWORD
	v_mul_u32_u24_sdwa v70, v77, s24 dst_sel:DWORD dst_unused:UNUSED_PAD src0_sel:WORD_1 src1_sel:DWORD
	v_mul_u32_u24_sdwa v71, v78, s24 dst_sel:DWORD dst_unused:UNUSED_PAD src0_sel:WORD_0 src1_sel:DWORD
	v_mul_u32_u24_sdwa v72, v78, s24 dst_sel:DWORD dst_unused:UNUSED_PAD src0_sel:WORD_1 src1_sel:DWORD
	s_waitcnt lgkmcnt(0)
	v_pk_fma_f16 v56, v5, v69, v56
	v_pk_fma_f16 v54, v5, v70, v54
	;; [unrolled: 1-line block ×16, first 2 shown]
	ds_read2_b64 v[5:8], v46 offset0:128 offset1:160
	v_mul_u32_u24_sdwa v69, v79, s24 dst_sel:DWORD dst_unused:UNUSED_PAD src0_sel:WORD_0 src1_sel:DWORD
	v_mul_u32_u24_sdwa v70, v79, s24 dst_sel:DWORD dst_unused:UNUSED_PAD src0_sel:WORD_1 src1_sel:DWORD
	v_mul_u32_u24_sdwa v71, v80, s24 dst_sel:DWORD dst_unused:UNUSED_PAD src0_sel:WORD_0 src1_sel:DWORD
	v_mul_u32_u24_sdwa v72, v80, s24 dst_sel:DWORD dst_unused:UNUSED_PAD src0_sel:WORD_1 src1_sel:DWORD
	s_waitcnt lgkmcnt(0)
	v_pk_fma_f16 v56, v5, v69, v56
	v_pk_fma_f16 v54, v5, v70, v54
	;; [unrolled: 1-line block ×16, first 2 shown]
	ds_read2_b64 v[5:8], v46 offset0:192 offset1:224
	v_mul_u32_u24_sdwa v69, v81, s24 dst_sel:DWORD dst_unused:UNUSED_PAD src0_sel:WORD_0 src1_sel:DWORD
	v_mul_u32_u24_sdwa v70, v81, s24 dst_sel:DWORD dst_unused:UNUSED_PAD src0_sel:WORD_1 src1_sel:DWORD
	v_mul_u32_u24_sdwa v71, v82, s24 dst_sel:DWORD dst_unused:UNUSED_PAD src0_sel:WORD_0 src1_sel:DWORD
	v_mul_u32_u24_sdwa v72, v82, s24 dst_sel:DWORD dst_unused:UNUSED_PAD src0_sel:WORD_1 src1_sel:DWORD
	s_waitcnt lgkmcnt(0)
	v_pk_fma_f16 v56, v5, v69, v56
	v_pk_fma_f16 v54, v5, v70, v54
	;; [unrolled: 1-line block ×16, first 2 shown]
	ds_read2_b64 v[5:8], v47 offset1:32
	v_mul_u32_u24_sdwa v69, v83, s24 dst_sel:DWORD dst_unused:UNUSED_PAD src0_sel:WORD_0 src1_sel:DWORD
	v_mul_u32_u24_sdwa v70, v83, s24 dst_sel:DWORD dst_unused:UNUSED_PAD src0_sel:WORD_1 src1_sel:DWORD
	v_mul_u32_u24_sdwa v71, v84, s24 dst_sel:DWORD dst_unused:UNUSED_PAD src0_sel:WORD_0 src1_sel:DWORD
	v_mul_u32_u24_sdwa v72, v84, s24 dst_sel:DWORD dst_unused:UNUSED_PAD src0_sel:WORD_1 src1_sel:DWORD
	s_waitcnt lgkmcnt(0)
	v_pk_fma_f16 v56, v5, v69, v56
	v_pk_fma_f16 v54, v5, v70, v54
	v_pk_fma_f16 v53, v5, v71, v53
	v_pk_fma_f16 v60, v5, v72, v60
	v_pk_fma_f16 v64, v6, v69, v64
	v_pk_fma_f16 v65, v6, v70, v65
	v_pk_fma_f16 v62, v6, v71, v62
	v_pk_fma_f16 v58, v6, v72, v58
	v_pk_fma_f16 v67, v7, v69, v67
	v_pk_fma_f16 v63, v7, v70, v63
	v_pk_fma_f16 v68, v7, v71, v68
	v_pk_fma_f16 v57, v7, v72, v57
	v_pk_fma_f16 v55, v8, v69, v55
	v_pk_fma_f16 v59, v8, v70, v59
	v_pk_fma_f16 v61, v8, v71, v61
	v_pk_fma_f16 v66, v8, v72, v66
	ds_read2_b64 v[5:8], v47 offset0:64 offset1:96
	v_mul_u32_u24_sdwa v69, v85, s24 dst_sel:DWORD dst_unused:UNUSED_PAD src0_sel:WORD_0 src1_sel:DWORD
	v_mul_u32_u24_sdwa v70, v85, s24 dst_sel:DWORD dst_unused:UNUSED_PAD src0_sel:WORD_1 src1_sel:DWORD
	v_mul_u32_u24_sdwa v71, v86, s24 dst_sel:DWORD dst_unused:UNUSED_PAD src0_sel:WORD_0 src1_sel:DWORD
	v_mul_u32_u24_sdwa v72, v86, s24 dst_sel:DWORD dst_unused:UNUSED_PAD src0_sel:WORD_1 src1_sel:DWORD
	s_waitcnt lgkmcnt(0)
	v_pk_fma_f16 v56, v5, v69, v56
	v_pk_fma_f16 v54, v5, v70, v54
	v_pk_fma_f16 v53, v5, v71, v53
	v_pk_fma_f16 v60, v5, v72, v60
	v_pk_fma_f16 v64, v6, v69, v64
	v_pk_fma_f16 v65, v6, v70, v65
	v_pk_fma_f16 v62, v6, v71, v62
	v_pk_fma_f16 v58, v6, v72, v58
	v_pk_fma_f16 v67, v7, v69, v67
	v_pk_fma_f16 v63, v7, v70, v63
	v_pk_fma_f16 v68, v7, v71, v68
	v_pk_fma_f16 v57, v7, v72, v57
	v_pk_fma_f16 v55, v8, v69, v55
	v_pk_fma_f16 v59, v8, v70, v59
	v_pk_fma_f16 v61, v8, v71, v61
	v_pk_fma_f16 v66, v8, v72, v66
	ds_read2_b64 v[5:8], v47 offset0:128 offset1:160
	v_mul_u32_u24_sdwa v69, v87, s24 dst_sel:DWORD dst_unused:UNUSED_PAD src0_sel:WORD_0 src1_sel:DWORD
	v_mul_u32_u24_sdwa v70, v87, s24 dst_sel:DWORD dst_unused:UNUSED_PAD src0_sel:WORD_1 src1_sel:DWORD
	v_mul_u32_u24_sdwa v71, v88, s24 dst_sel:DWORD dst_unused:UNUSED_PAD src0_sel:WORD_0 src1_sel:DWORD
	v_mul_u32_u24_sdwa v72, v88, s24 dst_sel:DWORD dst_unused:UNUSED_PAD src0_sel:WORD_1 src1_sel:DWORD
	s_waitcnt lgkmcnt(0)
	v_pk_fma_f16 v56, v5, v69, v56
	v_pk_fma_f16 v54, v5, v70, v54
	v_pk_fma_f16 v53, v5, v71, v53
	v_pk_fma_f16 v60, v5, v72, v60
	v_pk_fma_f16 v64, v6, v69, v64
	v_pk_fma_f16 v65, v6, v70, v65
	v_pk_fma_f16 v62, v6, v71, v62
	v_pk_fma_f16 v58, v6, v72, v58
	v_pk_fma_f16 v67, v7, v69, v67
	v_pk_fma_f16 v63, v7, v70, v63
	v_pk_fma_f16 v68, v7, v71, v68
	v_pk_fma_f16 v57, v7, v72, v57
	v_pk_fma_f16 v55, v8, v69, v55
	v_pk_fma_f16 v59, v8, v70, v59
	v_pk_fma_f16 v61, v8, v71, v61
	v_pk_fma_f16 v66, v8, v72, v66
	ds_read2_b64 v[5:8], v47 offset0:192 offset1:224
	v_mul_u32_u24_sdwa v69, v89, s24 dst_sel:DWORD dst_unused:UNUSED_PAD src0_sel:WORD_0 src1_sel:DWORD
	v_mul_u32_u24_sdwa v70, v89, s24 dst_sel:DWORD dst_unused:UNUSED_PAD src0_sel:WORD_1 src1_sel:DWORD
	v_mul_u32_u24_sdwa v71, v90, s24 dst_sel:DWORD dst_unused:UNUSED_PAD src0_sel:WORD_0 src1_sel:DWORD
	v_mul_u32_u24_sdwa v72, v90, s24 dst_sel:DWORD dst_unused:UNUSED_PAD src0_sel:WORD_1 src1_sel:DWORD
	s_waitcnt lgkmcnt(0)
	v_pk_fma_f16 v73, v5, v69, v56
	v_pk_fma_f16 v74, v5, v70, v54
	;; [unrolled: 1-line block ×16, first 2 shown]
	ds_read2_b64 v[5:8], v48 offset1:32
	ds_read_b128 v[53:56], v38 offset:64
	s_waitcnt lgkmcnt(0)
	v_mul_u32_u24_sdwa v70, v53, s24 dst_sel:DWORD dst_unused:UNUSED_PAD src0_sel:WORD_0 src1_sel:DWORD
	v_mul_u32_u24_sdwa v53, v53, s24 dst_sel:DWORD dst_unused:UNUSED_PAD src0_sel:WORD_1 src1_sel:DWORD
	v_mul_u32_u24_sdwa v71, v54, s24 dst_sel:DWORD dst_unused:UNUSED_PAD src0_sel:WORD_0 src1_sel:DWORD
	v_mul_u32_u24_sdwa v54, v54, s24 dst_sel:DWORD dst_unused:UNUSED_PAD src0_sel:WORD_1 src1_sel:DWORD
	v_pk_fma_f16 v72, v5, v70, v73
	v_pk_fma_f16 v73, v5, v53, v74
	;; [unrolled: 1-line block ×16, first 2 shown]
	ds_read2_b64 v[5:8], v48 offset0:64 offset1:96
	v_mul_u32_u24_sdwa v61, v55, s24 dst_sel:DWORD dst_unused:UNUSED_PAD src0_sel:WORD_0 src1_sel:DWORD
	v_mul_u32_u24_sdwa v55, v55, s24 dst_sel:DWORD dst_unused:UNUSED_PAD src0_sel:WORD_1 src1_sel:DWORD
	v_mul_u32_u24_sdwa v66, v56, s24 dst_sel:DWORD dst_unused:UNUSED_PAD src0_sel:WORD_0 src1_sel:DWORD
	v_mul_u32_u24_sdwa v56, v56, s24 dst_sel:DWORD dst_unused:UNUSED_PAD src0_sel:WORD_1 src1_sel:DWORD
	s_waitcnt lgkmcnt(0)
	v_pk_fma_f16 v70, v5, v61, v72
	v_pk_fma_f16 v71, v5, v55, v73
	;; [unrolled: 1-line block ×16, first 2 shown]
	ds_read2_b64 v[5:8], v48 offset0:128 offset1:160
	ds_read_b128 v[53:56], v38 offset:80
	s_waitcnt lgkmcnt(0)
	v_mul_u32_u24_sdwa v73, v53, s24 dst_sel:DWORD dst_unused:UNUSED_PAD src0_sel:WORD_0 src1_sel:DWORD
	v_mul_u32_u24_sdwa v53, v53, s24 dst_sel:DWORD dst_unused:UNUSED_PAD src0_sel:WORD_1 src1_sel:DWORD
	v_mul_u32_u24_sdwa v74, v54, s24 dst_sel:DWORD dst_unused:UNUSED_PAD src0_sel:WORD_0 src1_sel:DWORD
	v_mul_u32_u24_sdwa v54, v54, s24 dst_sel:DWORD dst_unused:UNUSED_PAD src0_sel:WORD_1 src1_sel:DWORD
	v_pk_fma_f16 v70, v5, v73, v70
	v_pk_fma_f16 v71, v5, v53, v71
	;; [unrolled: 1-line block ×16, first 2 shown]
	ds_read2_b64 v[5:8], v48 offset0:192 offset1:224
	v_mul_u32_u24_sdwa v66, v55, s24 dst_sel:DWORD dst_unused:UNUSED_PAD src0_sel:WORD_0 src1_sel:DWORD
	v_mul_u32_u24_sdwa v55, v55, s24 dst_sel:DWORD dst_unused:UNUSED_PAD src0_sel:WORD_1 src1_sel:DWORD
	v_mul_u32_u24_sdwa v69, v56, s24 dst_sel:DWORD dst_unused:UNUSED_PAD src0_sel:WORD_0 src1_sel:DWORD
	v_mul_u32_u24_sdwa v56, v56, s24 dst_sel:DWORD dst_unused:UNUSED_PAD src0_sel:WORD_1 src1_sel:DWORD
	s_waitcnt lgkmcnt(0)
	v_pk_fma_f16 v70, v5, v66, v70
	v_pk_fma_f16 v71, v5, v55, v71
	;; [unrolled: 1-line block ×16, first 2 shown]
	ds_read2_b64 v[5:8], v49 offset1:32
	ds_read_b128 v[53:56], v38 offset:96
	s_waitcnt lgkmcnt(0)
	v_mul_u32_u24_sdwa v73, v53, s24 dst_sel:DWORD dst_unused:UNUSED_PAD src0_sel:WORD_0 src1_sel:DWORD
	v_mul_u32_u24_sdwa v53, v53, s24 dst_sel:DWORD dst_unused:UNUSED_PAD src0_sel:WORD_1 src1_sel:DWORD
	v_mul_u32_u24_sdwa v74, v54, s24 dst_sel:DWORD dst_unused:UNUSED_PAD src0_sel:WORD_0 src1_sel:DWORD
	v_mul_u32_u24_sdwa v54, v54, s24 dst_sel:DWORD dst_unused:UNUSED_PAD src0_sel:WORD_1 src1_sel:DWORD
	v_pk_fma_f16 v70, v5, v73, v70
	v_pk_fma_f16 v71, v5, v53, v71
	;; [unrolled: 1-line block ×16, first 2 shown]
	ds_read2_b64 v[5:8], v49 offset0:64 offset1:96
	v_mul_u32_u24_sdwa v66, v55, s24 dst_sel:DWORD dst_unused:UNUSED_PAD src0_sel:WORD_0 src1_sel:DWORD
	v_mul_u32_u24_sdwa v55, v55, s24 dst_sel:DWORD dst_unused:UNUSED_PAD src0_sel:WORD_1 src1_sel:DWORD
	v_mul_u32_u24_sdwa v69, v56, s24 dst_sel:DWORD dst_unused:UNUSED_PAD src0_sel:WORD_0 src1_sel:DWORD
	v_mul_u32_u24_sdwa v56, v56, s24 dst_sel:DWORD dst_unused:UNUSED_PAD src0_sel:WORD_1 src1_sel:DWORD
	s_waitcnt lgkmcnt(0)
	v_pk_fma_f16 v70, v5, v66, v70
	v_pk_fma_f16 v71, v5, v55, v71
	;; [unrolled: 1-line block ×16, first 2 shown]
	ds_read2_b64 v[5:8], v49 offset0:128 offset1:160
	ds_read_b128 v[53:56], v38 offset:112
	s_waitcnt lgkmcnt(0)
	v_mul_u32_u24_sdwa v73, v53, s24 dst_sel:DWORD dst_unused:UNUSED_PAD src0_sel:WORD_0 src1_sel:DWORD
	v_mul_u32_u24_sdwa v53, v53, s24 dst_sel:DWORD dst_unused:UNUSED_PAD src0_sel:WORD_1 src1_sel:DWORD
	v_mul_u32_u24_sdwa v74, v54, s24 dst_sel:DWORD dst_unused:UNUSED_PAD src0_sel:WORD_0 src1_sel:DWORD
	v_mul_u32_u24_sdwa v54, v54, s24 dst_sel:DWORD dst_unused:UNUSED_PAD src0_sel:WORD_1 src1_sel:DWORD
	v_pk_fma_f16 v70, v5, v73, v70
	v_pk_fma_f16 v71, v5, v53, v71
	;; [unrolled: 1-line block ×16, first 2 shown]
	ds_read2_b64 v[5:8], v49 offset0:192 offset1:224
	v_mul_u32_u24_sdwa v77, v55, s24 dst_sel:DWORD dst_unused:UNUSED_PAD src0_sel:WORD_0 src1_sel:DWORD
	v_mul_u32_u24_sdwa v78, v55, s24 dst_sel:DWORD dst_unused:UNUSED_PAD src0_sel:WORD_1 src1_sel:DWORD
	v_mul_u32_u24_sdwa v79, v56, s24 dst_sel:DWORD dst_unused:UNUSED_PAD src0_sel:WORD_0 src1_sel:DWORD
	v_mul_u32_u24_sdwa v80, v56, s24 dst_sel:DWORD dst_unused:UNUSED_PAD src0_sel:WORD_1 src1_sel:DWORD
	s_waitcnt lgkmcnt(0)
	v_pk_fma_f16 v53, v5, v77, v70
	v_pk_fma_f16 v54, v5, v78, v71
	;; [unrolled: 1-line block ×8, first 2 shown]
	v_add_co_u32_e32 v5, vcc, s25, v13
	v_mov_b32_e32 v6, s26
	v_addc_co_u32_e32 v6, vcc, v6, v14, vcc
	v_add_co_u32_e32 v5, vcc, v5, v39
	v_addc_co_u32_e32 v6, vcc, 0, v6, vcc
	v_pk_fma_f16 v61, v7, v77, v67
	v_pk_fma_f16 v62, v7, v78, v63
	;; [unrolled: 1-line block ×8, first 2 shown]
	s_barrier
	global_load_dwordx4 v[5:8], v[5:6], off
	s_waitcnt vmcnt(0)
	ds_write_b128 v40, v[5:8]
	v_add_co_u32_e32 v5, vcc, s25, v15
	v_mov_b32_e32 v6, s26
	v_addc_co_u32_e32 v6, vcc, v6, v16, vcc
	v_add_co_u32_e32 v5, vcc, v5, v39
	v_addc_co_u32_e32 v6, vcc, 0, v6, vcc
	global_load_dwordx4 v[5:8], v[5:6], off
	s_waitcnt vmcnt(0)
	ds_write_b128 v41, v[5:8]
	s_waitcnt lgkmcnt(0)
	s_barrier
	ds_read2_b64 v[69:72], v46 offset1:32
	ds_read_b128 v[73:76], v38 offset:128
	ds_read_b128 v[77:80], v38 offset:144
	;; [unrolled: 1-line block ×4, first 2 shown]
	s_waitcnt lgkmcnt(3)
	v_mul_u32_u24_sdwa v85, v73, s24 dst_sel:DWORD dst_unused:UNUSED_PAD src0_sel:WORD_0 src1_sel:DWORD
	v_mul_u32_u24_sdwa v73, v73, s24 dst_sel:DWORD dst_unused:UNUSED_PAD src0_sel:WORD_1 src1_sel:DWORD
	v_mul_u32_u24_sdwa v86, v74, s24 dst_sel:DWORD dst_unused:UNUSED_PAD src0_sel:WORD_0 src1_sel:DWORD
	v_mul_u32_u24_sdwa v74, v74, s24 dst_sel:DWORD dst_unused:UNUSED_PAD src0_sel:WORD_1 src1_sel:DWORD
	v_pk_fma_f16 v87, v69, v85, v53
	v_pk_fma_f16 v88, v69, v73, v54
	;; [unrolled: 1-line block ×4, first 2 shown]
	ds_read2_b64 v[53:56], v46 offset0:64 offset1:96
	v_pk_fma_f16 v57, v70, v85, v57
	v_pk_fma_f16 v58, v70, v73, v58
	;; [unrolled: 1-line block ×12, first 2 shown]
	v_mul_u32_u24_sdwa v70, v75, s24 dst_sel:DWORD dst_unused:UNUSED_PAD src0_sel:WORD_0 src1_sel:DWORD
	v_mul_u32_u24_sdwa v71, v75, s24 dst_sel:DWORD dst_unused:UNUSED_PAD src0_sel:WORD_1 src1_sel:DWORD
	v_mul_u32_u24_sdwa v72, v76, s24 dst_sel:DWORD dst_unused:UNUSED_PAD src0_sel:WORD_0 src1_sel:DWORD
	v_mul_u32_u24_sdwa v73, v76, s24 dst_sel:DWORD dst_unused:UNUSED_PAD src0_sel:WORD_1 src1_sel:DWORD
	s_waitcnt lgkmcnt(0)
	v_pk_fma_f16 v74, v53, v70, v87
	v_pk_fma_f16 v75, v53, v71, v88
	;; [unrolled: 1-line block ×16, first 2 shown]
	ds_read2_b64 v[53:56], v46 offset0:128 offset1:160
	v_mul_u32_u24_sdwa v70, v77, s24 dst_sel:DWORD dst_unused:UNUSED_PAD src0_sel:WORD_0 src1_sel:DWORD
	v_mul_u32_u24_sdwa v71, v77, s24 dst_sel:DWORD dst_unused:UNUSED_PAD src0_sel:WORD_1 src1_sel:DWORD
	v_mul_u32_u24_sdwa v72, v78, s24 dst_sel:DWORD dst_unused:UNUSED_PAD src0_sel:WORD_0 src1_sel:DWORD
	v_mul_u32_u24_sdwa v73, v78, s24 dst_sel:DWORD dst_unused:UNUSED_PAD src0_sel:WORD_1 src1_sel:DWORD
	s_waitcnt lgkmcnt(0)
	v_pk_fma_f16 v74, v53, v70, v74
	v_pk_fma_f16 v75, v53, v71, v75
	;; [unrolled: 1-line block ×16, first 2 shown]
	ds_read2_b64 v[53:56], v46 offset0:192 offset1:224
	v_mul_u32_u24_sdwa v70, v79, s24 dst_sel:DWORD dst_unused:UNUSED_PAD src0_sel:WORD_0 src1_sel:DWORD
	v_mul_u32_u24_sdwa v71, v79, s24 dst_sel:DWORD dst_unused:UNUSED_PAD src0_sel:WORD_1 src1_sel:DWORD
	v_mul_u32_u24_sdwa v72, v80, s24 dst_sel:DWORD dst_unused:UNUSED_PAD src0_sel:WORD_0 src1_sel:DWORD
	v_mul_u32_u24_sdwa v73, v80, s24 dst_sel:DWORD dst_unused:UNUSED_PAD src0_sel:WORD_1 src1_sel:DWORD
	s_waitcnt lgkmcnt(0)
	v_pk_fma_f16 v74, v53, v70, v74
	v_pk_fma_f16 v75, v53, v71, v75
	;; [unrolled: 1-line block ×16, first 2 shown]
	ds_read2_b64 v[53:56], v47 offset1:32
	v_mul_u32_u24_sdwa v70, v81, s24 dst_sel:DWORD dst_unused:UNUSED_PAD src0_sel:WORD_0 src1_sel:DWORD
	v_mul_u32_u24_sdwa v71, v81, s24 dst_sel:DWORD dst_unused:UNUSED_PAD src0_sel:WORD_1 src1_sel:DWORD
	v_mul_u32_u24_sdwa v72, v82, s24 dst_sel:DWORD dst_unused:UNUSED_PAD src0_sel:WORD_0 src1_sel:DWORD
	v_mul_u32_u24_sdwa v73, v82, s24 dst_sel:DWORD dst_unused:UNUSED_PAD src0_sel:WORD_1 src1_sel:DWORD
	s_waitcnt lgkmcnt(0)
	v_pk_fma_f16 v74, v53, v70, v74
	v_pk_fma_f16 v75, v53, v71, v75
	v_pk_fma_f16 v76, v53, v72, v76
	v_pk_fma_f16 v69, v53, v73, v69
	v_pk_fma_f16 v57, v54, v70, v57
	v_pk_fma_f16 v58, v54, v71, v58
	v_pk_fma_f16 v59, v54, v72, v59
	v_pk_fma_f16 v60, v54, v73, v60
	v_pk_fma_f16 v61, v55, v70, v61
	v_pk_fma_f16 v62, v55, v71, v62
	v_pk_fma_f16 v63, v55, v72, v63
	v_pk_fma_f16 v64, v55, v73, v64
	v_pk_fma_f16 v65, v56, v70, v65
	v_pk_fma_f16 v66, v56, v71, v66
	v_pk_fma_f16 v67, v56, v72, v67
	v_pk_fma_f16 v68, v56, v73, v68
	ds_read2_b64 v[53:56], v47 offset0:64 offset1:96
	v_mul_u32_u24_sdwa v70, v83, s24 dst_sel:DWORD dst_unused:UNUSED_PAD src0_sel:WORD_0 src1_sel:DWORD
	v_mul_u32_u24_sdwa v71, v83, s24 dst_sel:DWORD dst_unused:UNUSED_PAD src0_sel:WORD_1 src1_sel:DWORD
	v_mul_u32_u24_sdwa v72, v84, s24 dst_sel:DWORD dst_unused:UNUSED_PAD src0_sel:WORD_0 src1_sel:DWORD
	v_mul_u32_u24_sdwa v73, v84, s24 dst_sel:DWORD dst_unused:UNUSED_PAD src0_sel:WORD_1 src1_sel:DWORD
	s_waitcnt lgkmcnt(0)
	v_pk_fma_f16 v74, v53, v70, v74
	v_pk_fma_f16 v75, v53, v71, v75
	v_pk_fma_f16 v76, v53, v72, v76
	v_pk_fma_f16 v69, v53, v73, v69
	v_pk_fma_f16 v57, v54, v70, v57
	v_pk_fma_f16 v58, v54, v71, v58
	v_pk_fma_f16 v59, v54, v72, v59
	v_pk_fma_f16 v60, v54, v73, v60
	v_pk_fma_f16 v61, v55, v70, v61
	v_pk_fma_f16 v62, v55, v71, v62
	v_pk_fma_f16 v63, v55, v72, v63
	v_pk_fma_f16 v64, v55, v73, v64
	v_pk_fma_f16 v65, v56, v70, v65
	v_pk_fma_f16 v66, v56, v71, v66
	v_pk_fma_f16 v67, v56, v72, v67
	v_pk_fma_f16 v68, v56, v73, v68
	ds_read2_b64 v[53:56], v47 offset0:128 offset1:160
	;; [unrolled: 22-line block ×3, first 2 shown]
	v_mul_u32_u24_sdwa v67, v7, s24 dst_sel:DWORD dst_unused:UNUSED_PAD src0_sel:WORD_0 src1_sel:DWORD
	v_mul_u32_u24_sdwa v7, v7, s24 dst_sel:DWORD dst_unused:UNUSED_PAD src0_sel:WORD_1 src1_sel:DWORD
	v_mul_u32_u24_sdwa v68, v8, s24 dst_sel:DWORD dst_unused:UNUSED_PAD src0_sel:WORD_0 src1_sel:DWORD
	v_mul_u32_u24_sdwa v8, v8, s24 dst_sel:DWORD dst_unused:UNUSED_PAD src0_sel:WORD_1 src1_sel:DWORD
	s_waitcnt lgkmcnt(0)
	v_pk_fma_f16 v70, v53, v67, v72
	v_pk_fma_f16 v71, v53, v7, v73
	;; [unrolled: 1-line block ×16, first 2 shown]
	ds_read2_b64 v[5:8], v48 offset1:32
	ds_read_b128 v[53:56], v38 offset:192
	s_waitcnt lgkmcnt(0)
	v_mul_u32_u24_sdwa v73, v53, s24 dst_sel:DWORD dst_unused:UNUSED_PAD src0_sel:WORD_0 src1_sel:DWORD
	v_mul_u32_u24_sdwa v53, v53, s24 dst_sel:DWORD dst_unused:UNUSED_PAD src0_sel:WORD_1 src1_sel:DWORD
	v_mul_u32_u24_sdwa v74, v54, s24 dst_sel:DWORD dst_unused:UNUSED_PAD src0_sel:WORD_0 src1_sel:DWORD
	v_mul_u32_u24_sdwa v54, v54, s24 dst_sel:DWORD dst_unused:UNUSED_PAD src0_sel:WORD_1 src1_sel:DWORD
	v_pk_fma_f16 v70, v5, v73, v70
	v_pk_fma_f16 v71, v5, v53, v71
	;; [unrolled: 1-line block ×16, first 2 shown]
	ds_read2_b64 v[5:8], v48 offset0:64 offset1:96
	v_mul_u32_u24_sdwa v67, v55, s24 dst_sel:DWORD dst_unused:UNUSED_PAD src0_sel:WORD_0 src1_sel:DWORD
	v_mul_u32_u24_sdwa v55, v55, s24 dst_sel:DWORD dst_unused:UNUSED_PAD src0_sel:WORD_1 src1_sel:DWORD
	v_mul_u32_u24_sdwa v68, v56, s24 dst_sel:DWORD dst_unused:UNUSED_PAD src0_sel:WORD_0 src1_sel:DWORD
	v_mul_u32_u24_sdwa v56, v56, s24 dst_sel:DWORD dst_unused:UNUSED_PAD src0_sel:WORD_1 src1_sel:DWORD
	s_waitcnt lgkmcnt(0)
	v_pk_fma_f16 v70, v5, v67, v70
	v_pk_fma_f16 v71, v5, v55, v71
	;; [unrolled: 1-line block ×16, first 2 shown]
	ds_read2_b64 v[5:8], v48 offset0:128 offset1:160
	ds_read_b128 v[53:56], v38 offset:208
	s_waitcnt lgkmcnt(0)
	v_mul_u32_u24_sdwa v73, v53, s24 dst_sel:DWORD dst_unused:UNUSED_PAD src0_sel:WORD_0 src1_sel:DWORD
	v_mul_u32_u24_sdwa v53, v53, s24 dst_sel:DWORD dst_unused:UNUSED_PAD src0_sel:WORD_1 src1_sel:DWORD
	v_mul_u32_u24_sdwa v74, v54, s24 dst_sel:DWORD dst_unused:UNUSED_PAD src0_sel:WORD_0 src1_sel:DWORD
	v_mul_u32_u24_sdwa v54, v54, s24 dst_sel:DWORD dst_unused:UNUSED_PAD src0_sel:WORD_1 src1_sel:DWORD
	v_pk_fma_f16 v70, v5, v73, v70
	v_pk_fma_f16 v71, v5, v53, v71
	v_pk_fma_f16 v72, v5, v74, v72
	v_pk_fma_f16 v69, v5, v54, v69
	v_pk_fma_f16 v57, v6, v73, v57
	v_pk_fma_f16 v58, v6, v53, v58
	v_pk_fma_f16 v59, v6, v74, v59
	v_pk_fma_f16 v60, v6, v54, v60
	v_pk_fma_f16 v61, v7, v73, v61
	v_pk_fma_f16 v62, v7, v53, v62
	v_pk_fma_f16 v63, v7, v74, v63
	v_pk_fma_f16 v64, v7, v54, v64
	v_pk_fma_f16 v65, v8, v73, v65
	v_pk_fma_f16 v53, v8, v53, v67
	v_pk_fma_f16 v66, v8, v74, v66
	v_pk_fma_f16 v54, v8, v54, v68
	ds_read2_b64 v[5:8], v48 offset0:192 offset1:224
	v_mul_u32_u24_sdwa v67, v55, s24 dst_sel:DWORD dst_unused:UNUSED_PAD src0_sel:WORD_0 src1_sel:DWORD
	v_mul_u32_u24_sdwa v55, v55, s24 dst_sel:DWORD dst_unused:UNUSED_PAD src0_sel:WORD_1 src1_sel:DWORD
	v_mul_u32_u24_sdwa v68, v56, s24 dst_sel:DWORD dst_unused:UNUSED_PAD src0_sel:WORD_0 src1_sel:DWORD
	v_mul_u32_u24_sdwa v56, v56, s24 dst_sel:DWORD dst_unused:UNUSED_PAD src0_sel:WORD_1 src1_sel:DWORD
	s_waitcnt lgkmcnt(0)
	v_pk_fma_f16 v70, v5, v67, v70
	v_pk_fma_f16 v71, v5, v55, v71
	;; [unrolled: 1-line block ×16, first 2 shown]
	ds_read2_b64 v[5:8], v49 offset1:32
	ds_read_b128 v[53:56], v38 offset:224
	s_waitcnt lgkmcnt(0)
	v_mul_u32_u24_sdwa v73, v53, s24 dst_sel:DWORD dst_unused:UNUSED_PAD src0_sel:WORD_0 src1_sel:DWORD
	v_mul_u32_u24_sdwa v53, v53, s24 dst_sel:DWORD dst_unused:UNUSED_PAD src0_sel:WORD_1 src1_sel:DWORD
	v_mul_u32_u24_sdwa v74, v54, s24 dst_sel:DWORD dst_unused:UNUSED_PAD src0_sel:WORD_0 src1_sel:DWORD
	v_mul_u32_u24_sdwa v54, v54, s24 dst_sel:DWORD dst_unused:UNUSED_PAD src0_sel:WORD_1 src1_sel:DWORD
	v_pk_fma_f16 v70, v5, v73, v70
	v_pk_fma_f16 v71, v5, v53, v71
	;; [unrolled: 1-line block ×16, first 2 shown]
	ds_read2_b64 v[5:8], v49 offset0:64 offset1:96
	v_mul_u32_u24_sdwa v67, v55, s24 dst_sel:DWORD dst_unused:UNUSED_PAD src0_sel:WORD_0 src1_sel:DWORD
	v_mul_u32_u24_sdwa v55, v55, s24 dst_sel:DWORD dst_unused:UNUSED_PAD src0_sel:WORD_1 src1_sel:DWORD
	v_mul_u32_u24_sdwa v68, v56, s24 dst_sel:DWORD dst_unused:UNUSED_PAD src0_sel:WORD_0 src1_sel:DWORD
	v_mul_u32_u24_sdwa v56, v56, s24 dst_sel:DWORD dst_unused:UNUSED_PAD src0_sel:WORD_1 src1_sel:DWORD
	s_waitcnt lgkmcnt(0)
	v_pk_fma_f16 v70, v5, v67, v70
	v_pk_fma_f16 v71, v5, v55, v71
	;; [unrolled: 1-line block ×16, first 2 shown]
	ds_read2_b64 v[5:8], v49 offset0:128 offset1:160
	ds_read_b128 v[53:56], v38 offset:240
	s_waitcnt lgkmcnt(0)
	v_mul_u32_u24_sdwa v73, v53, s24 dst_sel:DWORD dst_unused:UNUSED_PAD src0_sel:WORD_0 src1_sel:DWORD
	v_mul_u32_u24_sdwa v53, v53, s24 dst_sel:DWORD dst_unused:UNUSED_PAD src0_sel:WORD_1 src1_sel:DWORD
	v_mul_u32_u24_sdwa v74, v54, s24 dst_sel:DWORD dst_unused:UNUSED_PAD src0_sel:WORD_0 src1_sel:DWORD
	v_mul_u32_u24_sdwa v54, v54, s24 dst_sel:DWORD dst_unused:UNUSED_PAD src0_sel:WORD_1 src1_sel:DWORD
	v_pk_fma_f16 v70, v5, v73, v70
	v_pk_fma_f16 v71, v5, v53, v71
	v_pk_fma_f16 v72, v5, v74, v72
	v_pk_fma_f16 v69, v5, v54, v69
	v_pk_fma_f16 v57, v6, v73, v57
	v_pk_fma_f16 v75, v6, v53, v58
	v_pk_fma_f16 v59, v6, v74, v59
	v_pk_fma_f16 v60, v6, v54, v60
	v_pk_fma_f16 v61, v7, v73, v61
	v_pk_fma_f16 v76, v7, v53, v62
	v_pk_fma_f16 v77, v7, v74, v63
	v_pk_fma_f16 v64, v7, v54, v64
	v_pk_fma_f16 v73, v8, v73, v65
	v_pk_fma_f16 v78, v8, v53, v67
	v_pk_fma_f16 v74, v8, v74, v66
	v_pk_fma_f16 v79, v8, v54, v68
	ds_read2_b64 v[5:8], v49 offset0:192 offset1:224
	s_waitcnt lgkmcnt(0)
	s_barrier
	s_load_dword s25, s[0:1], 0x4
	v_mul_u32_u24_sdwa v67, v55, s24 dst_sel:DWORD dst_unused:UNUSED_PAD src0_sel:WORD_0 src1_sel:DWORD
	v_mul_u32_u24_sdwa v55, v55, s24 dst_sel:DWORD dst_unused:UNUSED_PAD src0_sel:WORD_1 src1_sel:DWORD
	v_mul_u32_u24_sdwa v80, v56, s24 dst_sel:DWORD dst_unused:UNUSED_PAD src0_sel:WORD_0 src1_sel:DWORD
	v_mul_u32_u24_sdwa v81, v56, s24 dst_sel:DWORD dst_unused:UNUSED_PAD src0_sel:WORD_1 src1_sel:DWORD
	s_waitcnt lgkmcnt(0)
	s_lshl_b32 s25, s25, 5
	s_add_i32 s6, s25, s6
	v_pk_fma_f16 v56, v5, v67, v70
	v_pk_fma_f16 v54, v5, v55, v71
	;; [unrolled: 1-line block ×16, first 2 shown]
	s_cmp_ge_i32 s6, s30
	s_cbranch_scc0 .LBB26_9
.LBB26_10:
	v_cmp_lt_i32_e32 vcc, v31, v26
	v_cndmask_b32_e32 v5, v25, v31, vcc
	v_lshlrev_b32_e32 v5, 2, v5
	ds_bpermute_b32 v6, v5, v51
	ds_bpermute_b32 v12, v5, v50
	ds_bpermute_b32 v13, v5, v52
	ds_bpermute_b32 v5, v5, v32
	v_cmp_lt_i32_e32 vcc, v30, v26
	v_cndmask_b32_e32 v7, v25, v30, vcc
	v_lshlrev_b32_e32 v7, 2, v7
	s_waitcnt lgkmcnt(3)
	v_add_f32_e32 v6, v51, v6
	s_waitcnt lgkmcnt(2)
	v_add_f32_e32 v12, v50, v12
	s_waitcnt lgkmcnt(1)
	v_add_f32_e32 v13, v52, v13
	s_waitcnt lgkmcnt(0)
	v_add_f32_e32 v5, v32, v5
	ds_bpermute_b32 v8, v7, v6
	ds_bpermute_b32 v14, v7, v12
	ds_bpermute_b32 v15, v7, v13
	ds_bpermute_b32 v7, v7, v5
	v_cmp_lt_i32_e32 vcc, v29, v26
	v_cndmask_b32_e32 v9, v25, v29, vcc
	v_lshlrev_b32_e32 v9, 2, v9
	s_waitcnt lgkmcnt(3)
	v_add_f32_e32 v6, v6, v8
	s_waitcnt lgkmcnt(2)
	v_add_f32_e32 v12, v12, v14
	s_waitcnt lgkmcnt(1)
	v_add_f32_e32 v13, v13, v15
	s_waitcnt lgkmcnt(0)
	v_add_f32_e32 v5, v5, v7
	;; [unrolled: 15-line block ×4, first 2 shown]
	ds_bpermute_b32 v8, v11, v6
	ds_bpermute_b32 v10, v11, v9
	;; [unrolled: 1-line block ×4, first 2 shown]
	s_cmp_lg_u64 s[16:17], 0
	s_cselect_b64 s[0:1], -1, 0
	s_cmp_eq_u32 s7, 0
	s_cselect_b64 s[8:9], -1, 0
	s_and_b64 s[0:1], s[8:9], s[0:1]
	s_waitcnt lgkmcnt(3)
	v_add_f32_e32 v5, v6, v8
	s_waitcnt lgkmcnt(2)
	v_add_f32_e32 v6, v9, v10
	;; [unrolled: 2-line block ×4, first 2 shown]
	s_and_b64 vcc, exec, s[0:1]
	s_cbranch_vccz .LBB26_13
; %bb.11:
	s_ashr_i32 s29, s28, 31
	s_lshl_b64 s[0:1], s[28:29], 2
	s_add_u32 s0, s16, s0
	s_addc_u32 s1, s17, s1
	v_mov_b32_e32 v9, 0
	global_load_dwordx2 v[11:12], v9, s[0:1]
	v_max_f32_e32 v9, v1, v1
	v_max_f32_e32 v10, v2, v2
	;; [unrolled: 1-line block ×3, first 2 shown]
	s_mov_b32 s6, 0x3fb8aa3b
	s_mov_b32 s1, 0xc2ce8ed0
	;; [unrolled: 1-line block ×3, first 2 shown]
	v_mov_b32_e32 v24, 0x7f800000
	s_waitcnt vmcnt(0)
	v_max_f32_e32 v16, v11, v11
	v_max_f32_e32 v13, v9, v16
	;; [unrolled: 1-line block ×3, first 2 shown]
	v_sub_f32_e32 v1, v1, v13
	v_max_f32_e32 v14, v10, v25
	v_max_f32_e32 v15, v15, v16
	v_sub_f32_e32 v9, v11, v13
	v_mul_f32_e32 v16, 0x3fb8aa3b, v1
	v_sub_f32_e32 v2, v2, v14
	v_mul_f32_e32 v26, 0x3fb8aa3b, v9
	v_fma_f32 v31, v1, s6, -v16
	v_rndne_f32_e32 v32, v16
	v_sub_f32_e32 v10, v12, v14
	v_mul_f32_e32 v27, 0x3fb8aa3b, v2
	v_fma_f32 v33, v9, s6, -v26
	v_rndne_f32_e32 v34, v26
	v_fmac_f32_e32 v31, 0x32a5705f, v1
	v_sub_f32_e32 v16, v16, v32
	v_mul_f32_e32 v28, 0x3fb8aa3b, v10
	v_fma_f32 v35, v2, s6, -v27
	v_rndne_f32_e32 v36, v27
	v_fmac_f32_e32 v33, 0x32a5705f, v9
	v_sub_f32_e32 v26, v26, v34
	v_add_f32_e32 v16, v16, v31
	v_fma_f32 v37, v10, s6, -v28
	v_rndne_f32_e32 v38, v28
	v_cvt_i32_f32_e32 v32, v32
	v_fmac_f32_e32 v35, 0x32a5705f, v2
	v_sub_f32_e32 v27, v27, v36
	v_add_f32_e32 v26, v26, v33
	v_exp_f32_e32 v16, v16
	v_cvt_i32_f32_e32 v34, v34
	v_fmac_f32_e32 v37, 0x32a5705f, v10
	v_sub_f32_e32 v28, v28, v38
	v_add_f32_e32 v27, v27, v35
	v_exp_f32_e32 v26, v26
	v_cvt_i32_f32_e32 v36, v36
	v_add_f32_e32 v28, v28, v37
	v_exp_f32_e32 v27, v27
	v_cvt_i32_f32_e32 v38, v38
	v_exp_f32_e32 v28, v28
	v_ldexp_f32 v16, v16, v32
	v_cmp_ngt_f32_e32 vcc, s1, v1
	v_ldexp_f32 v26, v26, v34
	v_cndmask_b32_e32 v16, 0, v16, vcc
	v_cmp_ngt_f32_e32 vcc, s1, v9
	v_ldexp_f32 v27, v27, v36
	v_cndmask_b32_e32 v26, 0, v26, vcc
	;; [unrolled: 3-line block ×3, first 2 shown]
	v_cmp_ngt_f32_e32 vcc, s1, v10
	v_cndmask_b32_e32 v28, 0, v28, vcc
	v_cmp_nlt_f32_e32 vcc, s0, v1
	v_sub_f32_e32 v3, v3, v15
	v_cndmask_b32_e32 v1, v24, v16, vcc
	v_cmp_nlt_f32_e32 vcc, s0, v9
	v_mul_f32_e32 v29, 0x3fb8aa3b, v3
	v_cndmask_b32_e32 v9, v24, v26, vcc
	v_cmp_nlt_f32_e32 vcc, s0, v2
	v_fma_f32 v39, v3, s6, -v29
	v_rndne_f32_e32 v40, v29
	v_cndmask_b32_e32 v2, v24, v27, vcc
	v_cvt_f16_f32_e32 v16, v1
	v_sub_f32_e32 v11, v11, v15
	v_fmac_f32_e32 v39, 0x32a5705f, v3
	v_sub_f32_e32 v29, v29, v40
	v_cvt_f16_f32_e32 v26, v2
	v_mul_f32_e32 v30, 0x3fb8aa3b, v11
	v_add_f32_e32 v29, v29, v39
	v_fma_f32 v41, v11, s6, -v30
	v_rndne_f32_e32 v42, v30
	v_cvt_i32_f32_e32 v40, v40
	v_exp_f32_e32 v29, v29
	v_cmp_nlt_f32_e32 vcc, s0, v10
	v_fmac_f32_e32 v41, 0x32a5705f, v11
	v_sub_f32_e32 v30, v30, v42
	v_cndmask_b32_e32 v10, v24, v28, vcc
	v_fmac_f32_e32 v9, v5, v1
	v_mul_u32_u24_e32 v1, 0x10001, v16
	v_fmac_f32_e32 v10, v6, v2
	v_mul_u32_u24_e32 v2, 0x10001, v26
	v_pk_mul_f16 v56, v56, v1
	v_pk_mul_f16 v68, v68, v1
	;; [unrolled: 1-line block ×4, first 2 shown]
	v_add_f32_e32 v1, v30, v41
	v_pk_mul_f16 v54, v54, v2
	v_pk_mul_f16 v65, v65, v2
	;; [unrolled: 1-line block ×4, first 2 shown]
	v_exp_f32_e32 v1, v1
	v_cvt_i32_f32_e32 v2, v42
	v_ldexp_f32 v29, v29, v40
	v_cmp_ngt_f32_e32 vcc, s1, v3
	v_cndmask_b32_e32 v5, 0, v29, vcc
	v_cmp_nlt_f32_e32 vcc, s0, v3
	v_cndmask_b32_e32 v3, v24, v5, vcc
	v_ldexp_f32 v1, v1, v2
	v_cvt_f16_f32_e32 v2, v3
	v_cmp_ngt_f32_e32 vcc, s1, v11
	v_cndmask_b32_e32 v1, 0, v1, vcc
	v_cmp_nlt_f32_e32 vcc, s0, v11
	v_cndmask_b32_e32 v11, v24, v1, vcc
	v_mul_u32_u24_e32 v1, 0x10001, v2
	v_max_f32_e32 v2, v4, v4
	v_max_f32_e32 v16, v2, v25
	v_sub_f32_e32 v2, v4, v16
	v_fmac_f32_e32 v11, v7, v3
	v_mul_f32_e32 v3, 0x3fb8aa3b, v2
	v_fma_f32 v4, v2, s6, -v3
	v_rndne_f32_e32 v5, v3
	v_fmac_f32_e32 v4, 0x32a5705f, v2
	v_sub_f32_e32 v3, v3, v5
	v_add_f32_e32 v3, v3, v4
	v_exp_f32_e32 v3, v3
	v_cvt_i32_f32_e32 v4, v5
	v_pk_mul_f16 v53, v53, v1
	v_pk_mul_f16 v62, v62, v1
	;; [unrolled: 1-line block ×4, first 2 shown]
	v_ldexp_f32 v1, v3, v4
	v_sub_f32_e32 v3, v12, v16
	v_mul_f32_e32 v4, 0x3fb8aa3b, v3
	v_fma_f32 v5, v3, s6, -v4
	v_rndne_f32_e32 v6, v4
	v_fmac_f32_e32 v5, 0x32a5705f, v3
	v_sub_f32_e32 v4, v4, v6
	v_add_f32_e32 v4, v4, v5
	v_exp_f32_e32 v4, v4
	v_cvt_i32_f32_e32 v5, v6
	v_cmp_ngt_f32_e32 vcc, s1, v2
	v_cndmask_b32_e32 v1, 0, v1, vcc
	v_cmp_nlt_f32_e32 vcc, s0, v2
	v_cndmask_b32_e32 v1, v24, v1, vcc
	v_ldexp_f32 v2, v4, v5
	v_cvt_f16_f32_e32 v4, v1
	v_cmp_ngt_f32_e32 vcc, s1, v3
	v_cndmask_b32_e32 v2, 0, v2, vcc
	v_cmp_nlt_f32_e32 vcc, s0, v3
	v_cndmask_b32_e32 v12, v24, v2, vcc
	v_fmac_f32_e32 v12, v8, v1
	v_mul_u32_u24_e32 v1, 0x10001, v4
	v_pk_mul_f16 v58, v58, v1
	v_pk_mul_f16 v59, v59, v1
	;; [unrolled: 1-line block ×4, first 2 shown]
	v_mov_b32_e32 v1, v13
	v_mov_b32_e32 v2, v14
	;; [unrolled: 1-line block ×8, first 2 shown]
	v_cmp_gt_i32_e32 vcc, s2, v23
	s_and_saveexec_b64 s[0:1], vcc
	s_cbranch_execnz .LBB26_14
.LBB26_12:
	s_endpgm
.LBB26_13:
	v_mov_b32_e32 v12, v8
	v_mov_b32_e32 v11, v7
	;; [unrolled: 1-line block ×4, first 2 shown]
	v_cmp_gt_i32_e32 vcc, s2, v23
	s_and_saveexec_b64 s[0:1], vcc
	s_cbranch_execz .LBB26_12
.LBB26_14:
	s_load_dword s6, s[4:5], 0xd4
	v_mov_b32_e32 v14, 1.0
	s_waitcnt lgkmcnt(0)
	s_cmp_lg_u32 s6, 1
	s_cselect_b64 s[4:5], -1, 0
	s_cmp_eq_u32 s6, 1
	s_cselect_b64 s[8:9], -1, 0
	s_and_b64 vcc, exec, s[4:5]
	s_cbranch_vccnz .LBB26_16
; %bb.15:
	v_div_scale_f32 v13, s[0:1], v5, v5, 1.0
	v_div_scale_f32 v14, vcc, 1.0, v5, 1.0
	v_rcp_f32_e32 v15, v13
	v_fma_f32 v16, -v13, v15, 1.0
	v_fmac_f32_e32 v15, v16, v15
	v_mul_f32_e32 v16, v14, v15
	v_fma_f32 v23, -v13, v16, v14
	v_fmac_f32_e32 v16, v23, v15
	v_fma_f32 v13, -v13, v16, v14
	v_div_fmas_f32 v13, v13, v15, v16
	v_div_fixup_f32 v14, v13, v5, 1.0
.LBB26_16:
	s_mul_i32 s10, s33, s2
	s_add_i32 s10, s10, s14
	v_add_u32_e32 v5, s10, v22
	v_mul_lo_u32 v5, v5, s3
	v_cvt_f32_f16_e32 v16, v68
	v_cvt_f32_f16_sdwa v22, v56 dst_sel:DWORD dst_unused:UNUSED_PAD src0_sel:WORD_1
	v_cvt_f32_f16_e32 v26, v56
	v_add_u32_e32 v13, s28, v5
	v_mul_lo_u32 v13, s6, v13
	v_cmp_eq_u32_e32 vcc, 0, v0
	v_cvt_f32_f16_sdwa v0, v68 dst_sel:DWORD dst_unused:UNUSED_PAD src0_sel:WORD_1
	v_mul_f32_e32 v24, v14, v16
	v_add_u32_e32 v13, s7, v13
	v_lshl_add_u32 v15, v13, 8, v21
	v_mov_b32_e32 v16, 0
	v_mul_f32_e32 v23, v14, v22
	v_mul_f32_e32 v22, v14, v26
	v_lshlrev_b64 v[26:27], 2, v[15:16]
	v_mul_f32_e32 v25, v14, v0
	v_mov_b32_e32 v0, s21
	v_add_co_u32_e64 v26, s[0:1], s20, v26
	v_addc_co_u32_e64 v27, s[0:1], v0, v27, s[0:1]
	global_store_dwordx4 v[26:27], v[22:25], off
	v_cvt_f32_f16_sdwa v0, v67 dst_sel:DWORD dst_unused:UNUSED_PAD src0_sel:WORD_1
	v_cvt_f32_f16_e32 v22, v67
	v_cvt_f32_f16_sdwa v23, v66 dst_sel:DWORD dst_unused:UNUSED_PAD src0_sel:WORD_1
	v_cvt_f32_f16_e32 v26, v66
	v_add_u32_e32 v15, 0x80, v15
	v_mul_f32_e32 v25, v14, v0
	v_mul_f32_e32 v24, v14, v22
	;; [unrolled: 1-line block ×4, first 2 shown]
	v_lshlrev_b64 v[14:15], 2, v[15:16]
	v_mov_b32_e32 v0, s21
	v_add_co_u32_e64 v14, s[0:1], s20, v14
	v_addc_co_u32_e64 v15, s[0:1], v0, v15, s[0:1]
	s_and_b64 s[4:5], vcc, s[4:5]
	global_store_dwordx4 v[14:15], v[22:25], off
	s_and_saveexec_b64 s[0:1], s[4:5]
	s_cbranch_execz .LBB26_18
; %bb.17:
	v_ashrrev_i32_e32 v14, 31, v13
	v_lshlrev_b64 v[13:14], 3, v[13:14]
	v_mov_b32_e32 v0, s23
	v_add_co_u32_e32 v13, vcc, s22, v13
	v_addc_co_u32_e32 v14, vcc, v0, v14, vcc
	v_mov_b32_e32 v0, v1
	v_mov_b32_e32 v1, v9
	global_store_dwordx2 v[13:14], v[0:1], off
.LBB26_18:
	s_or_b64 exec, exec, s[0:1]
	v_cndmask_b32_e64 v0, 0, 1, s[8:9]
	v_cmp_ne_u32_e64 s[0:1], 1, v0
	s_andn2_b64 vcc, exec, s[8:9]
	v_mov_b32_e32 v1, 1.0
	s_cbranch_vccnz .LBB26_20
; %bb.19:
	v_div_scale_f32 v0, s[8:9], v6, v6, 1.0
	v_div_scale_f32 v1, vcc, 1.0, v6, 1.0
	v_rcp_f32_e32 v9, v0
	v_fma_f32 v13, -v0, v9, 1.0
	v_fmac_f32_e32 v9, v13, v9
	v_mul_f32_e32 v13, v1, v9
	v_fma_f32 v14, -v0, v13, v1
	v_fmac_f32_e32 v13, v14, v9
	v_fma_f32 v0, -v0, v13, v1
	v_div_fmas_f32 v0, v0, v9, v13
	v_div_fixup_f32 v1, v0, v6, 1.0
.LBB26_20:
	s_add_i32 s11, s28, 1
	v_add_u32_e32 v0, s11, v5
	v_mul_lo_u32 v0, s6, v0
	v_cvt_f32_f16_sdwa v6, v65 dst_sel:DWORD dst_unused:UNUSED_PAD src0_sel:WORD_1
	v_cvt_f32_f16_sdwa v13, v54 dst_sel:DWORD dst_unused:UNUSED_PAD src0_sel:WORD_1
	v_cvt_f32_f16_e32 v22, v54
	v_cvt_f32_f16_e32 v9, v65
	v_add_u32_e32 v0, s7, v0
	v_lshl_add_u32 v5, v0, 8, v21
	v_mul_f32_e32 v16, v1, v6
	v_mov_b32_e32 v6, 0
	v_mul_f32_e32 v14, v1, v13
	v_mul_f32_e32 v13, v1, v22
	v_lshlrev_b64 v[22:23], 2, v[5:6]
	v_mul_f32_e32 v15, v1, v9
	v_mov_b32_e32 v9, s21
	v_add_co_u32_e32 v22, vcc, s20, v22
	v_addc_co_u32_e32 v23, vcc, v9, v23, vcc
	global_store_dwordx4 v[22:23], v[13:16], off
	v_cvt_f32_f16_sdwa v9, v64 dst_sel:DWORD dst_unused:UNUSED_PAD src0_sel:WORD_1
	v_cvt_f32_f16_e32 v13, v64
	v_cvt_f32_f16_sdwa v14, v63 dst_sel:DWORD dst_unused:UNUSED_PAD src0_sel:WORD_1
	v_cvt_f32_f16_e32 v22, v63
	v_add_u32_e32 v5, 0x80, v5
	v_lshlrev_b64 v[5:6], 2, v[5:6]
	v_mul_f32_e32 v16, v1, v9
	v_mul_f32_e32 v15, v1, v13
	;; [unrolled: 1-line block ×4, first 2 shown]
	v_mov_b32_e32 v1, s21
	v_add_co_u32_e32 v5, vcc, s20, v5
	v_addc_co_u32_e32 v6, vcc, v1, v6, vcc
	global_store_dwordx4 v[5:6], v[13:16], off
	s_and_saveexec_b64 s[8:9], s[4:5]
	s_cbranch_execz .LBB26_22
; %bb.21:
	v_ashrrev_i32_e32 v1, 31, v0
	v_lshlrev_b64 v[0:1], 3, v[0:1]
	v_mov_b32_e32 v5, s23
	v_add_co_u32_e32 v0, vcc, s22, v0
	v_addc_co_u32_e32 v1, vcc, v5, v1, vcc
	v_mov_b32_e32 v9, v2
	global_store_dwordx2 v[0:1], v[9:10], off
.LBB26_22:
	s_or_b64 exec, exec, s[8:9]
	v_cmp_gt_i32_e32 vcc, s2, v20
	s_and_b64 exec, exec, vcc
	s_cbranch_execz .LBB26_12
; %bb.23:
	s_and_b64 vcc, exec, s[0:1]
	v_mov_b32_e32 v1, 1.0
	s_cbranch_vccnz .LBB26_25
; %bb.24:
	v_div_scale_f32 v0, s[8:9], v7, v7, 1.0
	v_div_scale_f32 v1, vcc, 1.0, v7, 1.0
	v_rcp_f32_e32 v2, v0
	v_fma_f32 v5, -v0, v2, 1.0
	v_fmac_f32_e32 v2, v5, v2
	v_mul_f32_e32 v5, v1, v2
	v_fma_f32 v6, -v0, v5, v1
	v_fmac_f32_e32 v5, v6, v2
	v_fma_f32 v0, -v0, v5, v1
	v_div_fmas_f32 v0, v0, v2, v5
	v_div_fixup_f32 v1, v0, v7, 1.0
.LBB26_25:
	v_add_u32_e32 v0, s10, v19
	v_mul_lo_u32 v0, v0, s3
	v_cvt_f32_f16_e32 v5, v62
	v_cvt_f32_f16_sdwa v6, v53 dst_sel:DWORD dst_unused:UNUSED_PAD src0_sel:WORD_1
	v_cvt_f32_f16_sdwa v2, v62 dst_sel:DWORD dst_unused:UNUSED_PAD src0_sel:WORD_1
	v_add_u32_e32 v0, s28, v0
	v_mul_lo_u32 v0, s6, v0
	v_cvt_f32_f16_e32 v7, v53
	v_mul_f32_e32 v15, v1, v5
	v_mul_f32_e32 v14, v1, v6
	v_add_u32_e32 v0, s7, v0
	v_lshl_add_u32 v5, v0, 8, v21
	v_mov_b32_e32 v6, 0
	v_lshlrev_b64 v[9:10], 2, v[5:6]
	v_mul_f32_e32 v16, v1, v2
	v_mov_b32_e32 v2, s21
	v_add_co_u32_e32 v9, vcc, s20, v9
	v_mul_f32_e32 v13, v1, v7
	v_addc_co_u32_e32 v10, vcc, v2, v10, vcc
	global_store_dwordx4 v[9:10], v[13:16], off
	v_cvt_f32_f16_sdwa v2, v61 dst_sel:DWORD dst_unused:UNUSED_PAD src0_sel:WORD_1
	v_cvt_f32_f16_e32 v7, v61
	v_cvt_f32_f16_sdwa v9, v60 dst_sel:DWORD dst_unused:UNUSED_PAD src0_sel:WORD_1
	v_cvt_f32_f16_e32 v10, v60
	v_add_u32_e32 v5, 0x80, v5
	v_mul_f32_e32 v16, v1, v2
	v_mul_f32_e32 v15, v1, v7
	;; [unrolled: 1-line block ×4, first 2 shown]
	v_lshlrev_b64 v[1:2], 2, v[5:6]
	v_mov_b32_e32 v5, s21
	v_add_co_u32_e32 v1, vcc, s20, v1
	v_addc_co_u32_e32 v2, vcc, v5, v2, vcc
	global_store_dwordx4 v[1:2], v[13:16], off
	s_and_saveexec_b64 s[8:9], s[4:5]
	s_cbranch_execz .LBB26_27
; %bb.26:
	v_ashrrev_i32_e32 v1, 31, v0
	v_lshlrev_b64 v[0:1], 3, v[0:1]
	v_mov_b32_e32 v2, s23
	v_add_co_u32_e32 v0, vcc, s22, v0
	v_addc_co_u32_e32 v1, vcc, v2, v1, vcc
	v_mov_b32_e32 v10, v3
	global_store_dwordx2 v[0:1], v[10:11], off
.LBB26_27:
	s_or_b64 exec, exec, s[8:9]
	v_cmp_gt_i32_e32 vcc, s2, v18
	s_and_b64 exec, exec, vcc
	s_cbranch_execz .LBB26_12
; %bb.28:
	s_and_b64 vcc, exec, s[0:1]
	v_mov_b32_e32 v1, 1.0
	s_cbranch_vccnz .LBB26_30
; %bb.29:
	v_div_scale_f32 v0, s[0:1], v8, v8, 1.0
	v_div_scale_f32 v1, vcc, 1.0, v8, 1.0
	v_rcp_f32_e32 v2, v0
	v_fma_f32 v3, -v0, v2, 1.0
	v_fmac_f32_e32 v2, v3, v2
	v_mul_f32_e32 v3, v1, v2
	v_fma_f32 v5, -v0, v3, v1
	v_fmac_f32_e32 v3, v5, v2
	v_fma_f32 v0, -v0, v3, v1
	v_div_fmas_f32 v0, v0, v2, v3
	v_div_fixup_f32 v1, v0, v8, 1.0
.LBB26_30:
	v_add_u32_e32 v0, s10, v17
	v_mul_lo_u32 v0, v0, s3
	v_cvt_f32_f16_sdwa v2, v59 dst_sel:DWORD dst_unused:UNUSED_PAD src0_sel:WORD_1
	v_cvt_f32_f16_e32 v3, v59
	v_cvt_f32_f16_sdwa v5, v58 dst_sel:DWORD dst_unused:UNUSED_PAD src0_sel:WORD_1
	v_add_u32_e32 v0, s11, v0
	v_mul_lo_u32 v0, s6, v0
	v_cvt_f32_f16_e32 v9, v58
	v_mul_f32_e32 v8, v1, v2
	v_mul_f32_e32 v7, v1, v3
	v_add_u32_e32 v0, s7, v0
	v_lshl_add_u32 v2, v0, 8, v21
	v_mov_b32_e32 v3, 0
	v_mul_f32_e32 v6, v1, v5
	v_mul_f32_e32 v5, v1, v9
	v_lshlrev_b64 v[9:10], 2, v[2:3]
	v_mov_b32_e32 v11, s21
	v_add_co_u32_e32 v9, vcc, s20, v9
	v_addc_co_u32_e32 v10, vcc, v11, v10, vcc
	global_store_dwordx4 v[9:10], v[5:8], off
	v_cvt_f32_f16_sdwa v9, v57 dst_sel:DWORD dst_unused:UNUSED_PAD src0_sel:WORD_1
	v_cvt_f32_f16_sdwa v5, v55 dst_sel:DWORD dst_unused:UNUSED_PAD src0_sel:WORD_1
	v_cvt_f32_f16_e32 v6, v55
	v_cvt_f32_f16_e32 v10, v57
	v_add_u32_e32 v2, 0x80, v2
	v_mul_f32_e32 v8, v1, v5
	v_mul_f32_e32 v7, v1, v6
	;; [unrolled: 1-line block ×4, first 2 shown]
	v_lshlrev_b64 v[1:2], 2, v[2:3]
	v_mov_b32_e32 v3, s21
	v_add_co_u32_e32 v1, vcc, s20, v1
	v_addc_co_u32_e32 v2, vcc, v3, v2, vcc
	global_store_dwordx4 v[1:2], v[5:8], off
	s_and_b64 exec, exec, s[4:5]
	s_cbranch_execz .LBB26_12
; %bb.31:
	v_ashrrev_i32_e32 v1, 31, v0
	v_lshlrev_b64 v[0:1], 3, v[0:1]
	v_mov_b32_e32 v2, s23
	v_add_co_u32_e32 v0, vcc, s22, v0
	v_addc_co_u32_e32 v1, vcc, v2, v1, vcc
	v_mov_b32_e32 v11, v4
	global_store_dwordx2 v[0:1], v[11:12], off
	s_endpgm
	.section	.rodata,"a",@progbits
	.p2align	6, 0x0
	.amdhsa_kernel _ZL15flash_attn_tileILi256ELi256ELi16ELi2ELb0EEvPKcS1_S1_S1_S1_PKiPfP15HIP_vector_typeIfLj2EEffffjfiS5_IjLj3EEiiiiiiiiiiiliiliiiiil
		.amdhsa_group_segment_fixed_size 27136
		.amdhsa_private_segment_fixed_size 0
		.amdhsa_kernarg_size 464
		.amdhsa_user_sgpr_count 6
		.amdhsa_user_sgpr_private_segment_buffer 1
		.amdhsa_user_sgpr_dispatch_ptr 0
		.amdhsa_user_sgpr_queue_ptr 0
		.amdhsa_user_sgpr_kernarg_segment_ptr 1
		.amdhsa_user_sgpr_dispatch_id 0
		.amdhsa_user_sgpr_flat_scratch_init 0
		.amdhsa_user_sgpr_private_segment_size 0
		.amdhsa_uses_dynamic_stack 0
		.amdhsa_system_sgpr_private_segment_wavefront_offset 0
		.amdhsa_system_sgpr_workgroup_id_x 1
		.amdhsa_system_sgpr_workgroup_id_y 1
		.amdhsa_system_sgpr_workgroup_id_z 1
		.amdhsa_system_sgpr_workgroup_info 0
		.amdhsa_system_vgpr_workitem_id 1
		.amdhsa_next_free_vgpr 93
		.amdhsa_next_free_sgpr 98
		.amdhsa_reserve_vcc 1
		.amdhsa_reserve_flat_scratch 0
		.amdhsa_float_round_mode_32 0
		.amdhsa_float_round_mode_16_64 0
		.amdhsa_float_denorm_mode_32 3
		.amdhsa_float_denorm_mode_16_64 3
		.amdhsa_dx10_clamp 1
		.amdhsa_ieee_mode 1
		.amdhsa_fp16_overflow 0
		.amdhsa_exception_fp_ieee_invalid_op 0
		.amdhsa_exception_fp_denorm_src 0
		.amdhsa_exception_fp_ieee_div_zero 0
		.amdhsa_exception_fp_ieee_overflow 0
		.amdhsa_exception_fp_ieee_underflow 0
		.amdhsa_exception_fp_ieee_inexact 0
		.amdhsa_exception_int_div_zero 0
	.end_amdhsa_kernel
	.section	.text._ZL15flash_attn_tileILi256ELi256ELi16ELi2ELb0EEvPKcS1_S1_S1_S1_PKiPfP15HIP_vector_typeIfLj2EEffffjfiS5_IjLj3EEiiiiiiiiiiiliiliiiiil,"axG",@progbits,_ZL15flash_attn_tileILi256ELi256ELi16ELi2ELb0EEvPKcS1_S1_S1_S1_PKiPfP15HIP_vector_typeIfLj2EEffffjfiS5_IjLj3EEiiiiiiiiiiiliiliiiiil,comdat
.Lfunc_end26:
	.size	_ZL15flash_attn_tileILi256ELi256ELi16ELi2ELb0EEvPKcS1_S1_S1_S1_PKiPfP15HIP_vector_typeIfLj2EEffffjfiS5_IjLj3EEiiiiiiiiiiiliiliiiiil, .Lfunc_end26-_ZL15flash_attn_tileILi256ELi256ELi16ELi2ELb0EEvPKcS1_S1_S1_S1_PKiPfP15HIP_vector_typeIfLj2EEffffjfiS5_IjLj3EEiiiiiiiiiiiliiliiiiil
                                        ; -- End function
	.set _ZL15flash_attn_tileILi256ELi256ELi16ELi2ELb0EEvPKcS1_S1_S1_S1_PKiPfP15HIP_vector_typeIfLj2EEffffjfiS5_IjLj3EEiiiiiiiiiiiliiliiiiil.num_vgpr, 93
	.set _ZL15flash_attn_tileILi256ELi256ELi16ELi2ELb0EEvPKcS1_S1_S1_S1_PKiPfP15HIP_vector_typeIfLj2EEffffjfiS5_IjLj3EEiiiiiiiiiiiliiliiiiil.num_agpr, 0
	.set _ZL15flash_attn_tileILi256ELi256ELi16ELi2ELb0EEvPKcS1_S1_S1_S1_PKiPfP15HIP_vector_typeIfLj2EEffffjfiS5_IjLj3EEiiiiiiiiiiiliiliiiiil.numbered_sgpr, 42
	.set _ZL15flash_attn_tileILi256ELi256ELi16ELi2ELb0EEvPKcS1_S1_S1_S1_PKiPfP15HIP_vector_typeIfLj2EEffffjfiS5_IjLj3EEiiiiiiiiiiiliiliiiiil.num_named_barrier, 0
	.set _ZL15flash_attn_tileILi256ELi256ELi16ELi2ELb0EEvPKcS1_S1_S1_S1_PKiPfP15HIP_vector_typeIfLj2EEffffjfiS5_IjLj3EEiiiiiiiiiiiliiliiiiil.private_seg_size, 0
	.set _ZL15flash_attn_tileILi256ELi256ELi16ELi2ELb0EEvPKcS1_S1_S1_S1_PKiPfP15HIP_vector_typeIfLj2EEffffjfiS5_IjLj3EEiiiiiiiiiiiliiliiiiil.uses_vcc, 1
	.set _ZL15flash_attn_tileILi256ELi256ELi16ELi2ELb0EEvPKcS1_S1_S1_S1_PKiPfP15HIP_vector_typeIfLj2EEffffjfiS5_IjLj3EEiiiiiiiiiiiliiliiiiil.uses_flat_scratch, 0
	.set _ZL15flash_attn_tileILi256ELi256ELi16ELi2ELb0EEvPKcS1_S1_S1_S1_PKiPfP15HIP_vector_typeIfLj2EEffffjfiS5_IjLj3EEiiiiiiiiiiiliiliiiiil.has_dyn_sized_stack, 0
	.set _ZL15flash_attn_tileILi256ELi256ELi16ELi2ELb0EEvPKcS1_S1_S1_S1_PKiPfP15HIP_vector_typeIfLj2EEffffjfiS5_IjLj3EEiiiiiiiiiiiliiliiiiil.has_recursion, 0
	.set _ZL15flash_attn_tileILi256ELi256ELi16ELi2ELb0EEvPKcS1_S1_S1_S1_PKiPfP15HIP_vector_typeIfLj2EEffffjfiS5_IjLj3EEiiiiiiiiiiiliiliiiiil.has_indirect_call, 0
	.section	.AMDGPU.csdata,"",@progbits
; Kernel info:
; codeLenInByte = 18676
; TotalNumSgprs: 46
; NumVgprs: 93
; ScratchSize: 0
; MemoryBound: 0
; FloatMode: 240
; IeeeMode: 1
; LDSByteSize: 27136 bytes/workgroup (compile time only)
; SGPRBlocks: 12
; VGPRBlocks: 23
; NumSGPRsForWavesPerEU: 102
; NumVGPRsForWavesPerEU: 93
; Occupancy: 2
; WaveLimiterHint : 1
; COMPUTE_PGM_RSRC2:SCRATCH_EN: 0
; COMPUTE_PGM_RSRC2:USER_SGPR: 6
; COMPUTE_PGM_RSRC2:TRAP_HANDLER: 0
; COMPUTE_PGM_RSRC2:TGID_X_EN: 1
; COMPUTE_PGM_RSRC2:TGID_Y_EN: 1
; COMPUTE_PGM_RSRC2:TGID_Z_EN: 1
; COMPUTE_PGM_RSRC2:TIDIG_COMP_CNT: 1
	.section	.text._ZL25flash_attn_mask_to_KV_maxILi16EEvPK7__half2Piiii,"axG",@progbits,_ZL25flash_attn_mask_to_KV_maxILi16EEvPK7__half2Piiii,comdat
	.globl	_ZL25flash_attn_mask_to_KV_maxILi16EEvPK7__half2Piiii ; -- Begin function _ZL25flash_attn_mask_to_KV_maxILi16EEvPK7__half2Piiii
	.p2align	8
	.type	_ZL25flash_attn_mask_to_KV_maxILi16EEvPK7__half2Piiii,@function
_ZL25flash_attn_mask_to_KV_maxILi16EEvPK7__half2Piiii: ; @_ZL25flash_attn_mask_to_KV_maxILi16EEvPK7__half2Piiii
; %bb.0:
	s_load_dwordx4 s[8:11], s[4:5], 0x0
	v_cmp_gt_u32_e32 vcc, 32, v0
	s_and_saveexec_b64 s[0:1], vcc
; %bb.1:
	v_lshlrev_b32_e32 v1, 2, v0
	v_mov_b32_e32 v2, 1
	ds_write_b32 v1, v2
; %bb.2:
	s_or_b64 exec, exec, s[0:1]
	s_load_dwordx4 s[12:15], s[4:5], 0x10
	s_load_dword s33, s[4:5], 0x20
	v_and_b32_e32 v1, 31, v0
	v_lshlrev_b32_e32 v6, 2, v1
	v_lshrrev_b32_e32 v5, 3, v0
	s_waitcnt lgkmcnt(0)
	s_mul_i32 s1, s6, s13
	s_mul_i32 s0, s14, s7
	s_lshl_b32 s1, s1, 4
	s_add_i32 s0, s0, s1
	s_ashr_i32 s1, s0, 31
	s_lshl_b64 s[0:1], s[0:1], 2
	s_add_u32 s72, s8, s0
	s_addc_u32 s73, s9, s1
	v_cmp_eq_u32_e64 s[0:1], 0, v1
	v_mbcnt_lo_u32_b32 v1, -1, 0
	s_lshl_b32 s12, s12, 8
	s_mov_b64 s[4:5], 0
	v_mov_b32_e32 v2, 0
	s_movk_i32 s74, 0x204
	v_mbcnt_hi_u32_b32 v7, -1, v1
	s_barrier
                                        ; implicit-def: $sgpr2_sgpr3
	s_branch .LBB27_5
.LBB27_3:                               ;   in Loop: Header=BB27_5 Depth=1
	s_or_b64 exec, exec, s[8:9]
	s_waitcnt lgkmcnt(0)
	s_barrier
	ds_read_b32 v10, v6
	s_waitcnt lgkmcnt(0)
	s_barrier
	ds_bpermute_b32 v1, v1, v10
	v_cmp_ne_u32_e32 vcc, 0, v10
	s_waitcnt lgkmcnt(0)
	v_cmp_ne_u32_e64 s[2:3], 0, v1
	s_and_b64 s[2:3], vcc, s[2:3]
	v_cndmask_b32_e64 v1, 0, 1, s[2:3]
	ds_bpermute_b32 v1, v3, v1
	s_waitcnt lgkmcnt(0)
	v_cmp_ne_u32_e32 vcc, 0, v1
	s_and_b64 s[2:3], vcc, s[2:3]
	v_cndmask_b32_e64 v1, 0, 1, s[2:3]
	ds_bpermute_b32 v1, v4, v1
	s_waitcnt lgkmcnt(0)
	v_cmp_ne_u32_e32 vcc, 0, v1
	;; [unrolled: 5-line block ×3, first 2 shown]
	s_and_b64 s[2:3], vcc, s[2:3]
	v_cndmask_b32_e64 v1, 0, 1, s[2:3]
	ds_bpermute_b32 v1, v9, v1
	s_xor_b64 s[2:3], s[2:3], -1
	s_waitcnt lgkmcnt(0)
	v_cmp_eq_u32_e32 vcc, 0, v1
	s_or_b64 s[2:3], vcc, s[2:3]
.LBB27_4:                               ;   in Loop: Header=BB27_5 Depth=1
	s_and_b64 s[8:9], exec, s[2:3]
	s_or_b64 s[4:5], s[8:9], s[4:5]
	v_mov_b32_e32 v1, s12
	s_mov_b32 s12, s75
	s_andn2_b64 exec, exec, s[4:5]
	s_cbranch_execz .LBB27_68
.LBB27_5:                               ; =>This Inner Loop Header: Depth=1
	s_add_i32 s75, s12, 0xffffff00
	s_or_b64 s[2:3], s[2:3], exec
	s_cmp_lt_i32 s75, 0
	s_cbranch_scc1 .LBB27_4
; %bb.6:                                ;   in Loop: Header=BB27_5 Depth=1
	s_lshr_b32 s2, s75, 1
	v_add_u32_e32 v1, s2, v0
	v_lshlrev_b64 v[3:4], 2, v[1:2]
	v_mov_b32_e32 v8, s73
	v_add_co_u32_e32 v3, vcc, s72, v3
	v_addc_co_u32_e32 v4, vcc, v8, v4, vcc
	global_load_dword v3, v[3:4], off
	v_mov_b32_e32 v4, 0
	s_waitcnt vmcnt(0)
	v_cmp_class_f16_e64 s[2:3], v3, s74
	v_cmp_class_f16_sdwa s[8:9], v3, s74 src0_sel:WORD_1 src1_sel:DWORD
	s_and_b64 s[8:9], s[2:3], s[8:9]
	s_and_saveexec_b64 s[2:3], s[8:9]
	s_cbranch_execz .LBB27_66
; %bb.7:                                ;   in Loop: Header=BB27_5 Depth=1
	v_add_u32_e32 v3, s13, v1
	v_ashrrev_i32_e32 v4, 31, v3
	v_lshlrev_b64 v[8:9], 2, v[3:4]
	v_mov_b32_e32 v1, s73
	v_add_co_u32_e32 v8, vcc, s72, v8
	v_addc_co_u32_e32 v9, vcc, v1, v9, vcc
	global_load_dword v1, v[8:9], off
	v_mov_b32_e32 v4, 0
	s_waitcnt vmcnt(0)
	v_cmp_class_f16_e64 s[14:15], v1, s74
	s_and_saveexec_b64 s[8:9], s[14:15]
	s_cbranch_execz .LBB27_65
; %bb.8:                                ;   in Loop: Header=BB27_5 Depth=1
	v_cmp_class_f16_sdwa s[16:17], v1, s74 src0_sel:WORD_1 src1_sel:DWORD
	v_mov_b32_e32 v4, 0
	s_and_saveexec_b64 s[14:15], s[16:17]
	s_cbranch_execz .LBB27_64
; %bb.9:                                ;   in Loop: Header=BB27_5 Depth=1
	v_add_u32_e32 v3, s13, v3
	v_ashrrev_i32_e32 v4, 31, v3
	v_lshlrev_b64 v[8:9], 2, v[3:4]
	v_mov_b32_e32 v1, s73
	v_add_co_u32_e32 v8, vcc, s72, v8
	v_addc_co_u32_e32 v9, vcc, v1, v9, vcc
	global_load_dword v1, v[8:9], off
	v_mov_b32_e32 v4, 0
	s_waitcnt vmcnt(0)
	v_cmp_class_f16_e64 s[18:19], v1, s74
	s_and_saveexec_b64 s[16:17], s[18:19]
	s_cbranch_execz .LBB27_63
; %bb.10:                               ;   in Loop: Header=BB27_5 Depth=1
	v_cmp_class_f16_sdwa s[20:21], v1, s74 src0_sel:WORD_1 src1_sel:DWORD
	v_mov_b32_e32 v4, 0
	s_and_saveexec_b64 s[18:19], s[20:21]
	s_cbranch_execz .LBB27_62
; %bb.11:                               ;   in Loop: Header=BB27_5 Depth=1
	v_add_u32_e32 v3, s13, v3
	v_ashrrev_i32_e32 v4, 31, v3
	v_lshlrev_b64 v[8:9], 2, v[3:4]
	v_mov_b32_e32 v1, s73
	v_add_co_u32_e32 v8, vcc, s72, v8
	v_addc_co_u32_e32 v9, vcc, v1, v9, vcc
	global_load_dword v1, v[8:9], off
	v_mov_b32_e32 v4, 0
	s_waitcnt vmcnt(0)
	v_cmp_class_f16_e64 s[22:23], v1, s74
	s_and_saveexec_b64 s[20:21], s[22:23]
	s_cbranch_execz .LBB27_61
; %bb.12:                               ;   in Loop: Header=BB27_5 Depth=1
	v_cmp_class_f16_sdwa s[24:25], v1, s74 src0_sel:WORD_1 src1_sel:DWORD
	v_mov_b32_e32 v4, 0
	s_and_saveexec_b64 s[22:23], s[24:25]
	s_cbranch_execz .LBB27_60
; %bb.13:                               ;   in Loop: Header=BB27_5 Depth=1
	;; [unrolled: 18-line block ×13, first 2 shown]
	v_add_u32_e32 v3, s13, v3
	v_ashrrev_i32_e32 v4, 31, v3
	v_lshlrev_b64 v[3:4], 2, v[3:4]
	v_mov_b32_e32 v1, s73
	v_add_co_u32_e32 v3, vcc, s72, v3
	v_addc_co_u32_e32 v4, vcc, v1, v4, vcc
	global_load_dword v1, v[3:4], off
	v_mov_b32_e32 v4, 0
	s_waitcnt vmcnt(0)
	v_cmp_class_f16_e64 s[76:77], v1, s74
	s_and_saveexec_b64 s[70:71], s[76:77]
; %bb.36:                               ;   in Loop: Header=BB27_5 Depth=1
	v_cmp_class_f16_sdwa s[76:77], v1, s74 src0_sel:WORD_1 src1_sel:DWORD
	v_cndmask_b32_e64 v4, 0, 1, s[76:77]
; %bb.37:                               ;   in Loop: Header=BB27_5 Depth=1
	s_or_b64 exec, exec, s[70:71]
.LBB27_38:                              ;   in Loop: Header=BB27_5 Depth=1
	s_or_b64 exec, exec, s[68:69]
.LBB27_39:                              ;   in Loop: Header=BB27_5 Depth=1
	s_or_b64 exec, exec, s[66:67]
.LBB27_40:                              ;   in Loop: Header=BB27_5 Depth=1
	s_or_b64 exec, exec, s[64:65]
.LBB27_41:                              ;   in Loop: Header=BB27_5 Depth=1
	s_or_b64 exec, exec, s[62:63]
.LBB27_42:                              ;   in Loop: Header=BB27_5 Depth=1
	s_or_b64 exec, exec, s[60:61]
.LBB27_43:                              ;   in Loop: Header=BB27_5 Depth=1
	s_or_b64 exec, exec, s[58:59]
.LBB27_44:                              ;   in Loop: Header=BB27_5 Depth=1
	s_or_b64 exec, exec, s[56:57]
.LBB27_45:                              ;   in Loop: Header=BB27_5 Depth=1
	s_or_b64 exec, exec, s[54:55]
.LBB27_46:                              ;   in Loop: Header=BB27_5 Depth=1
	s_or_b64 exec, exec, s[52:53]
.LBB27_47:                              ;   in Loop: Header=BB27_5 Depth=1
	s_or_b64 exec, exec, s[50:51]
.LBB27_48:                              ;   in Loop: Header=BB27_5 Depth=1
	s_or_b64 exec, exec, s[48:49]
.LBB27_49:                              ;   in Loop: Header=BB27_5 Depth=1
	s_or_b64 exec, exec, s[46:47]
.LBB27_50:                              ;   in Loop: Header=BB27_5 Depth=1
	s_or_b64 exec, exec, s[44:45]
.LBB27_51:                              ;   in Loop: Header=BB27_5 Depth=1
	s_or_b64 exec, exec, s[42:43]
.LBB27_52:                              ;   in Loop: Header=BB27_5 Depth=1
	s_or_b64 exec, exec, s[40:41]
.LBB27_53:                              ;   in Loop: Header=BB27_5 Depth=1
	s_or_b64 exec, exec, s[38:39]
.LBB27_54:                              ;   in Loop: Header=BB27_5 Depth=1
	s_or_b64 exec, exec, s[36:37]
.LBB27_55:                              ;   in Loop: Header=BB27_5 Depth=1
	s_or_b64 exec, exec, s[34:35]
.LBB27_56:                              ;   in Loop: Header=BB27_5 Depth=1
	s_or_b64 exec, exec, s[30:31]
.LBB27_57:                              ;   in Loop: Header=BB27_5 Depth=1
	s_or_b64 exec, exec, s[28:29]
.LBB27_58:                              ;   in Loop: Header=BB27_5 Depth=1
	s_or_b64 exec, exec, s[26:27]
.LBB27_59:                              ;   in Loop: Header=BB27_5 Depth=1
	s_or_b64 exec, exec, s[24:25]
.LBB27_60:                              ;   in Loop: Header=BB27_5 Depth=1
	s_or_b64 exec, exec, s[22:23]
.LBB27_61:                              ;   in Loop: Header=BB27_5 Depth=1
	s_or_b64 exec, exec, s[20:21]
.LBB27_62:                              ;   in Loop: Header=BB27_5 Depth=1
	s_or_b64 exec, exec, s[18:19]
.LBB27_63:                              ;   in Loop: Header=BB27_5 Depth=1
	s_or_b64 exec, exec, s[16:17]
.LBB27_64:                              ;   in Loop: Header=BB27_5 Depth=1
	s_or_b64 exec, exec, s[14:15]
.LBB27_65:                              ;   in Loop: Header=BB27_5 Depth=1
	s_or_b64 exec, exec, s[8:9]
.LBB27_66:                              ;   in Loop: Header=BB27_5 Depth=1
	s_or_b64 exec, exec, s[2:3]
	v_and_b32_e32 v1, 0x60, v7
	v_add_u32_e32 v9, 32, v1
	v_xor_b32_e32 v1, 16, v7
	v_cmp_lt_i32_e32 vcc, v1, v9
	v_cndmask_b32_e32 v1, v7, v1, vcc
	v_lshlrev_b32_e32 v1, 2, v1
	ds_bpermute_b32 v3, v1, v4
	v_cmp_ne_u32_e32 vcc, 0, v4
	v_xor_b32_e32 v11, 1, v7
	s_waitcnt lgkmcnt(0)
	v_cmp_ne_u32_e64 s[2:3], 0, v3
	v_xor_b32_e32 v3, 8, v7
	s_and_b64 s[2:3], vcc, s[2:3]
	v_cmp_lt_i32_e32 vcc, v3, v9
	v_cndmask_b32_e32 v3, v7, v3, vcc
	v_cndmask_b32_e64 v4, 0, 1, s[2:3]
	v_lshlrev_b32_e32 v3, 2, v3
	ds_bpermute_b32 v4, v3, v4
	s_waitcnt lgkmcnt(0)
	v_cmp_ne_u32_e32 vcc, 0, v4
	v_xor_b32_e32 v4, 4, v7
	s_and_b64 s[2:3], vcc, s[2:3]
	v_cmp_lt_i32_e32 vcc, v4, v9
	v_cndmask_b32_e32 v4, v7, v4, vcc
	v_cndmask_b32_e64 v8, 0, 1, s[2:3]
	v_lshlrev_b32_e32 v4, 2, v4
	ds_bpermute_b32 v8, v4, v8
	s_waitcnt lgkmcnt(0)
	v_cmp_ne_u32_e32 vcc, 0, v8
	;; [unrolled: 9-line block ×3, first 2 shown]
	s_and_b64 s[2:3], vcc, s[2:3]
	v_cmp_lt_i32_e32 vcc, v11, v9
	v_cndmask_b32_e32 v9, v7, v11, vcc
	v_cndmask_b32_e64 v10, 0, 1, s[2:3]
	v_lshlrev_b32_e32 v9, 2, v9
	ds_bpermute_b32 v10, v9, v10
	s_and_saveexec_b64 s[8:9], s[0:1]
	s_cbranch_execz .LBB27_3
; %bb.67:                               ;   in Loop: Header=BB27_5 Depth=1
	s_waitcnt lgkmcnt(0)
	v_cmp_ne_u32_e32 vcc, 0, v10
	s_and_b64 s[2:3], vcc, s[2:3]
	v_cndmask_b32_e64 v10, 0, 1, s[2:3]
	ds_write_b32 v5, v10
	s_branch .LBB27_3
.LBB27_68:
	s_or_b64 exec, exec, s[4:5]
	v_cmp_eq_u32_e32 vcc, 0, v0
	s_and_saveexec_b64 s[0:1], vcc
	s_cbranch_execz .LBB27_70
; %bb.69:
	s_mul_i32 s0, s33, s7
	s_add_i32 s0, s0, s6
	s_ashr_i32 s1, s0, 31
	s_lshl_b64 s[0:1], s[0:1], 2
	s_add_u32 s0, s10, s0
	s_addc_u32 s1, s11, s1
	v_mov_b32_e32 v0, 0
	global_store_dword v0, v1, s[0:1]
.LBB27_70:
	s_endpgm
	.section	.rodata,"a",@progbits
	.p2align	6, 0x0
	.amdhsa_kernel _ZL25flash_attn_mask_to_KV_maxILi16EEvPK7__half2Piiii
		.amdhsa_group_segment_fixed_size 128
		.amdhsa_private_segment_fixed_size 0
		.amdhsa_kernarg_size 288
		.amdhsa_user_sgpr_count 6
		.amdhsa_user_sgpr_private_segment_buffer 1
		.amdhsa_user_sgpr_dispatch_ptr 0
		.amdhsa_user_sgpr_queue_ptr 0
		.amdhsa_user_sgpr_kernarg_segment_ptr 1
		.amdhsa_user_sgpr_dispatch_id 0
		.amdhsa_user_sgpr_flat_scratch_init 0
		.amdhsa_user_sgpr_private_segment_size 0
		.amdhsa_uses_dynamic_stack 0
		.amdhsa_system_sgpr_private_segment_wavefront_offset 0
		.amdhsa_system_sgpr_workgroup_id_x 1
		.amdhsa_system_sgpr_workgroup_id_y 1
		.amdhsa_system_sgpr_workgroup_id_z 0
		.amdhsa_system_sgpr_workgroup_info 0
		.amdhsa_system_vgpr_workitem_id 0
		.amdhsa_next_free_vgpr 12
		.amdhsa_next_free_sgpr 78
		.amdhsa_reserve_vcc 1
		.amdhsa_reserve_flat_scratch 0
		.amdhsa_float_round_mode_32 0
		.amdhsa_float_round_mode_16_64 0
		.amdhsa_float_denorm_mode_32 3
		.amdhsa_float_denorm_mode_16_64 3
		.amdhsa_dx10_clamp 1
		.amdhsa_ieee_mode 1
		.amdhsa_fp16_overflow 0
		.amdhsa_exception_fp_ieee_invalid_op 0
		.amdhsa_exception_fp_denorm_src 0
		.amdhsa_exception_fp_ieee_div_zero 0
		.amdhsa_exception_fp_ieee_overflow 0
		.amdhsa_exception_fp_ieee_underflow 0
		.amdhsa_exception_fp_ieee_inexact 0
		.amdhsa_exception_int_div_zero 0
	.end_amdhsa_kernel
	.section	.text._ZL25flash_attn_mask_to_KV_maxILi16EEvPK7__half2Piiii,"axG",@progbits,_ZL25flash_attn_mask_to_KV_maxILi16EEvPK7__half2Piiii,comdat
.Lfunc_end27:
	.size	_ZL25flash_attn_mask_to_KV_maxILi16EEvPK7__half2Piiii, .Lfunc_end27-_ZL25flash_attn_mask_to_KV_maxILi16EEvPK7__half2Piiii
                                        ; -- End function
	.set _ZL25flash_attn_mask_to_KV_maxILi16EEvPK7__half2Piiii.num_vgpr, 12
	.set _ZL25flash_attn_mask_to_KV_maxILi16EEvPK7__half2Piiii.num_agpr, 0
	.set _ZL25flash_attn_mask_to_KV_maxILi16EEvPK7__half2Piiii.numbered_sgpr, 78
	.set _ZL25flash_attn_mask_to_KV_maxILi16EEvPK7__half2Piiii.num_named_barrier, 0
	.set _ZL25flash_attn_mask_to_KV_maxILi16EEvPK7__half2Piiii.private_seg_size, 0
	.set _ZL25flash_attn_mask_to_KV_maxILi16EEvPK7__half2Piiii.uses_vcc, 1
	.set _ZL25flash_attn_mask_to_KV_maxILi16EEvPK7__half2Piiii.uses_flat_scratch, 0
	.set _ZL25flash_attn_mask_to_KV_maxILi16EEvPK7__half2Piiii.has_dyn_sized_stack, 0
	.set _ZL25flash_attn_mask_to_KV_maxILi16EEvPK7__half2Piiii.has_recursion, 0
	.set _ZL25flash_attn_mask_to_KV_maxILi16EEvPK7__half2Piiii.has_indirect_call, 0
	.section	.AMDGPU.csdata,"",@progbits
; Kernel info:
; codeLenInByte = 2064
; TotalNumSgprs: 82
; NumVgprs: 12
; ScratchSize: 0
; MemoryBound: 0
; FloatMode: 240
; IeeeMode: 1
; LDSByteSize: 128 bytes/workgroup (compile time only)
; SGPRBlocks: 10
; VGPRBlocks: 2
; NumSGPRsForWavesPerEU: 82
; NumVGPRsForWavesPerEU: 12
; Occupancy: 9
; WaveLimiterHint : 0
; COMPUTE_PGM_RSRC2:SCRATCH_EN: 0
; COMPUTE_PGM_RSRC2:USER_SGPR: 6
; COMPUTE_PGM_RSRC2:TRAP_HANDLER: 0
; COMPUTE_PGM_RSRC2:TGID_X_EN: 1
; COMPUTE_PGM_RSRC2:TGID_Y_EN: 1
; COMPUTE_PGM_RSRC2:TGID_Z_EN: 0
; COMPUTE_PGM_RSRC2:TIDIG_COMP_CNT: 0
	.section	.text._ZL33flash_attn_stream_k_fixup_uniformILi256ELi16ELi2EEvPfPK15HIP_vector_typeIfLj2EEiiiiiiS1_IjLj3EES5_S5_,"axG",@progbits,_ZL33flash_attn_stream_k_fixup_uniformILi256ELi16ELi2EEvPfPK15HIP_vector_typeIfLj2EEiiiiiiS1_IjLj3EES5_S5_,comdat
	.globl	_ZL33flash_attn_stream_k_fixup_uniformILi256ELi16ELi2EEvPfPK15HIP_vector_typeIfLj2EEiiiiiiS1_IjLj3EES5_S5_ ; -- Begin function _ZL33flash_attn_stream_k_fixup_uniformILi256ELi16ELi2EEvPfPK15HIP_vector_typeIfLj2EEiiiiiiS1_IjLj3EES5_S5_
	.p2align	8
	.type	_ZL33flash_attn_stream_k_fixup_uniformILi256ELi16ELi2EEvPfPK15HIP_vector_typeIfLj2EEiiiiiiS1_IjLj3EES5_S5_,@function
_ZL33flash_attn_stream_k_fixup_uniformILi256ELi16ELi2EEvPfPK15HIP_vector_typeIfLj2EEiiiiiiS1_IjLj3EES5_S5_: ; @_ZL33flash_attn_stream_k_fixup_uniformILi256ELi16ELi2EEvPfPK15HIP_vector_typeIfLj2EEiiiiiiS1_IjLj3EES5_S5_
; %bb.0:
	s_load_dwordx8 s[12:19], s[4:5], 0x1c
	s_load_dwordx2 s[10:11], s[4:5], 0x10
	s_load_dwordx4 s[0:3], s[4:5], 0x3c
	s_waitcnt lgkmcnt(0)
	s_mul_hi_u32 s9, s15, s6
	s_add_i32 s9, s6, s9
	s_lshr_b32 s9, s9, s16
	s_mul_i32 s15, s9, s17
	s_sub_i32 s15, s6, s15
	s_mul_hi_u32 s16, s15, s18
	s_add_i32 s16, s15, s16
	s_lshr_b32 s16, s16, s19
	s_mul_i32 s0, s16, s0
	s_sub_i32 s0, s15, s0
	;; [unrolled: 5-line block ×3, first 2 shown]
	s_lshl_b32 s0, s17, 4
	s_lshl_b32 s15, s1, 1
	s_add_i32 s0, s0, s7
	s_cmp_lt_i32 s0, s10
	s_cselect_b64 s[0:1], -1, 0
	s_add_i32 s2, s15, s8
	s_cmp_lt_i32 s2, s13
	s_cselect_b64 s[2:3], -1, 0
	s_and_b64 s[0:1], s[0:1], s[2:3]
	s_andn2_b64 vcc, exec, s[0:1]
	s_cbranch_vccnz .LBB28_6
; %bb.1:
	s_load_dwordx4 s[0:3], s[4:5], 0x0
	s_mul_i32 s4, s9, s10
	s_add_i32 s4, s4, s7
	s_mul_i32 s4, s4, s11
	s_mul_i32 s16, s16, s13
	s_add_i32 s4, s4, s8
	s_add_i32 s4, s4, s16
	s_mul_i32 s5, s11, s17
	s_add_i32 s4, s4, s15
	s_lshl_b32 s5, s5, 12
	s_lshl_b32 s4, s4, 8
	s_add_i32 s5, s5, s4
	v_or_b32_e32 v1, s5, v0
	v_ashrrev_i32_e32 v2, 31, v1
	v_lshlrev_b64 v[1:2], 2, v[1:2]
	s_waitcnt lgkmcnt(0)
	v_mov_b32_e32 v3, s1
	v_add_co_u32_e32 v1, vcc, s0, v1
	v_addc_co_u32_e32 v2, vcc, v3, v2, vcc
	global_load_dword v8, v[1:2], off
	s_mul_i32 s9, s14, s6
	s_lshl_b32 s4, s7, 1
	s_add_i32 s11, s9, s14
	s_add_i32 s0, s4, s8
	s_lshl_b32 s1, s11, 5
	s_add_i32 s0, s0, s1
	s_sub_i32 s0, s0, 32
	s_ashr_i32 s1, s0, 31
	s_lshl_b64 s[0:1], s[0:1], 3
	s_add_u32 s0, s2, s0
	s_addc_u32 s1, s3, s1
	s_load_dword s5, s[0:1], 0x4
	s_add_i32 s10, s11, -2
	s_cmp_lt_i32 s10, s9
	s_cbranch_scc1 .LBB28_4
; %bb.2:
	s_lshl_b32 s16, s12, 7
	s_ashr_i32 s17, s16, 31
	s_lshl_b64 s[16:17], s[16:17], 2
	s_add_u32 s10, s2, s16
	s_addc_u32 s13, s3, s17
	s_add_i32 s6, s6, 1
	s_load_dword s0, s[0:1], 0x0
	s_mul_i32 s1, s14, s6
	s_lshl_b32 s7, s7, 9
	s_lshl_b32 s14, s8, 8
	;; [unrolled: 1-line block ×3, first 2 shown]
	s_add_i32 s7, s14, s7
	s_lshl_b32 s1, s1, 5
	s_add_i32 s7, s7, s6
	s_add_i32 s1, s8, s1
	s_lshl_b32 s6, s12, 5
	s_add_i32 s1, s1, s6
	v_or_b32_e32 v0, s7, v0
	s_add_i32 s1, s1, s4
	s_add_i32 s11, s11, -1
	v_add_u32_e32 v3, 0xffffc000, v0
	s_sub_i32 s4, s1, 64
	s_waitcnt lgkmcnt(0)
	v_mov_b32_e32 v7, s5
	v_mov_b32_e32 v6, s0
	;; [unrolled: 1-line block ×3, first 2 shown]
	s_mov_b32 s6, 0x3fb8aa3b
	s_mov_b32 s7, 0xc2ce8ed0
	;; [unrolled: 1-line block ×3, first 2 shown]
	v_mov_b32_e32 v5, 0x7f800000
	s_mov_b32 s12, 0xc1a00000
.LBB28_3:                               ; =>This Inner Loop Header: Depth=1
	v_ashrrev_i32_e32 v4, 31, v3
	v_lshlrev_b64 v[9:10], 2, v[3:4]
	s_ashr_i32 s5, s4, 31
	v_add_co_u32_e32 v9, vcc, s10, v9
	v_addc_co_u32_e32 v10, vcc, v0, v10, vcc
	global_load_dword v4, v[9:10], off
	s_lshl_b64 s[0:1], s[4:5], 3
	s_add_u32 s0, s2, s0
	s_addc_u32 s1, s3, s1
	s_load_dwordx2 s[14:15], s[0:1], 0x0
	s_waitcnt vmcnt(1)
	v_mov_b32_e32 v9, v8
	v_max_f32_e32 v8, v6, v6
	v_mov_b32_e32 v10, v7
	s_add_i32 s11, s11, -1
	s_waitcnt lgkmcnt(0)
	v_max_f32_e64 v7, s14, s14
	v_max_f32_e32 v7, v8, v7
	v_sub_f32_e32 v11, s14, v7
	v_sub_f32_e32 v8, v6, v7
	v_mul_f32_e32 v12, 0x3fb8aa3b, v11
	v_mov_b32_e32 v6, v7
	v_mul_f32_e32 v7, 0x3fb8aa3b, v8
	v_fma_f32 v15, v11, s6, -v12
	v_rndne_f32_e32 v16, v12
	v_fma_f32 v13, v8, s6, -v7
	v_rndne_f32_e32 v14, v7
	v_fmac_f32_e32 v15, 0x32a5705f, v11
	v_sub_f32_e32 v12, v12, v16
	v_fmac_f32_e32 v13, 0x32a5705f, v8
	v_sub_f32_e32 v7, v7, v14
	v_add_f32_e32 v12, v12, v15
	v_cvt_i32_f32_e32 v16, v16
	v_add_f32_e32 v7, v7, v13
	v_exp_f32_e32 v12, v12
	v_cvt_i32_f32_e32 v14, v14
	v_exp_f32_e32 v7, v7
	v_cmp_ngt_f32_e32 vcc, s7, v11
	v_ldexp_f32 v12, v12, v16
	v_cmp_ngt_f32_e64 s[0:1], s7, v8
	v_ldexp_f32 v7, v7, v14
	v_cndmask_b32_e32 v12, 0, v12, vcc
	v_cmp_nlt_f32_e32 vcc, s8, v11
	v_cndmask_b32_e64 v7, 0, v7, s[0:1]
	v_cmp_nlt_f32_e64 s[0:1], s8, v8
	v_cndmask_b32_e32 v12, v5, v12, vcc
	v_cmp_le_f32_e32 vcc, s12, v11
	v_cndmask_b32_e64 v7, v5, v7, s[0:1]
	v_cmp_le_f32_e64 s[0:1], s12, v8
	v_cndmask_b32_e32 v8, 0, v12, vcc
	s_sub_i32 s4, s4, 32
	v_cndmask_b32_e64 v11, 0, v7, s[0:1]
	v_mul_f32_e32 v7, s15, v8
	v_add_u32_e32 v3, 0xffffe000, v3
	s_cmp_le_i32 s11, s9
	v_fmac_f32_e32 v7, v10, v11
	s_waitcnt vmcnt(0)
	v_mul_f32_e32 v8, v4, v8
	v_fmac_f32_e32 v8, v9, v11
	s_cbranch_scc0 .LBB28_3
	s_branch .LBB28_5
.LBB28_4:
	s_waitcnt lgkmcnt(0)
	v_mov_b32_e32 v7, s5
.LBB28_5:
	s_waitcnt vmcnt(0)
	v_div_scale_f32 v0, s[0:1], v7, v7, v8
	v_div_scale_f32 v3, vcc, v8, v7, v8
	v_rcp_f32_e32 v4, v0
	v_fma_f32 v5, -v0, v4, 1.0
	v_fmac_f32_e32 v4, v5, v4
	v_mul_f32_e32 v5, v3, v4
	v_fma_f32 v6, -v0, v5, v3
	v_fmac_f32_e32 v5, v6, v4
	v_fma_f32 v0, -v0, v5, v3
	v_div_fmas_f32 v0, v0, v4, v5
	v_div_fixup_f32 v0, v0, v7, v8
	global_store_dword v[1:2], v0, off
.LBB28_6:
	s_endpgm
	.section	.rodata,"a",@progbits
	.p2align	6, 0x0
	.amdhsa_kernel _ZL33flash_attn_stream_k_fixup_uniformILi256ELi16ELi2EEvPfPK15HIP_vector_typeIfLj2EEiiiiiiS1_IjLj3EES5_S5_
		.amdhsa_group_segment_fixed_size 0
		.amdhsa_private_segment_fixed_size 0
		.amdhsa_kernarg_size 76
		.amdhsa_user_sgpr_count 6
		.amdhsa_user_sgpr_private_segment_buffer 1
		.amdhsa_user_sgpr_dispatch_ptr 0
		.amdhsa_user_sgpr_queue_ptr 0
		.amdhsa_user_sgpr_kernarg_segment_ptr 1
		.amdhsa_user_sgpr_dispatch_id 0
		.amdhsa_user_sgpr_flat_scratch_init 0
		.amdhsa_user_sgpr_private_segment_size 0
		.amdhsa_uses_dynamic_stack 0
		.amdhsa_system_sgpr_private_segment_wavefront_offset 0
		.amdhsa_system_sgpr_workgroup_id_x 1
		.amdhsa_system_sgpr_workgroup_id_y 1
		.amdhsa_system_sgpr_workgroup_id_z 1
		.amdhsa_system_sgpr_workgroup_info 0
		.amdhsa_system_vgpr_workitem_id 0
		.amdhsa_next_free_vgpr 17
		.amdhsa_next_free_sgpr 20
		.amdhsa_reserve_vcc 1
		.amdhsa_reserve_flat_scratch 0
		.amdhsa_float_round_mode_32 0
		.amdhsa_float_round_mode_16_64 0
		.amdhsa_float_denorm_mode_32 3
		.amdhsa_float_denorm_mode_16_64 3
		.amdhsa_dx10_clamp 1
		.amdhsa_ieee_mode 1
		.amdhsa_fp16_overflow 0
		.amdhsa_exception_fp_ieee_invalid_op 0
		.amdhsa_exception_fp_denorm_src 0
		.amdhsa_exception_fp_ieee_div_zero 0
		.amdhsa_exception_fp_ieee_overflow 0
		.amdhsa_exception_fp_ieee_underflow 0
		.amdhsa_exception_fp_ieee_inexact 0
		.amdhsa_exception_int_div_zero 0
	.end_amdhsa_kernel
	.section	.text._ZL33flash_attn_stream_k_fixup_uniformILi256ELi16ELi2EEvPfPK15HIP_vector_typeIfLj2EEiiiiiiS1_IjLj3EES5_S5_,"axG",@progbits,_ZL33flash_attn_stream_k_fixup_uniformILi256ELi16ELi2EEvPfPK15HIP_vector_typeIfLj2EEiiiiiiS1_IjLj3EES5_S5_,comdat
.Lfunc_end28:
	.size	_ZL33flash_attn_stream_k_fixup_uniformILi256ELi16ELi2EEvPfPK15HIP_vector_typeIfLj2EEiiiiiiS1_IjLj3EES5_S5_, .Lfunc_end28-_ZL33flash_attn_stream_k_fixup_uniformILi256ELi16ELi2EEvPfPK15HIP_vector_typeIfLj2EEiiiiiiS1_IjLj3EES5_S5_
                                        ; -- End function
	.set _ZL33flash_attn_stream_k_fixup_uniformILi256ELi16ELi2EEvPfPK15HIP_vector_typeIfLj2EEiiiiiiS1_IjLj3EES5_S5_.num_vgpr, 17
	.set _ZL33flash_attn_stream_k_fixup_uniformILi256ELi16ELi2EEvPfPK15HIP_vector_typeIfLj2EEiiiiiiS1_IjLj3EES5_S5_.num_agpr, 0
	.set _ZL33flash_attn_stream_k_fixup_uniformILi256ELi16ELi2EEvPfPK15HIP_vector_typeIfLj2EEiiiiiiS1_IjLj3EES5_S5_.numbered_sgpr, 20
	.set _ZL33flash_attn_stream_k_fixup_uniformILi256ELi16ELi2EEvPfPK15HIP_vector_typeIfLj2EEiiiiiiS1_IjLj3EES5_S5_.num_named_barrier, 0
	.set _ZL33flash_attn_stream_k_fixup_uniformILi256ELi16ELi2EEvPfPK15HIP_vector_typeIfLj2EEiiiiiiS1_IjLj3EES5_S5_.private_seg_size, 0
	.set _ZL33flash_attn_stream_k_fixup_uniformILi256ELi16ELi2EEvPfPK15HIP_vector_typeIfLj2EEiiiiiiS1_IjLj3EES5_S5_.uses_vcc, 1
	.set _ZL33flash_attn_stream_k_fixup_uniformILi256ELi16ELi2EEvPfPK15HIP_vector_typeIfLj2EEiiiiiiS1_IjLj3EES5_S5_.uses_flat_scratch, 0
	.set _ZL33flash_attn_stream_k_fixup_uniformILi256ELi16ELi2EEvPfPK15HIP_vector_typeIfLj2EEiiiiiiS1_IjLj3EES5_S5_.has_dyn_sized_stack, 0
	.set _ZL33flash_attn_stream_k_fixup_uniformILi256ELi16ELi2EEvPfPK15HIP_vector_typeIfLj2EEiiiiiiS1_IjLj3EES5_S5_.has_recursion, 0
	.set _ZL33flash_attn_stream_k_fixup_uniformILi256ELi16ELi2EEvPfPK15HIP_vector_typeIfLj2EEiiiiiiS1_IjLj3EES5_S5_.has_indirect_call, 0
	.section	.AMDGPU.csdata,"",@progbits
; Kernel info:
; codeLenInByte = 856
; TotalNumSgprs: 24
; NumVgprs: 17
; ScratchSize: 0
; MemoryBound: 0
; FloatMode: 240
; IeeeMode: 1
; LDSByteSize: 0 bytes/workgroup (compile time only)
; SGPRBlocks: 2
; VGPRBlocks: 4
; NumSGPRsForWavesPerEU: 24
; NumVGPRsForWavesPerEU: 17
; Occupancy: 10
; WaveLimiterHint : 0
; COMPUTE_PGM_RSRC2:SCRATCH_EN: 0
; COMPUTE_PGM_RSRC2:USER_SGPR: 6
; COMPUTE_PGM_RSRC2:TRAP_HANDLER: 0
; COMPUTE_PGM_RSRC2:TGID_X_EN: 1
; COMPUTE_PGM_RSRC2:TGID_Y_EN: 1
; COMPUTE_PGM_RSRC2:TGID_Z_EN: 1
; COMPUTE_PGM_RSRC2:TIDIG_COMP_CNT: 0
	.section	.text._ZL33flash_attn_stream_k_fixup_generalILi256ELi16ELi2EEvPfPK15HIP_vector_typeIfLj2EEiiiiS1_IjLj3EES5_S5_S5_,"axG",@progbits,_ZL33flash_attn_stream_k_fixup_generalILi256ELi16ELi2EEvPfPK15HIP_vector_typeIfLj2EEiiiiS1_IjLj3EES5_S5_S5_,comdat
	.globl	_ZL33flash_attn_stream_k_fixup_generalILi256ELi16ELi2EEvPfPK15HIP_vector_typeIfLj2EEiiiiS1_IjLj3EES5_S5_S5_ ; -- Begin function _ZL33flash_attn_stream_k_fixup_generalILi256ELi16ELi2EEvPfPK15HIP_vector_typeIfLj2EEiiiiS1_IjLj3EES5_S5_S5_
	.p2align	8
	.type	_ZL33flash_attn_stream_k_fixup_generalILi256ELi16ELi2EEvPfPK15HIP_vector_typeIfLj2EEiiiiS1_IjLj3EES5_S5_S5_,@function
_ZL33flash_attn_stream_k_fixup_generalILi256ELi16ELi2EEvPfPK15HIP_vector_typeIfLj2EEiiiiS1_IjLj3EES5_S5_S5_: ; @_ZL33flash_attn_stream_k_fixup_generalILi256ELi16ELi2EEvPfPK15HIP_vector_typeIfLj2EEiiiiS1_IjLj3EES5_S5_S5_
; %bb.0:
	s_load_dwordx4 s[0:3], s[4:5], 0x10
	s_load_dword s22, s[4:5], 0x50
	s_mov_b32 s12, 0
	s_waitcnt lgkmcnt(0)
	s_mul_hi_i32 s13, s3, s6
	s_cmp_lg_u64 s[12:13], 0
	s_mul_i32 s9, s3, s6
	s_cbranch_scc0 .LBB29_20
; %bb.1:
	s_add_u32 s10, s22, 0
	s_addc_u32 s11, 0, 0
	s_xor_b64 s[10:11], s[10:11], 0
	v_cvt_f32_u32_e32 v1, s10
	v_cvt_f32_u32_e32 v2, s11
	s_sub_u32 s12, 0, s10
	s_subb_u32 s18, 0, s11
	v_madmk_f32 v1, v2, 0x4f800000, v1
	v_rcp_f32_e32 v1, v1
	v_mul_f32_e32 v1, 0x5f7ffffc, v1
	v_mul_f32_e32 v2, 0x2f800000, v1
	v_trunc_f32_e32 v2, v2
	v_madmk_f32 v1, v2, 0xcf800000, v1
	v_cvt_u32_f32_e32 v2, v2
	v_cvt_u32_f32_e32 v1, v1
	v_readfirstlane_b32 s19, v2
	v_readfirstlane_b32 s14, v1
	s_mul_i32 s15, s12, s19
	s_mul_hi_u32 s21, s12, s14
	s_mul_i32 s20, s18, s14
	s_add_i32 s15, s21, s15
	s_add_i32 s15, s15, s20
	s_mul_i32 s23, s12, s14
	s_mul_i32 s21, s14, s15
	s_mul_hi_u32 s24, s14, s23
	s_mul_hi_u32 s20, s14, s15
	s_add_u32 s21, s24, s21
	s_addc_u32 s20, 0, s20
	s_mul_hi_u32 s25, s19, s23
	s_mul_i32 s23, s19, s23
	s_add_u32 s21, s21, s23
	s_mul_hi_u32 s24, s19, s15
	s_addc_u32 s20, s20, s25
	s_addc_u32 s21, s24, 0
	s_mul_i32 s15, s19, s15
	s_add_u32 s15, s20, s15
	s_addc_u32 s20, 0, s21
	s_add_u32 s21, s14, s15
	s_cselect_b64 s[14:15], -1, 0
	s_cmp_lg_u64 s[14:15], 0
	s_addc_u32 s19, s19, s20
	s_mul_i32 s14, s12, s19
	s_mul_hi_u32 s15, s12, s21
	s_add_i32 s14, s15, s14
	s_mul_i32 s18, s18, s21
	s_add_i32 s14, s14, s18
	s_mul_i32 s12, s12, s21
	s_mul_hi_u32 s18, s19, s12
	s_mul_i32 s20, s19, s12
	s_mul_i32 s24, s21, s14
	s_mul_hi_u32 s12, s21, s12
	s_mul_hi_u32 s23, s21, s14
	s_add_u32 s12, s12, s24
	s_addc_u32 s23, 0, s23
	s_add_u32 s12, s12, s20
	s_mul_hi_u32 s15, s19, s14
	s_addc_u32 s12, s23, s18
	s_addc_u32 s15, s15, 0
	s_mul_i32 s14, s19, s14
	s_add_u32 s12, s12, s14
	s_addc_u32 s18, 0, s15
	s_add_u32 s20, s21, s12
	s_cselect_b64 s[14:15], -1, 0
	s_cmp_lg_u64 s[14:15], 0
	s_addc_u32 s18, s19, s18
	s_ashr_i32 s14, s13, 31
	s_add_u32 s12, s9, s14
	s_mov_b32 s15, s14
	s_addc_u32 s13, s13, s14
	s_xor_b64 s[12:13], s[12:13], s[14:15]
	s_mul_i32 s21, s12, s18
	s_mul_hi_u32 s23, s12, s20
	s_mul_hi_u32 s19, s12, s18
	s_add_u32 s21, s23, s21
	s_addc_u32 s19, 0, s19
	s_mul_hi_u32 s24, s13, s20
	s_mul_i32 s20, s13, s20
	s_add_u32 s20, s21, s20
	s_mul_hi_u32 s23, s13, s18
	s_addc_u32 s19, s19, s24
	s_addc_u32 s20, s23, 0
	s_mul_i32 s18, s13, s18
	s_add_u32 s23, s19, s18
	s_addc_u32 s24, 0, s20
	s_mul_i32 s18, s10, s24
	s_mul_hi_u32 s19, s10, s23
	s_add_i32 s18, s19, s18
	s_mul_i32 s19, s11, s23
	s_add_i32 s25, s18, s19
	s_sub_i32 s20, s13, s25
	s_mul_i32 s18, s10, s23
	s_sub_u32 s12, s12, s18
	s_cselect_b64 s[18:19], -1, 0
	s_cmp_lg_u64 s[18:19], 0
	s_subb_u32 s26, s20, s11
	s_sub_u32 s27, s12, s10
	s_cselect_b64 s[20:21], -1, 0
	s_cmp_lg_u64 s[20:21], 0
	s_subb_u32 s20, s26, 0
	s_cmp_ge_u32 s20, s11
	s_cselect_b32 s21, -1, 0
	s_cmp_ge_u32 s27, s10
	s_cselect_b32 s26, -1, 0
	s_cmp_eq_u32 s20, s11
	s_cselect_b32 s20, s26, s21
	s_add_u32 s21, s23, 1
	s_addc_u32 s26, s24, 0
	s_add_u32 s27, s23, 2
	s_addc_u32 s28, s24, 0
	s_cmp_lg_u32 s20, 0
	s_cselect_b32 s20, s27, s21
	s_cselect_b32 s21, s28, s26
	s_cmp_lg_u64 s[18:19], 0
	s_subb_u32 s13, s13, s25
	s_cmp_ge_u32 s13, s11
	s_cselect_b32 s18, -1, 0
	s_cmp_ge_u32 s12, s10
	s_cselect_b32 s10, -1, 0
	s_cmp_eq_u32 s13, s11
	s_cselect_b32 s10, s10, s18
	s_cmp_lg_u32 s10, 0
	s_cselect_b32 s11, s21, s24
	s_cselect_b32 s10, s20, s23
	s_xor_b64 s[12:13], s[14:15], 0
	s_xor_b64 s[10:11], s[10:11], s[12:13]
	s_sub_u32 s10, s10, s12
	s_load_dwordx4 s[12:15], s[4:5], 0x44
	s_cbranch_execnz .LBB29_3
.LBB29_2:
	v_cvt_f32_u32_e32 v1, s22
	s_sub_i32 s10, 0, s22
	v_rcp_iflag_f32_e32 v1, v1
	v_mul_f32_e32 v1, 0x4f7ffffe, v1
	v_cvt_u32_f32_e32 v1, v1
	v_readfirstlane_b32 s11, v1
	s_mul_i32 s10, s10, s11
	s_mul_hi_u32 s10, s11, s10
	s_add_i32 s11, s11, s10
	s_mul_hi_u32 s10, s9, s11
	s_waitcnt lgkmcnt(0)
	s_mul_i32 s15, s10, s22
	s_sub_i32 s9, s9, s15
	s_add_i32 s11, s10, 1
	s_sub_i32 s15, s9, s22
	s_cmp_ge_u32 s9, s22
	s_cselect_b32 s10, s11, s10
	s_cselect_b32 s9, s15, s9
	s_add_i32 s11, s10, 1
	s_cmp_ge_u32 s9, s22
	s_cselect_b32 s10, s11, s10
.LBB29_3:
	s_add_i32 s9, s6, 1
	s_mul_hi_i32 s21, s3, s9
	s_mov_b32 s20, 0
	s_cmp_lg_u64 s[20:21], 0
	s_mul_i32 s9, s3, s9
	s_cbranch_scc0 .LBB29_21
; %bb.4:
	s_add_u32 s16, s22, 0
	s_addc_u32 s17, 0, 0
	s_xor_b64 s[18:19], s[16:17], 0
	v_cvt_f32_u32_e32 v1, s18
	v_cvt_f32_u32_e32 v2, s19
	s_sub_u32 s11, 0, s18
	s_waitcnt lgkmcnt(0)
	s_subb_u32 s15, 0, s19
	v_madmk_f32 v1, v2, 0x4f800000, v1
	v_rcp_f32_e32 v1, v1
	v_mul_f32_e32 v1, 0x5f7ffffc, v1
	v_mul_f32_e32 v2, 0x2f800000, v1
	v_trunc_f32_e32 v2, v2
	v_madmk_f32 v1, v2, 0xcf800000, v1
	v_cvt_u32_f32_e32 v2, v2
	v_cvt_u32_f32_e32 v1, v1
	v_readfirstlane_b32 s20, v2
	v_readfirstlane_b32 s23, v1
	s_mul_i32 s24, s11, s20
	s_mul_hi_u32 s26, s11, s23
	s_mul_i32 s25, s15, s23
	s_add_i32 s24, s26, s24
	s_add_i32 s24, s24, s25
	s_mul_i32 s27, s11, s23
	s_mul_i32 s26, s23, s24
	s_mul_hi_u32 s28, s23, s27
	s_mul_hi_u32 s25, s23, s24
	s_add_u32 s26, s28, s26
	s_addc_u32 s25, 0, s25
	s_mul_hi_u32 s29, s20, s27
	s_mul_i32 s27, s20, s27
	s_add_u32 s26, s26, s27
	s_mul_hi_u32 s28, s20, s24
	s_addc_u32 s25, s25, s29
	s_addc_u32 s26, s28, 0
	s_mul_i32 s24, s20, s24
	s_add_u32 s24, s25, s24
	s_addc_u32 s26, 0, s26
	s_add_u32 s23, s23, s24
	s_cselect_b64 s[24:25], -1, 0
	s_cmp_lg_u64 s[24:25], 0
	s_addc_u32 s20, s20, s26
	s_mul_i32 s24, s11, s20
	s_mul_hi_u32 s25, s11, s23
	s_add_i32 s24, s25, s24
	s_mul_i32 s15, s15, s23
	s_add_i32 s24, s24, s15
	s_mul_i32 s11, s11, s23
	s_mul_hi_u32 s25, s20, s11
	s_mul_i32 s26, s20, s11
	s_mul_i32 s28, s23, s24
	s_mul_hi_u32 s11, s23, s11
	s_mul_hi_u32 s27, s23, s24
	s_add_u32 s11, s11, s28
	s_addc_u32 s27, 0, s27
	s_add_u32 s11, s11, s26
	s_mul_hi_u32 s15, s20, s24
	s_addc_u32 s11, s27, s25
	s_addc_u32 s15, s15, 0
	s_mul_i32 s24, s20, s24
	s_add_u32 s11, s11, s24
	s_addc_u32 s15, 0, s15
	s_add_u32 s11, s23, s11
	s_cselect_b64 s[24:25], -1, 0
	s_cmp_lg_u64 s[24:25], 0
	s_addc_u32 s15, s20, s15
	s_ashr_i32 s24, s21, 31
	s_add_u32 s20, s9, s24
	s_mov_b32 s25, s24
	s_addc_u32 s21, s21, s24
	s_xor_b64 s[20:21], s[20:21], s[24:25]
	s_mul_i32 s26, s20, s15
	s_mul_hi_u32 s27, s20, s11
	s_mul_hi_u32 s23, s20, s15
	s_add_u32 s26, s27, s26
	s_addc_u32 s23, 0, s23
	s_mul_hi_u32 s28, s21, s11
	s_mul_i32 s11, s21, s11
	s_add_u32 s11, s26, s11
	s_mul_hi_u32 s27, s21, s15
	s_addc_u32 s11, s23, s28
	s_addc_u32 s23, s27, 0
	s_mul_i32 s15, s21, s15
	s_add_u32 s11, s11, s15
	s_addc_u32 s15, 0, s23
	s_mul_i32 s23, s18, s15
	s_mul_hi_u32 s26, s18, s11
	s_add_i32 s23, s26, s23
	s_mul_i32 s26, s19, s11
	s_add_i32 s23, s23, s26
	s_sub_i32 s28, s21, s23
	s_mul_i32 s26, s18, s11
	s_sub_u32 s20, s20, s26
	s_cselect_b64 s[26:27], -1, 0
	s_cmp_lg_u64 s[26:27], 0
	s_subb_u32 s30, s28, s19
	s_sub_u32 s31, s20, s18
	s_cselect_b64 s[28:29], -1, 0
	s_cmp_lg_u64 s[28:29], 0
	s_subb_u32 s28, s30, 0
	s_cmp_ge_u32 s28, s19
	s_cselect_b32 s29, -1, 0
	s_cmp_ge_u32 s31, s18
	s_cselect_b32 s30, -1, 0
	s_cmp_eq_u32 s28, s19
	s_cselect_b32 s28, s30, s29
	s_add_u32 s29, s11, 1
	s_addc_u32 s30, s15, 0
	s_add_u32 s31, s11, 2
	s_addc_u32 s33, s15, 0
	s_cmp_lg_u32 s28, 0
	s_cselect_b32 s28, s31, s29
	s_cselect_b32 s29, s33, s30
	s_cmp_lg_u64 s[26:27], 0
	s_subb_u32 s21, s21, s23
	s_cmp_ge_u32 s21, s19
	s_cselect_b32 s23, -1, 0
	s_cmp_ge_u32 s20, s18
	s_cselect_b32 s18, -1, 0
	s_cmp_eq_u32 s21, s19
	s_cselect_b32 s18, s18, s23
	s_cmp_lg_u32 s18, 0
	s_cselect_b32 s19, s29, s15
	s_cselect_b32 s18, s28, s11
	s_xor_b64 s[20:21], s[24:25], 0
	s_xor_b64 s[18:19], s[18:19], s[20:21]
	s_sub_u32 s18, s18, s20
	s_cbranch_execnz .LBB29_6
.LBB29_5:
	v_cvt_f32_u32_e32 v1, s22
	s_sub_i32 s11, 0, s22
	v_rcp_iflag_f32_e32 v1, v1
	v_mul_f32_e32 v1, 0x4f7ffffe, v1
	v_cvt_u32_f32_e32 v1, v1
	s_waitcnt lgkmcnt(0)
	v_readfirstlane_b32 s15, v1
	s_mul_i32 s11, s11, s15
	s_mul_hi_u32 s11, s15, s11
	s_add_i32 s15, s15, s11
	s_mul_hi_u32 s11, s9, s15
	s_mul_i32 s16, s11, s22
	s_sub_i32 s9, s9, s16
	s_add_i32 s15, s11, 1
	s_sub_i32 s16, s9, s22
	s_cmp_ge_u32 s9, s22
	s_cselect_b32 s11, s15, s11
	s_cselect_b32 s9, s16, s9
	s_add_i32 s15, s11, 1
	s_cmp_ge_u32 s9, s22
	s_cselect_b32 s18, s15, s11
.LBB29_6:
	s_cmp_eq_u32 s10, s18
	s_waitcnt lgkmcnt(0)
	s_mul_hi_u32 s9, s10, s12
	s_cselect_b64 s[16:17], -1, 0
	s_add_i32 s9, s9, s10
	s_lshr_b32 s11, s9, s13
	s_mul_i32 s9, s11, s14
	s_cmp_eq_u32 s9, s10
	s_mul_hi_u32 s9, s18, s12
	s_cselect_b64 s[20:21], -1, 0
	s_add_i32 s9, s9, s18
	s_lshr_b32 s9, s9, s13
	s_cmp_eq_u32 s11, s9
	s_mul_i32 s9, s9, s14
	s_cselect_b64 s[24:25], -1, 0
	s_cmp_lg_u32 s9, s18
	s_cselect_b64 s[18:19], -1, 0
	s_and_b64 s[18:19], s[24:25], s[18:19]
	s_or_b64 s[16:17], s[16:17], s[20:21]
	s_or_b64 s[16:17], s[16:17], s[18:19]
	s_and_b64 vcc, exec, s[16:17]
	s_cbranch_vccnz .LBB29_23
; %bb.7:
	s_load_dwordx8 s[24:31], s[4:5], 0x20
	s_load_dword s15, s[4:5], 0x40
	s_waitcnt lgkmcnt(0)
	s_mul_hi_u32 s9, s10, s24
	s_add_i32 s9, s9, s10
	s_lshr_b32 s9, s9, s25
	s_mul_i32 s16, s9, s26
	s_sub_i32 s16, s10, s16
	s_mul_hi_u32 s17, s16, s27
	s_add_i32 s17, s16, s17
	s_lshr_b32 s23, s17, s28
	s_mul_i32 s17, s23, s29
	s_sub_i32 s16, s16, s17
	;; [unrolled: 5-line block ×3, first 2 shown]
	s_mul_hi_u32 s16, s15, s12
	s_add_i32 s15, s15, s16
	s_lshr_b32 s25, s15, s13
	s_lshl_b32 s15, s25, 4
	s_lshl_b32 s24, s17, 1
	s_add_i32 s15, s15, s7
	s_cmp_lt_i32 s15, s0
	s_cselect_b64 s[16:17], -1, 0
	s_add_i32 s15, s24, s8
	s_cmp_lt_i32 s15, s2
	s_cselect_b64 s[18:19], -1, 0
	s_and_b64 s[16:17], s[16:17], s[18:19]
	s_andn2_b64 vcc, exec, s[16:17]
	s_cbranch_vccnz .LBB29_23
; %bb.8:
	s_load_dwordx4 s[16:19], s[4:5], 0x0
	s_mov_b32 s4, 0
	s_lshl_b32 s15, s7, 1
	s_lshl_b32 s20, s22, 7
	s_mov_b32 s21, s4
	s_add_i32 s15, s15, s8
	s_lshl_b64 s[20:21], s[20:21], 2
	s_waitcnt lgkmcnt(0)
	s_add_u32 s20, s18, s20
	s_mul_i32 s0, s9, s0
	s_addc_u32 s21, s19, s21
	s_add_i32 s0, s0, s7
	s_mul_i32 s0, s0, s1
	s_mul_i32 s23, s23, s2
	s_add_i32 s0, s0, s8
	s_add_i32 s0, s0, s23
	s_mul_i32 s2, s1, s25
	s_add_i32 s0, s0, s24
	s_lshl_b32 s2, s2, 12
	s_lshl_b32 s0, s0, 8
	s_add_i32 s2, s2, s0
	v_or_b32_e32 v1, s2, v0
	v_ashrrev_i32_e32 v2, 31, v1
	v_lshlrev_b64 v[1:2], 2, v[1:2]
	v_mov_b32_e32 v3, s17
	v_add_co_u32_e32 v1, vcc, s16, v1
	v_addc_co_u32_e32 v2, vcc, v3, v2, vcc
	global_load_dword v3, v[1:2], off
	v_cvt_f32_u32_e32 v4, s22
	s_lshl_b32 s0, s6, 5
	s_add_i32 s0, s15, s0
	s_ashr_i32 s1, s0, 31
	s_lshl_b64 s[0:1], s[0:1], 3
	v_rcp_iflag_f32_e32 v4, v4
	s_add_u32 s0, s18, s0
	s_addc_u32 s1, s19, s1
	s_load_dwordx2 s[0:1], s[0:1], 0x0
	v_mul_f32_e32 v4, 0x4f7ffffe, v4
	v_cvt_u32_f32_e32 v4, v4
	s_add_i32 s24, s6, -1
	v_lshl_or_b32 v0, s15, 8, v0
	s_waitcnt lgkmcnt(0)
	v_mov_b32_e32 v6, s1
	v_mov_b32_e32 v7, s0
	s_mov_b32 s2, 0x3fb8aa3b
	s_mov_b32 s16, 0xc2ce8ed0
	;; [unrolled: 1-line block ×4, first 2 shown]
	v_mov_b32_e32 v5, 0x7f800000
	s_mul_hi_i32 s5, s24, s3
	s_cmp_lg_u64 s[4:5], 0
	s_mul_i32 s8, s24, s3
	s_cbranch_scc0 .LBB29_19
.LBB29_9:
	s_add_u32 s0, s22, 0
	s_addc_u32 s1, 0, 0
	s_xor_b64 s[0:1], s[0:1], 0
	v_cvt_f32_u32_e32 v8, s0
	v_cvt_f32_u32_e32 v9, s1
	s_sub_u32 s9, 0, s0
	s_subb_u32 s25, 0, s1
	v_mac_f32_e32 v8, 0x4f800000, v9
	v_rcp_f32_e32 v8, v8
	v_mul_f32_e32 v8, 0x5f7ffffc, v8
	v_mul_f32_e32 v9, 0x2f800000, v8
	v_trunc_f32_e32 v9, v9
	v_mac_f32_e32 v8, 0xcf800000, v9
	v_cvt_u32_f32_e32 v9, v9
	v_cvt_u32_f32_e32 v8, v8
	v_readfirstlane_b32 s26, v9
	v_readfirstlane_b32 s6, v8
	s_mul_i32 s7, s9, s26
	s_mul_hi_u32 s28, s9, s6
	s_mul_i32 s27, s25, s6
	s_add_i32 s7, s28, s7
	s_mul_i32 s29, s9, s6
	s_add_i32 s7, s7, s27
	s_mul_i32 s28, s6, s7
	s_mul_hi_u32 s30, s6, s29
	s_mul_hi_u32 s27, s6, s7
	s_add_u32 s28, s30, s28
	s_addc_u32 s27, 0, s27
	s_mul_hi_u32 s31, s26, s29
	s_mul_i32 s29, s26, s29
	s_add_u32 s28, s28, s29
	s_mul_hi_u32 s30, s26, s7
	s_addc_u32 s27, s27, s31
	s_addc_u32 s28, s30, 0
	s_mul_i32 s7, s26, s7
	s_add_u32 s7, s27, s7
	s_addc_u32 s27, 0, s28
	s_add_u32 s28, s6, s7
	s_cselect_b64 s[6:7], -1, 0
	s_cmp_lg_u64 s[6:7], 0
	s_addc_u32 s26, s26, s27
	s_mul_i32 s6, s9, s26
	s_mul_hi_u32 s7, s9, s28
	s_add_i32 s6, s7, s6
	s_mul_i32 s25, s25, s28
	s_add_i32 s6, s6, s25
	s_mul_i32 s9, s9, s28
	s_mul_hi_u32 s25, s26, s9
	s_mul_i32 s27, s26, s9
	s_mul_i32 s30, s28, s6
	s_mul_hi_u32 s9, s28, s9
	s_mul_hi_u32 s29, s28, s6
	s_add_u32 s9, s9, s30
	s_addc_u32 s29, 0, s29
	s_add_u32 s9, s9, s27
	s_mul_hi_u32 s7, s26, s6
	s_addc_u32 s9, s29, s25
	s_addc_u32 s7, s7, 0
	s_mul_i32 s6, s26, s6
	s_add_u32 s6, s9, s6
	s_addc_u32 s9, 0, s7
	s_add_u32 s25, s28, s6
	s_cselect_b64 s[6:7], -1, 0
	s_cmp_lg_u64 s[6:7], 0
	s_addc_u32 s9, s26, s9
	s_ashr_i32 s6, s5, 31
	s_add_u32 s26, s8, s6
	s_mov_b32 s7, s6
	s_addc_u32 s27, s5, s6
	s_xor_b64 s[26:27], s[26:27], s[6:7]
	s_mul_i32 s28, s26, s9
	s_mul_hi_u32 s29, s26, s25
	s_mul_hi_u32 s5, s26, s9
	s_add_u32 s28, s29, s28
	s_addc_u32 s5, 0, s5
	s_mul_hi_u32 s30, s27, s25
	s_mul_i32 s25, s27, s25
	s_add_u32 s25, s28, s25
	s_mul_hi_u32 s29, s27, s9
	s_addc_u32 s5, s5, s30
	s_addc_u32 s25, s29, 0
	s_mul_i32 s9, s27, s9
	s_add_u32 s5, s5, s9
	s_addc_u32 s9, 0, s25
	s_mul_i32 s25, s0, s9
	s_mul_hi_u32 s28, s0, s5
	s_add_i32 s25, s28, s25
	s_mul_i32 s28, s1, s5
	s_add_i32 s25, s25, s28
	s_sub_i32 s30, s27, s25
	s_mul_i32 s28, s0, s5
	s_sub_u32 s26, s26, s28
	s_cselect_b64 s[28:29], -1, 0
	s_cmp_lg_u64 s[28:29], 0
	s_subb_u32 s33, s30, s1
	s_sub_u32 s34, s26, s0
	s_cselect_b64 s[30:31], -1, 0
	s_cmp_lg_u64 s[30:31], 0
	s_subb_u32 s30, s33, 0
	s_cmp_ge_u32 s30, s1
	s_cselect_b32 s31, -1, 0
	s_cmp_ge_u32 s34, s0
	s_cselect_b32 s33, -1, 0
	s_cmp_eq_u32 s30, s1
	s_cselect_b32 s30, s33, s31
	s_add_u32 s31, s5, 1
	s_addc_u32 s33, s9, 0
	s_add_u32 s34, s5, 2
	s_addc_u32 s35, s9, 0
	s_cmp_lg_u32 s30, 0
	s_cselect_b32 s30, s34, s31
	s_cselect_b32 s31, s35, s33
	s_cmp_lg_u64 s[28:29], 0
	s_subb_u32 s25, s27, s25
	s_cmp_ge_u32 s25, s1
	s_cselect_b32 s27, -1, 0
	s_cmp_ge_u32 s26, s0
	s_cselect_b32 s0, -1, 0
	s_cmp_eq_u32 s25, s1
	s_cselect_b32 s0, s0, s27
	s_cmp_lg_u32 s0, 0
	s_cselect_b32 s1, s31, s9
	s_cselect_b32 s0, s30, s5
	s_xor_b64 s[6:7], s[6:7], 0
	s_xor_b64 s[0:1], s[0:1], s[6:7]
	s_sub_u32 s6, s0, s6
	s_cbranch_execnz .LBB29_11
.LBB29_10:
	s_sub_i32 s0, 0, s22
	v_readfirstlane_b32 s1, v4
	s_mul_i32 s0, s0, s1
	s_mul_hi_u32 s0, s1, s0
	s_add_i32 s1, s1, s0
	s_mul_hi_u32 s0, s8, s1
	s_mul_i32 s5, s0, s22
	s_sub_i32 s5, s8, s5
	s_add_i32 s1, s0, 1
	s_sub_i32 s6, s5, s22
	s_cmp_ge_u32 s5, s22
	s_cselect_b32 s0, s1, s0
	s_cselect_b32 s5, s6, s5
	s_add_i32 s1, s0, 1
	s_cmp_ge_u32 s5, s22
	s_cselect_b32 s6, s1, s0
.LBB29_11:
	s_cmp_lg_u32 s10, s6
	s_mov_b64 s[8:9], -1
                                        ; implicit-def: $sgpr0_sgpr1
                                        ; implicit-def: $vgpr10
                                        ; implicit-def: $vgpr8
                                        ; implicit-def: $vgpr9
                                        ; implicit-def: $sgpr5
                                        ; implicit-def: $sgpr7
	s_cbranch_scc1 .LBB29_14
; %bb.12:
	s_andn2_b64 vcc, exec, s[8:9]
	s_cbranch_vccz .LBB29_17
.LBB29_13:
	s_andn2_b64 vcc, exec, s[0:1]
	s_cbranch_vccnz .LBB29_18
	s_branch .LBB29_22
.LBB29_14:
	s_add_i32 s0, s24, s22
	s_lshl_b32 s0, s0, 5
	s_add_i32 s0, s0, s15
	s_mov_b32 s1, s4
	s_lshl_b64 s[0:1], s[0:1], 3
	s_add_u32 s8, s18, s0
	s_mul_hi_u32 s0, s6, s12
	s_addc_u32 s9, s19, s1
	s_add_i32 s0, s0, s6
	s_lshr_b32 s5, s0, s13
	s_mul_i32 s0, s5, s14
	s_cmp_eq_u32 s0, s6
	s_cselect_b64 s[0:1], -1, 0
	s_cmp_lt_u32 s5, s11
	s_cselect_b64 s[26:27], -1, 0
	s_or_b64 s[26:27], s[26:27], s[0:1]
	s_mov_b64 s[0:1], -1
	s_and_b64 vcc, exec, s[26:27]
	s_mov_b32 s5, s24
	s_mov_b32 s7, s10
	s_cbranch_vccnz .LBB29_16
; %bb.15:
	s_add_i32 s5, s24, -1
	s_mov_b64 s[0:1], 0
	s_mov_b32 s7, s6
.LBB29_16:
	v_lshl_add_u32 v8, s24, 13, v0
	v_ashrrev_i32_e32 v9, 31, v8
	v_lshlrev_b64 v[8:9], 2, v[8:9]
	v_mov_b32_e32 v10, s21
	v_add_co_u32_e32 v8, vcc, s20, v8
	v_addc_co_u32_e32 v9, vcc, v10, v9, vcc
	global_load_dword v10, v[8:9], off
	s_load_dwordx2 s[8:9], s[8:9], 0x0
	v_max_f32_e32 v8, v7, v7
	s_waitcnt lgkmcnt(0)
	v_max_f32_e64 v9, s8, s8
	v_max_f32_e32 v8, v8, v9
	v_sub_f32_e32 v9, v7, v8
	v_sub_f32_e32 v11, s8, v8
	v_mul_f32_e32 v12, 0x3fb8aa3b, v9
	v_mul_f32_e32 v13, 0x3fb8aa3b, v11
	v_fma_f32 v14, v9, s2, -v12
	v_rndne_f32_e32 v15, v12
	v_fma_f32 v16, v11, s2, -v13
	v_rndne_f32_e32 v17, v13
	v_fmac_f32_e32 v14, 0x32a5705f, v9
	v_sub_f32_e32 v12, v12, v15
	v_fmac_f32_e32 v16, 0x32a5705f, v11
	v_sub_f32_e32 v13, v13, v17
	v_add_f32_e32 v12, v12, v14
	v_cvt_i32_f32_e32 v15, v15
	v_add_f32_e32 v13, v13, v16
	v_exp_f32_e32 v12, v12
	v_cvt_i32_f32_e32 v17, v17
	v_exp_f32_e32 v13, v13
	v_cmp_ngt_f32_e32 vcc, s16, v9
	v_ldexp_f32 v12, v12, v15
	v_cndmask_b32_e32 v12, 0, v12, vcc
	v_ldexp_f32 v13, v13, v17
	v_cmp_ngt_f32_e32 vcc, s16, v11
	v_cndmask_b32_e32 v13, 0, v13, vcc
	v_cmp_nlt_f32_e32 vcc, s17, v9
	v_cndmask_b32_e32 v12, v5, v12, vcc
	v_cmp_nlt_f32_e32 vcc, s17, v11
	v_cndmask_b32_e32 v13, v5, v13, vcc
	v_cmp_le_f32_e32 vcc, s23, v9
	v_cndmask_b32_e32 v12, 0, v12, vcc
	v_cmp_le_f32_e32 vcc, s23, v11
	v_cndmask_b32_e32 v11, 0, v13, vcc
	v_mul_f32_e32 v9, s9, v11
	v_fmac_f32_e32 v9, v6, v12
	s_waitcnt vmcnt(0)
	v_mul_f32_e32 v10, v10, v11
	v_fmac_f32_e32 v10, v3, v12
	s_cbranch_execnz .LBB29_13
.LBB29_17:
	s_add_i32 s5, s24, -1
	s_mov_b32 s7, s10
	v_mov_b32_e32 v9, v6
	v_mov_b32_e32 v8, v7
	s_waitcnt vmcnt(0)
	v_mov_b32_e32 v10, v3
	s_cbranch_execz .LBB29_22
.LBB29_18:
	s_mov_b32 s10, s7
	s_mov_b32 s24, s5
	v_mov_b32_e32 v6, v9
	v_mov_b32_e32 v7, v8
	s_waitcnt vmcnt(0)
	v_mov_b32_e32 v3, v10
	s_mul_hi_i32 s5, s24, s3
	s_cmp_lg_u64 s[4:5], 0
	s_mul_i32 s8, s24, s3
	s_cbranch_scc1 .LBB29_9
.LBB29_19:
                                        ; implicit-def: $sgpr6_sgpr7
	s_branch .LBB29_10
.LBB29_20:
                                        ; implicit-def: $sgpr10_sgpr11
	s_load_dwordx4 s[12:15], s[4:5], 0x44
	s_branch .LBB29_2
.LBB29_21:
                                        ; implicit-def: $sgpr18_sgpr19
	s_branch .LBB29_5
.LBB29_22:
	v_div_scale_f32 v0, s[0:1], v9, v9, v10
	s_waitcnt vmcnt(0)
	v_div_scale_f32 v3, vcc, v10, v9, v10
	v_rcp_f32_e32 v4, v0
	v_fma_f32 v5, -v0, v4, 1.0
	v_fmac_f32_e32 v4, v5, v4
	v_mul_f32_e32 v5, v3, v4
	v_fma_f32 v6, -v0, v5, v3
	v_fmac_f32_e32 v5, v6, v4
	v_fma_f32 v0, -v0, v5, v3
	v_div_fmas_f32 v0, v0, v4, v5
	v_div_fixup_f32 v0, v0, v9, v10
	global_store_dword v[1:2], v0, off
.LBB29_23:
	s_endpgm
	.section	.rodata,"a",@progbits
	.p2align	6, 0x0
	.amdhsa_kernel _ZL33flash_attn_stream_k_fixup_generalILi256ELi16ELi2EEvPfPK15HIP_vector_typeIfLj2EEiiiiS1_IjLj3EES5_S5_S5_
		.amdhsa_group_segment_fixed_size 0
		.amdhsa_private_segment_fixed_size 0
		.amdhsa_kernarg_size 336
		.amdhsa_user_sgpr_count 6
		.amdhsa_user_sgpr_private_segment_buffer 1
		.amdhsa_user_sgpr_dispatch_ptr 0
		.amdhsa_user_sgpr_queue_ptr 0
		.amdhsa_user_sgpr_kernarg_segment_ptr 1
		.amdhsa_user_sgpr_dispatch_id 0
		.amdhsa_user_sgpr_flat_scratch_init 0
		.amdhsa_user_sgpr_private_segment_size 0
		.amdhsa_uses_dynamic_stack 0
		.amdhsa_system_sgpr_private_segment_wavefront_offset 0
		.amdhsa_system_sgpr_workgroup_id_x 1
		.amdhsa_system_sgpr_workgroup_id_y 1
		.amdhsa_system_sgpr_workgroup_id_z 1
		.amdhsa_system_sgpr_workgroup_info 0
		.amdhsa_system_vgpr_workitem_id 0
		.amdhsa_next_free_vgpr 18
		.amdhsa_next_free_sgpr 36
		.amdhsa_reserve_vcc 1
		.amdhsa_reserve_flat_scratch 0
		.amdhsa_float_round_mode_32 0
		.amdhsa_float_round_mode_16_64 0
		.amdhsa_float_denorm_mode_32 3
		.amdhsa_float_denorm_mode_16_64 3
		.amdhsa_dx10_clamp 1
		.amdhsa_ieee_mode 1
		.amdhsa_fp16_overflow 0
		.amdhsa_exception_fp_ieee_invalid_op 0
		.amdhsa_exception_fp_denorm_src 0
		.amdhsa_exception_fp_ieee_div_zero 0
		.amdhsa_exception_fp_ieee_overflow 0
		.amdhsa_exception_fp_ieee_underflow 0
		.amdhsa_exception_fp_ieee_inexact 0
		.amdhsa_exception_int_div_zero 0
	.end_amdhsa_kernel
	.section	.text._ZL33flash_attn_stream_k_fixup_generalILi256ELi16ELi2EEvPfPK15HIP_vector_typeIfLj2EEiiiiS1_IjLj3EES5_S5_S5_,"axG",@progbits,_ZL33flash_attn_stream_k_fixup_generalILi256ELi16ELi2EEvPfPK15HIP_vector_typeIfLj2EEiiiiS1_IjLj3EES5_S5_S5_,comdat
.Lfunc_end29:
	.size	_ZL33flash_attn_stream_k_fixup_generalILi256ELi16ELi2EEvPfPK15HIP_vector_typeIfLj2EEiiiiS1_IjLj3EES5_S5_S5_, .Lfunc_end29-_ZL33flash_attn_stream_k_fixup_generalILi256ELi16ELi2EEvPfPK15HIP_vector_typeIfLj2EEiiiiS1_IjLj3EES5_S5_S5_
                                        ; -- End function
	.set _ZL33flash_attn_stream_k_fixup_generalILi256ELi16ELi2EEvPfPK15HIP_vector_typeIfLj2EEiiiiS1_IjLj3EES5_S5_S5_.num_vgpr, 18
	.set _ZL33flash_attn_stream_k_fixup_generalILi256ELi16ELi2EEvPfPK15HIP_vector_typeIfLj2EEiiiiS1_IjLj3EES5_S5_S5_.num_agpr, 0
	.set _ZL33flash_attn_stream_k_fixup_generalILi256ELi16ELi2EEvPfPK15HIP_vector_typeIfLj2EEiiiiS1_IjLj3EES5_S5_S5_.numbered_sgpr, 36
	.set _ZL33flash_attn_stream_k_fixup_generalILi256ELi16ELi2EEvPfPK15HIP_vector_typeIfLj2EEiiiiS1_IjLj3EES5_S5_S5_.num_named_barrier, 0
	.set _ZL33flash_attn_stream_k_fixup_generalILi256ELi16ELi2EEvPfPK15HIP_vector_typeIfLj2EEiiiiS1_IjLj3EES5_S5_S5_.private_seg_size, 0
	.set _ZL33flash_attn_stream_k_fixup_generalILi256ELi16ELi2EEvPfPK15HIP_vector_typeIfLj2EEiiiiS1_IjLj3EES5_S5_S5_.uses_vcc, 1
	.set _ZL33flash_attn_stream_k_fixup_generalILi256ELi16ELi2EEvPfPK15HIP_vector_typeIfLj2EEiiiiS1_IjLj3EES5_S5_S5_.uses_flat_scratch, 0
	.set _ZL33flash_attn_stream_k_fixup_generalILi256ELi16ELi2EEvPfPK15HIP_vector_typeIfLj2EEiiiiS1_IjLj3EES5_S5_S5_.has_dyn_sized_stack, 0
	.set _ZL33flash_attn_stream_k_fixup_generalILi256ELi16ELi2EEvPfPK15HIP_vector_typeIfLj2EEiiiiS1_IjLj3EES5_S5_S5_.has_recursion, 0
	.set _ZL33flash_attn_stream_k_fixup_generalILi256ELi16ELi2EEvPfPK15HIP_vector_typeIfLj2EEiiiiS1_IjLj3EES5_S5_S5_.has_indirect_call, 0
	.section	.AMDGPU.csdata,"",@progbits
; Kernel info:
; codeLenInByte = 2940
; TotalNumSgprs: 40
; NumVgprs: 18
; ScratchSize: 0
; MemoryBound: 0
; FloatMode: 240
; IeeeMode: 1
; LDSByteSize: 0 bytes/workgroup (compile time only)
; SGPRBlocks: 4
; VGPRBlocks: 4
; NumSGPRsForWavesPerEU: 40
; NumVGPRsForWavesPerEU: 18
; Occupancy: 10
; WaveLimiterHint : 0
; COMPUTE_PGM_RSRC2:SCRATCH_EN: 0
; COMPUTE_PGM_RSRC2:USER_SGPR: 6
; COMPUTE_PGM_RSRC2:TRAP_HANDLER: 0
; COMPUTE_PGM_RSRC2:TGID_X_EN: 1
; COMPUTE_PGM_RSRC2:TGID_Y_EN: 1
; COMPUTE_PGM_RSRC2:TGID_Z_EN: 1
; COMPUTE_PGM_RSRC2:TIDIG_COMP_CNT: 0
	.section	.text._ZL15flash_attn_tileILi256ELi256ELi8ELi2ELb0EEvPKcS1_S1_S1_S1_PKiPfP15HIP_vector_typeIfLj2EEffffjfiS5_IjLj3EEiiiiiiiiiiiliiliiiiil,"axG",@progbits,_ZL15flash_attn_tileILi256ELi256ELi8ELi2ELb0EEvPKcS1_S1_S1_S1_PKiPfP15HIP_vector_typeIfLj2EEffffjfiS5_IjLj3EEiiiiiiiiiiiliiliiiiil,comdat
	.globl	_ZL15flash_attn_tileILi256ELi256ELi8ELi2ELb0EEvPKcS1_S1_S1_S1_PKiPfP15HIP_vector_typeIfLj2EEffffjfiS5_IjLj3EEiiiiiiiiiiiliiliiiiil ; -- Begin function _ZL15flash_attn_tileILi256ELi256ELi8ELi2ELb0EEvPKcS1_S1_S1_S1_PKiPfP15HIP_vector_typeIfLj2EEffffjfiS5_IjLj3EEiiiiiiiiiiiliiliiiiil
	.p2align	8
	.type	_ZL15flash_attn_tileILi256ELi256ELi8ELi2ELb0EEvPKcS1_S1_S1_S1_PKiPfP15HIP_vector_typeIfLj2EEffffjfiS5_IjLj3EEiiiiiiiiiiiliiliiiiil,@function
_ZL15flash_attn_tileILi256ELi256ELi8ELi2ELb0EEvPKcS1_S1_S1_S1_PKiPfP15HIP_vector_typeIfLj2EEffffjfiS5_IjLj3EEiiiiiiiiiiiliiliiiiil: ; @_ZL15flash_attn_tileILi256ELi256ELi8ELi2ELb0EEvPKcS1_S1_S1_S1_PKiPfP15HIP_vector_typeIfLj2EEffffjfiS5_IjLj3EEiiiiiiiiiiiliiliiiiil
; %bb.0:
	s_load_dwordx4 s[24:27], s[4:5], 0x5c
	s_load_dwordx2 s[30:31], s[4:5], 0x80
	s_load_dwordx2 s[36:37], s[4:5], 0xb8
	s_mov_b64 s[34:35], 0
	s_waitcnt lgkmcnt(0)
	s_lshr_b32 s0, s27, 31
	s_add_i32 s0, s27, s0
	s_ashr_i32 s0, s0, 1
	v_cvt_f32_u32_e32 v2, s0
	s_sub_i32 s1, 0, s0
	v_rcp_iflag_f32_e32 v2, v2
	v_mul_f32_e32 v2, 0x4f7ffffe, v2
	v_cvt_u32_f32_e32 v2, v2
	v_readfirstlane_b32 s2, v2
	s_mul_i32 s1, s1, s2
	s_mul_hi_u32 s1, s2, s1
	s_add_i32 s2, s2, s1
	s_mul_hi_u32 s1, s8, s2
	s_mul_i32 s2, s1, s0
	s_sub_i32 s2, s8, s2
	s_add_i32 s3, s1, 1
	s_sub_i32 s9, s2, s0
	s_cmp_ge_u32 s2, s0
	s_cselect_b32 s1, s3, s1
	s_cselect_b32 s2, s9, s2
	s_add_i32 s3, s1, 1
	s_cmp_ge_u32 s2, s0
	s_cselect_b32 s33, s3, s1
	s_abs_i32 s0, s31
	v_cvt_f32_u32_e32 v2, s0
	s_lshl_b32 s1, s8, 1
	s_mul_i32 s8, s33, s27
	s_sub_i32 s9, 0, s0
	v_rcp_iflag_f32_e32 v2, v2
	s_sub_i32 s28, s1, s8
	s_abs_i32 s3, s27
	s_xor_b32 s2, s27, s31
	v_mul_f32_e32 v2, 0x4f7ffffe, v2
	v_cvt_u32_f32_e32 v2, v2
	s_ashr_i32 s2, s2, 31
	v_readfirstlane_b32 s1, v2
	s_mul_i32 s9, s9, s1
	s_mul_hi_u32 s8, s1, s9
	s_add_i32 s1, s1, s8
	s_mul_hi_u32 s1, s3, s1
	s_mul_i32 s8, s1, s0
	s_sub_i32 s3, s3, s8
	s_add_i32 s9, s1, 1
	s_sub_i32 s8, s3, s0
	s_cmp_ge_u32 s3, s0
	s_cselect_b32 s1, s9, s1
	s_cselect_b32 s3, s8, s3
	s_add_i32 s8, s1, 1
	s_cmp_ge_u32 s3, s0
	s_cselect_b32 s0, s8, s1
	s_xor_b32 s0, s0, s2
	s_sub_i32 s31, s0, s2
	s_abs_i32 s29, s31
	v_cvt_f32_u32_e32 v2, s29
	s_load_dwordx16 s[8:23], s[4:5], 0x0
	v_rcp_iflag_f32_e32 v2, v2
	s_waitcnt lgkmcnt(0)
	s_cmp_eq_u64 s[14:15], 0
	v_mul_f32_e32 v2, 0x4f7ffffe, v2
	v_cvt_u32_f32_e32 v2, v2
	v_readfirstlane_b32 s38, v2
	s_cbranch_scc1 .LBB30_2
; %bb.1:
	s_abs_i32 s2, s36
	v_cvt_f32_u32_e32 v2, s2
	s_sub_i32 s35, 0, s2
	s_abs_i32 s34, s33
	s_ashr_i32 s3, s33, 31
	v_rcp_iflag_f32_e32 v2, v2
	s_load_dwordx2 s[0:1], s[4:5], 0xc8
	v_mul_f32_e32 v2, 0x4f7ffffe, v2
	v_cvt_u32_f32_e32 v2, v2
	v_readfirstlane_b32 s36, v2
	s_mul_i32 s35, s35, s36
	s_mul_hi_u32 s35, s36, s35
	s_add_i32 s36, s36, s35
	s_mul_hi_u32 s35, s34, s36
	s_mul_i32 s35, s35, s2
	s_sub_i32 s34, s34, s35
	s_sub_i32 s35, s34, s2
	s_cmp_ge_u32 s34, s2
	s_cselect_b32 s34, s35, s34
	s_sub_i32 s35, s34, s2
	s_cmp_ge_u32 s34, s2
	s_cselect_b32 s2, s35, s34
	s_xor_b32 s2, s2, s3
	s_sub_i32 s2, s2, s3
	s_ashr_i32 s3, s2, 31
	s_waitcnt lgkmcnt(0)
	s_mul_hi_u32 s34, s0, s2
	s_mul_i32 s3, s0, s3
	s_mul_i32 s1, s1, s2
	s_add_i32 s3, s34, s3
	s_add_i32 s3, s3, s1
	s_mul_i32 s0, s0, s2
	s_add_u32 s34, s14, s0
	s_addc_u32 s35, s15, s3
.LBB30_2:
	s_load_dwordx4 s[0:3], s[4:5], 0x70
	v_lshl_add_u32 v22, s6, 3, v1
	v_mul_hi_u32 v2, s24, v22
	v_lshlrev_b32_e32 v24, 3, v0
	s_waitcnt lgkmcnt(0)
	s_mul_i32 s2, s33, s2
	v_add_u32_e32 v2, v22, v2
	s_ashr_i32 s14, s2, 31
	v_lshrrev_b32_e32 v2, s25, v2
	s_mul_i32 s3, s28, s1
	s_add_u32 s2, s8, s2
	v_mul_lo_u32 v2, v2, s26
	s_addc_u32 s8, s9, s14
	s_ashr_i32 s9, s3, 31
	s_add_u32 s14, s2, s3
	s_addc_u32 s15, s8, s9
	s_ashr_i32 s3, s0, 31
	s_mov_b32 s2, s0
	v_sub_u32_e32 v2, v22, v2
	s_lshr_b64 s[8:9], s[2:3], 2
	v_mad_u64_u32 v[3:4], s[8:9], s8, v2, 0
	s_lshr_b32 s0, s3, 2
	v_mad_u64_u32 v[4:5], s[2:3], s0, v2, v[4:5]
	v_mov_b32_e32 v5, s15
	s_ashr_i32 s0, s1, 31
	v_lshlrev_b64 v[3:4], 2, v[3:4]
	s_and_b32 s1, s1, -4
	v_add_co_u32_e32 v3, vcc, s14, v3
	v_addc_co_u32_e32 v4, vcc, v5, v4, vcc
	v_lshlrev_b32_e32 v5, 4, v0
	v_add_co_u32_e32 v11, vcc, v3, v5
	v_addc_co_u32_e32 v12, vcc, 0, v4, vcc
	v_mov_b32_e32 v13, s0
	v_add_co_u32_e32 v19, vcc, s1, v11
	global_load_dwordx4 v[3:6], v[11:12], off
	global_load_dwordx4 v[7:10], v[11:12], off offset:512
	v_addc_co_u32_e32 v20, vcc, v12, v13, vcc
	global_load_dwordx4 v[11:14], v[19:20], off
	global_load_dwordx4 v[15:18], v[19:20], off offset:512
	s_load_dword s0, s[4:5], 0x40
	v_mov_b32_e32 v19, 0x2200
	v_lshl_add_u32 v25, v1, 10, v19
	v_add_u32_e32 v19, v25, v24
	s_cmp_eq_u64 s[18:19], 0
	s_waitcnt vmcnt(3) lgkmcnt(0)
	v_fma_mixlo_f16 v3, s0, v3, 0
	v_fma_mixlo_f16 v4, s0, v4, 0
	;; [unrolled: 1-line block ×4, first 2 shown]
	s_waitcnt vmcnt(2)
	v_fma_mixlo_f16 v7, s0, v7, 0
	v_fma_mixlo_f16 v8, s0, v8, 0
	;; [unrolled: 1-line block ×4, first 2 shown]
	v_lshlrev_b32_e32 v4, 16, v4
	v_and_b32_e32 v3, 0xffff, v3
	v_lshlrev_b32_e32 v6, 16, v6
	v_and_b32_e32 v5, 0xffff, v5
	;; [unrolled: 2-line block ×4, first 2 shown]
	s_waitcnt vmcnt(1)
	v_fma_mixlo_f16 v11, s0, v11, 0
	v_fma_mixlo_f16 v12, s0, v12, 0
	;; [unrolled: 1-line block ×4, first 2 shown]
	s_waitcnt vmcnt(0)
	v_fma_mixlo_f16 v15, s0, v15, 0
	v_fma_mixlo_f16 v16, s0, v16, 0
	;; [unrolled: 1-line block ×4, first 2 shown]
	v_or_b32_e32 v3, v4, v3
	v_or3_b32 v4, v6, v5, 0
	v_or_b32_e32 v5, v8, v7
	v_or3_b32 v6, v10, v9, 0
	v_lshlrev_b32_e32 v7, 16, v12
	v_and_b32_e32 v8, 0xffff, v11
	v_lshlrev_b32_e32 v9, 16, v14
	v_and_b32_e32 v10, 0xffff, v13
	;; [unrolled: 2-line block ×4, first 2 shown]
	v_or3_b32 v3, 0, 0, v3
	v_or3_b32 v5, 0, 0, v5
	v_or_b32_e32 v8, v7, v8
	v_or3_b32 v7, v9, v10, 0
	v_or_b32_e32 v10, v11, v12
	v_or3_b32 v9, v13, v14, 0
	ds_write2_b64 v19, v[3:4], v[5:6] offset1:32
	v_or3_b32 v6, 0, 0, v8
	v_or3_b32 v8, 0, 0, v10
	ds_write2_b64 v19, v[6:7], v[8:9] offset0:64 offset1:96
	s_waitcnt lgkmcnt(0)
	s_barrier
	s_cbranch_scc1 .LBB30_4
; %bb.3:
	s_load_dword s0, s[4:5], 0xd0
	s_mov_b32 s1, 0
	s_waitcnt lgkmcnt(0)
	s_mul_i32 s0, s0, s33
	s_add_i32 s0, s0, s6
	s_lshl_b64 s[0:1], s[0:1], 2
	s_add_u32 s0, s18, s0
	s_addc_u32 s1, s19, s1
	s_load_dword s30, s[0:1], 0x0
.LBB30_4:
	s_lshl_b32 s6, s7, 5
	v_lshlrev_b32_e32 v23, 2, v0
	s_waitcnt lgkmcnt(0)
	s_cmp_lt_i32 s6, s30
	v_mbcnt_lo_u32_b32 v3, -1, 0
	s_cbranch_scc1 .LBB30_7
; %bb.5:
	v_mbcnt_hi_u32_b32 v26, -1, v3
	v_and_b32_e32 v4, 0x60, v26
	v_add_u32_e32 v27, 32, v4
	v_xor_b32_e32 v32, 16, v26
	v_xor_b32_e32 v31, 8, v26
	;; [unrolled: 1-line block ×5, first 2 shown]
	s_cbranch_execz .LBB30_8
; %bb.6:
	v_mov_b32_e32 v51, 0
	v_mov_b32_e32 v18, 0
	;; [unrolled: 1-line block ×12, first 2 shown]
	s_branch .LBB30_10
.LBB30_7:
                                        ; implicit-def: $vgpr26
                                        ; implicit-def: $vgpr27
                                        ; implicit-def: $vgpr32
                                        ; implicit-def: $vgpr31
                                        ; implicit-def: $vgpr30
                                        ; implicit-def: $vgpr29
                                        ; implicit-def: $vgpr28
.LBB30_8:
	s_sub_i32 s0, 0, s29
	s_mul_i32 s0, s0, s38
	s_mul_hi_u32 s0, s38, s0
	s_add_i32 s38, s38, s0
	s_load_dwordx2 s[8:9], s[4:5], 0x8c
	s_load_dwordx4 s[0:3], s[4:5], 0x98
	s_abs_i32 s18, s28
	s_mul_hi_u32 s19, s18, s38
	s_ashr_i32 s36, s28, 31
	s_waitcnt lgkmcnt(0)
	s_ashr_i32 s15, s8, 2
	s_ashr_i32 s8, s33, 31
	;; [unrolled: 1-line block ×4, first 2 shown]
	s_mul_hi_u32 s37, s0, s33
	s_mul_i32 s38, s0, s8
	s_add_i32 s37, s37, s38
	s_mul_i32 s1, s1, s33
	s_ashr_i32 s31, s31, 31
	s_add_i32 s37, s37, s1
	s_mul_i32 s0, s0, s33
	s_add_u32 s0, s10, s0
	s_addc_u32 s1, s11, s37
	s_mul_i32 s11, s19, s29
	s_sub_i32 s11, s18, s11
	s_xor_b32 s10, s36, s31
	s_add_i32 s18, s19, 1
	s_sub_i32 s31, s11, s29
	s_cmp_ge_u32 s11, s29
	s_cselect_b32 s18, s18, s19
	s_cselect_b32 s11, s31, s11
	s_add_i32 s19, s18, 1
	s_cmp_ge_u32 s11, s29
	s_cselect_b32 s11, s19, s18
	s_load_dwordx2 s[24:25], s[4:5], 0xa8
	s_xor_b32 s11, s11, s10
	s_sub_i32 s10, s11, s10
	s_mul_i32 s9, s10, s9
	s_ashr_i32 s11, s9, 31
	s_add_u32 s18, s0, s9
	s_addc_u32 s19, s1, s11
	s_waitcnt lgkmcnt(0)
	s_mul_hi_u32 s0, s24, s33
	s_mul_i32 s1, s24, s8
	s_add_i32 s0, s0, s1
	s_mul_i32 s1, s25, s33
	s_add_i32 s0, s0, s1
	s_mul_i32 s1, s24, s33
	v_lshrrev_b32_e32 v4, 4, v0
	s_add_u32 s1, s12, s1
	s_mul_i32 s10, s10, s3
	v_lshl_add_u32 v4, v1, 1, v4
	s_addc_u32 s0, s13, s0
	s_ashr_i32 s3, s10, 31
	v_mul_lo_u32 v7, s15, v4
	v_mul_lo_u32 v11, s14, v1
	s_add_u32 s12, s1, s10
	v_and_b32_e32 v13, 60, v23
	s_addc_u32 s13, s0, s3
	v_lshlrev_b32_e32 v5, 2, v13
	s_movk_i32 s0, 0x110
	v_mad_u32_u24 v33, v4, s0, v5
	v_mad_u64_u32 v[5:6], s[0:1], v2, s2, v[0:1]
	v_mov_b32_e32 v2, 0x4200
	v_lshlrev_b32_e32 v37, 2, v23
	v_lshl_add_u32 v9, s15, 4, v7
	v_lshl_add_u32 v36, v1, 7, v2
	;; [unrolled: 1-line block ×4, first 2 shown]
	v_ashrrev_i32_e32 v8, 31, v7
	v_ashrrev_i32_e32 v10, 31, v9
	;; [unrolled: 1-line block ×4, first 2 shown]
	v_mbcnt_hi_u32_b32 v26, -1, v3
	s_add_u32 s10, s4, 0xd0
	v_lshlrev_b64 v[6:7], 2, v[7:8]
	v_lshlrev_b32_e32 v40, 2, v13
	v_lshlrev_b64 v[8:9], 2, v[9:10]
	v_and_b32_e32 v3, 0x60, v26
	v_lshlrev_b64 v[10:11], 2, v[11:12]
	v_lshlrev_b64 v[12:13], 2, v[1:2]
	v_mov_b32_e32 v42, 0
	v_add_u32_e32 v34, 0x1100, v33
	v_mul_u32_u24_e32 v35, 0x110, v0
	v_add_u32_e32 v39, 0x1000, v38
	s_addc_u32 s11, s5, 0
	v_mov_b32_e32 v14, 0xfeffffff
	v_mov_b32_e32 v41, s35
	v_add_u32_e32 v27, 32, v3
	v_xor_b32_e32 v32, 16, v26
	v_xor_b32_e32 v31, 8, v26
	;; [unrolled: 1-line block ×5, first 2 shown]
	s_mov_b32 s24, 0x3fb8aa3b
	s_mov_b32 s25, 0xc2ce8ed0
	;; [unrolled: 1-line block ×3, first 2 shown]
	v_mov_b32_e32 v43, 0x7f800000
	s_mov_b32 s31, 0x10001
	v_add_u32_e32 v44, v36, v23
	v_add_u32_e32 v45, 0x800, v24
	;; [unrolled: 1-line block ×4, first 2 shown]
	v_mov_b32_e32 v49, 0
	v_mov_b32_e32 v50, 0
	;; [unrolled: 1-line block ×10, first 2 shown]
.LBB30_9:                               ; =>This Inner Loop Header: Depth=1
	s_mul_hi_i32 s1, s6, s15
	s_mul_i32 s0, s6, s15
	v_add_u32_e32 v1, s6, v5
	v_cmp_lt_i32_e32 vcc, v32, v27
	s_lshl_b64 s[0:1], s[0:1], 2
	v_ashrrev_i32_e32 v2, 31, v1
	v_cndmask_b32_e32 v3, v26, v32, vcc
	v_cmp_lt_i32_e32 vcc, v31, v27
	s_add_u32 s8, s18, s0
	v_lshlrev_b64 v[1:2], 1, v[1:2]
	v_cndmask_b32_e32 v4, v26, v31, vcc
	v_cmp_lt_i32_e32 vcc, v30, v27
	s_addc_u32 s0, s19, s1
	v_mov_b32_e32 v57, v14
	v_cndmask_b32_e32 v14, v26, v30, vcc
	v_cmp_lt_i32_e32 vcc, v29, v27
	v_lshlrev_b32_e32 v65, 2, v3
	v_lshlrev_b32_e32 v64, 2, v4
	v_mov_b32_e32 v3, s0
	v_mov_b32_e32 v4, s0
	v_add_co_u32_e64 v1, s[0:1], s34, v1
	v_mov_b32_e32 v56, v15
	v_cndmask_b32_e32 v15, v26, v29, vcc
	v_addc_co_u32_e64 v2, s[0:1], v41, v2, s[0:1]
	v_cmp_lt_i32_e32 vcc, v28, v27
	v_lshlrev_b32_e32 v62, 2, v15
	v_add_co_u32_e64 v15, s[0:1], s8, v6
	v_cndmask_b32_e32 v16, v26, v28, vcc
	v_lshlrev_b32_e32 v63, 2, v14
	v_add_co_u32_e32 v14, vcc, s8, v8
	v_addc_co_u32_e64 v3, s[0:1], v3, v7, s[0:1]
	v_addc_co_u32_e32 v4, vcc, v4, v9, vcc
	v_add_co_u32_e64 v80, s[0:1], v15, v40
	v_add_co_u32_e32 v14, vcc, v14, v40
	v_addc_co_u32_e64 v81, s[0:1], 0, v3, s[0:1]
	v_addc_co_u32_e32 v15, vcc, 0, v4, vcc
	global_load_dwordx4 v[68:71], v[80:81], off
	global_load_dwordx4 v[72:75], v[14:15], off
	s_mul_hi_i32 s3, s6, s14
	s_mul_i32 s2, s6, s14
	s_lshl_b64 s[2:3], s[2:3], 2
	s_add_u32 s2, s12, s2
	s_addc_u32 s3, s13, s3
	v_lshlrev_b32_e32 v61, 2, v16
	s_or_b32 s8, s6, 16
	v_mov_b32_e32 v3, s3
	v_add_co_u32_e32 v4, vcc, s2, v10
	v_mov_b32_e32 v16, s3
	v_add_co_u32_e64 v17, s[0:1], s2, v12
	s_mul_hi_i32 s3, s8, s14
	s_mul_i32 s2, s8, s14
	v_addc_co_u32_e32 v3, vcc, v3, v11, vcc
	v_addc_co_u32_e64 v16, vcc, v16, v13, s[0:1]
	v_add_co_u32_e64 v20, s[0:1], v4, v37
	s_lshl_b64 s[2:3], s[2:3], 2
	v_addc_co_u32_e64 v21, s[0:1], 0, v3, s[0:1]
	v_mov_b32_e32 v60, v18
	v_add_co_u32_e32 v18, vcc, v17, v37
	s_add_u32 s0, s12, s2
	v_mov_b32_e32 v55, v19
	v_addc_co_u32_e32 v19, vcc, 0, v16, vcc
	s_addc_u32 s1, s13, s3
	v_mov_b32_e32 v3, s1
	v_mov_b32_e32 v4, s1
	v_add_co_u32_e32 v16, vcc, s0, v12
	v_add_co_u32_e64 v17, s[0:1], s0, v10
	v_addc_co_u32_e64 v76, s[0:1], v3, v11, s[0:1]
	v_addc_co_u32_e32 v4, vcc, v4, v13, vcc
	v_add_co_u32_e32 v3, vcc, v16, v37
	v_add_co_u32_e64 v16, s[0:1], v17, v37
	v_addc_co_u32_e64 v17, s[0:1], 0, v76, s[0:1]
	s_waitcnt vmcnt(1)
	ds_write_b128 v33, v[68:71]
	s_waitcnt vmcnt(0)
	ds_write_b128 v34, v[72:75]
	s_waitcnt lgkmcnt(0)
	s_barrier
	ds_read_b128 v[68:71], v35
	ds_read_b128 v[72:75], v25
	ds_read_b128 v[76:79], v25 offset:512
	v_mov_b32_e32 v58, 0
	s_waitcnt lgkmcnt(1)
	;;#ASMSTART
	v_dot2_f32_f16 v58, v68, v72, v58
	;;#ASMEND
	;;#ASMSTART
	v_dot2_f32_f16 v58, v69, v73, v58
	;;#ASMEND
	v_mov_b32_e32 v59, 0
	;;#ASMSTART
	v_dot2_f32_f16 v58, v70, v74, v58
	;;#ASMEND
	;;#ASMSTART
	v_dot2_f32_f16 v58, v71, v75, v58
	;;#ASMEND
	s_waitcnt lgkmcnt(0)
	;;#ASMSTART
	v_dot2_f32_f16 v59, v68, v76, v59
	;;#ASMEND
	;;#ASMSTART
	v_dot2_f32_f16 v59, v69, v77, v59
	;;#ASMEND
	;;#ASMSTART
	v_dot2_f32_f16 v59, v70, v78, v59
	;;#ASMEND
	;;#ASMSTART
	v_dot2_f32_f16 v59, v71, v79, v59
	;;#ASMEND
	ds_read_b128 v[68:71], v35 offset:16
	ds_read_b128 v[72:75], v25 offset:16
	ds_read_b128 v[76:79], v25 offset:528
	s_waitcnt lgkmcnt(1)
	;;#ASMSTART
	v_dot2_f32_f16 v58, v68, v72, v58
	;;#ASMEND
	;;#ASMSTART
	v_dot2_f32_f16 v58, v69, v73, v58
	;;#ASMEND
	;;#ASMSTART
	v_dot2_f32_f16 v58, v70, v74, v58
	;;#ASMEND
	;;#ASMSTART
	v_dot2_f32_f16 v58, v71, v75, v58
	;;#ASMEND
	s_waitcnt lgkmcnt(0)
	;;#ASMSTART
	v_dot2_f32_f16 v59, v68, v76, v59
	;;#ASMEND
	;;#ASMSTART
	v_dot2_f32_f16 v59, v69, v77, v59
	;;#ASMEND
	;;#ASMSTART
	v_dot2_f32_f16 v59, v70, v78, v59
	;;#ASMEND
	;;#ASMSTART
	v_dot2_f32_f16 v59, v71, v79, v59
	;;#ASMEND
	ds_read_b128 v[68:71], v35 offset:32
	ds_read_b128 v[72:75], v25 offset:32
	ds_read_b128 v[76:79], v25 offset:544
	s_waitcnt lgkmcnt(1)
	;;#ASMSTART
	v_dot2_f32_f16 v58, v68, v72, v58
	;;#ASMEND
	;;#ASMSTART
	v_dot2_f32_f16 v58, v69, v73, v58
	;;#ASMEND
	;; [unrolled: 29-line block ×15, first 2 shown]
	;;#ASMSTART
	v_dot2_f32_f16 v58, v70, v74, v58
	;;#ASMEND
	;;#ASMSTART
	v_dot2_f32_f16 v58, v71, v75, v58
	;;#ASMEND
	s_waitcnt lgkmcnt(0)
	;;#ASMSTART
	v_dot2_f32_f16 v59, v68, v76, v59
	;;#ASMEND
	;;#ASMSTART
	v_dot2_f32_f16 v59, v69, v77, v59
	;;#ASMEND
	;;#ASMSTART
	v_dot2_f32_f16 v59, v70, v78, v59
	;;#ASMEND
	;;#ASMSTART
	v_dot2_f32_f16 v59, v71, v79, v59
	;;#ASMEND
	s_barrier
	global_load_dwordx4 v[68:71], v[80:81], off offset:256
	global_load_dwordx4 v[72:75], v[14:15], off offset:256
	v_max_f32_e32 v66, v57, v57
	v_max_f32_e32 v67, v56, v56
	v_addc_co_u32_e32 v4, vcc, 0, v4, vcc
	s_waitcnt vmcnt(1)
	ds_write_b128 v33, v[68:71]
	s_waitcnt vmcnt(0)
	ds_write_b128 v34, v[72:75]
	s_waitcnt lgkmcnt(0)
	s_barrier
	ds_read_b128 v[68:71], v35
	ds_read_b128 v[72:75], v25 offset:256
	ds_read_b128 v[76:79], v25 offset:768
	s_waitcnt lgkmcnt(1)
	;;#ASMSTART
	v_dot2_f32_f16 v58, v68, v72, v58
	;;#ASMEND
	;;#ASMSTART
	v_dot2_f32_f16 v58, v69, v73, v58
	;;#ASMEND
	;;#ASMSTART
	v_dot2_f32_f16 v58, v70, v74, v58
	;;#ASMEND
	;;#ASMSTART
	v_dot2_f32_f16 v58, v71, v75, v58
	;;#ASMEND
	s_waitcnt lgkmcnt(0)
	;;#ASMSTART
	v_dot2_f32_f16 v59, v68, v76, v59
	;;#ASMEND
	;;#ASMSTART
	v_dot2_f32_f16 v59, v69, v77, v59
	;;#ASMEND
	;;#ASMSTART
	v_dot2_f32_f16 v59, v70, v78, v59
	;;#ASMEND
	;;#ASMSTART
	v_dot2_f32_f16 v59, v71, v79, v59
	;;#ASMEND
	ds_read_b128 v[68:71], v35 offset:16
	ds_read_b128 v[72:75], v25 offset:272
	ds_read_b128 v[76:79], v25 offset:784
	s_waitcnt lgkmcnt(1)
	;;#ASMSTART
	v_dot2_f32_f16 v58, v68, v72, v58
	;;#ASMEND
	;;#ASMSTART
	v_dot2_f32_f16 v58, v69, v73, v58
	;;#ASMEND
	;;#ASMSTART
	v_dot2_f32_f16 v58, v70, v74, v58
	;;#ASMEND
	;;#ASMSTART
	v_dot2_f32_f16 v58, v71, v75, v58
	;;#ASMEND
	s_waitcnt lgkmcnt(0)
	;;#ASMSTART
	v_dot2_f32_f16 v59, v68, v76, v59
	;;#ASMEND
	;;#ASMSTART
	v_dot2_f32_f16 v59, v69, v77, v59
	;;#ASMEND
	;;#ASMSTART
	v_dot2_f32_f16 v59, v70, v78, v59
	;;#ASMEND
	;;#ASMSTART
	v_dot2_f32_f16 v59, v71, v79, v59
	;;#ASMEND
	ds_read_b128 v[68:71], v35 offset:32
	;; [unrolled: 29-line block ×15, first 2 shown]
	ds_read_b128 v[72:75], v25 offset:496
	ds_read_b128 v[76:79], v25 offset:1008
	s_waitcnt lgkmcnt(1)
	;;#ASMSTART
	v_dot2_f32_f16 v58, v68, v72, v58
	;;#ASMEND
	;;#ASMSTART
	v_dot2_f32_f16 v58, v69, v73, v58
	;;#ASMEND
	;; [unrolled: 3-line block ×4, first 2 shown]
	s_waitcnt lgkmcnt(0)
	;;#ASMSTART
	v_dot2_f32_f16 v59, v68, v76, v59
	;;#ASMEND
	;;#ASMSTART
	v_dot2_f32_f16 v59, v69, v77, v59
	;;#ASMEND
	;; [unrolled: 3-line block ×4, first 2 shown]
	global_load_ushort v1, v[1:2], off
	s_waitcnt vmcnt(0)
	s_barrier
	global_load_dwordx4 v[68:71], v[20:21], off
	global_load_dwordx4 v[72:75], v[18:19], off
	v_cvt_f32_f16_e32 v1, v1
	v_add_f32_e32 v2, v58, v1
	v_add_f32_e32 v1, v59, v1
	v_add_f32_e32 v14, 0x40051340, v2
	v_add_f32_e32 v15, 0x40051340, v1
	v_max_f32_e32 v14, v66, v14
	v_max_f32_e32 v15, v67, v15
	ds_bpermute_b32 v18, v65, v14
	ds_bpermute_b32 v19, v65, v15
	s_waitcnt lgkmcnt(1)
	v_max_f32_e32 v18, v18, v18
	s_waitcnt lgkmcnt(0)
	v_max_f32_e32 v19, v19, v19
	v_max_f32_e32 v14, v14, v18
	v_max_f32_e32 v15, v15, v19
	ds_bpermute_b32 v18, v64, v14
	ds_bpermute_b32 v19, v64, v15
	s_waitcnt lgkmcnt(1)
	v_max_f32_e32 v18, v18, v18
	s_waitcnt lgkmcnt(0)
	v_max_f32_e32 v19, v19, v19
	;; [unrolled: 8-line block ×5, first 2 shown]
	v_max_f32_e32 v14, v14, v18
	v_max_f32_e32 v15, v15, v19
	v_sub_f32_e32 v18, v57, v14
	v_sub_f32_e32 v2, v2, v14
	;; [unrolled: 1-line block ×4, first 2 shown]
	v_mul_f32_e32 v20, 0x3fb8aa3b, v18
	v_mul_f32_e32 v21, 0x3fb8aa3b, v2
	v_mul_f32_e32 v56, 0x3fb8aa3b, v19
	v_mul_f32_e32 v57, 0x3fb8aa3b, v1
	v_fma_f32 v58, v18, s24, -v20
	v_rndne_f32_e32 v59, v20
	v_fma_f32 v61, v2, s24, -v21
	v_rndne_f32_e32 v62, v21
	;; [unrolled: 2-line block ×4, first 2 shown]
	v_fmac_f32_e32 v58, 0x32a5705f, v18
	v_sub_f32_e32 v20, v20, v59
	v_fmac_f32_e32 v61, 0x32a5705f, v2
	v_sub_f32_e32 v21, v21, v62
	;; [unrolled: 2-line block ×4, first 2 shown]
	v_add_f32_e32 v20, v20, v58
	v_add_f32_e32 v21, v21, v61
	;; [unrolled: 1-line block ×4, first 2 shown]
	v_cvt_i32_f32_e32 v59, v59
	v_cvt_i32_f32_e32 v62, v62
	;; [unrolled: 1-line block ×4, first 2 shown]
	v_exp_f32_e32 v20, v20
	v_exp_f32_e32 v21, v21
	v_exp_f32_e32 v56, v56
	v_exp_f32_e32 v57, v57
	v_ldexp_f32 v20, v20, v59
	v_ldexp_f32 v21, v21, v62
	v_cmp_ngt_f32_e32 vcc, s25, v2
	v_ldexp_f32 v56, v56, v64
	v_cmp_ngt_f32_e64 s[0:1], s25, v19
	v_ldexp_f32 v57, v57, v66
	v_cmp_ngt_f32_e64 s[2:3], s25, v1
	v_cmp_ngt_f32_e64 s[8:9], s25, v18
	v_cndmask_b32_e64 v20, 0, v20, s[8:9]
	v_cndmask_b32_e32 v21, 0, v21, vcc
	v_cmp_nlt_f32_e32 vcc, s29, v2
	v_cndmask_b32_e64 v2, 0, v56, s[0:1]
	v_cndmask_b32_e64 v56, 0, v57, s[2:3]
	v_cmp_nlt_f32_e64 s[2:3], s29, v1
	v_cmp_nlt_f32_e64 s[8:9], s29, v18
	;; [unrolled: 1-line block ×3, first 2 shown]
	v_cndmask_b32_e64 v1, v43, v20, s[8:9]
	v_cndmask_b32_e32 v19, v43, v21, vcc
	v_cndmask_b32_e64 v18, v43, v56, s[2:3]
	v_cndmask_b32_e64 v2, v43, v2, s[0:1]
	v_cvt_f16_f32_e32 v20, v19
	v_fmac_f32_e32 v19, v55, v1
	v_cvt_f16_f32_e32 v1, v1
	v_cvt_f16_f32_e32 v21, v18
	;; [unrolled: 1-line block ×3, first 2 shown]
	v_fmac_f32_e32 v18, v60, v2
	v_mul_u32_u24_e32 v1, 0x10001, v1
	v_pack_b32_f16 v20, v20, v21
	v_mul_u32_u24_e32 v2, 0x10001, v55
	v_pk_mul_f16 v21, v54, v1
	v_pk_mul_f16 v76, v52, v1
	;; [unrolled: 1-line block ×3, first 2 shown]
	ds_write_b32 v44, v20
	s_waitcnt vmcnt(1)
	ds_write_b128 v38, v[68:71]
	s_waitcnt vmcnt(0)
	ds_write_b128 v39, v[72:75]
	s_waitcnt lgkmcnt(0)
	s_barrier
	ds_read2_b64 v[52:55], v24 offset1:32
	ds_read_b128 v[56:59], v36
	ds_read_b128 v[60:63], v36 offset:16
	ds_read_b128 v[64:67], v36 offset:32
	;; [unrolled: 1-line block ×3, first 2 shown]
	ds_read2_b64 v[72:75], v24 offset0:64 offset1:96
	v_pk_mul_f16 v50, v50, v2
	v_pk_mul_f16 v49, v49, v2
	v_pk_mul_f16 v42, v42, v2
	s_waitcnt lgkmcnt(4)
	v_mul_u32_u24_sdwa v20, v56, s31 dst_sel:DWORD dst_unused:UNUSED_PAD src0_sel:WORD_0 src1_sel:DWORD
	v_mul_u32_u24_sdwa v56, v56, s31 dst_sel:DWORD dst_unused:UNUSED_PAD src0_sel:WORD_1 src1_sel:DWORD
	v_pk_mul_f16 v78, v52, v20
	v_pk_mul_f16 v80, v52, v56
	v_pk_fma_f16 v21, v53, v20, v21
	v_pk_fma_f16 v50, v53, v56, v50
	;; [unrolled: 1-line block ×6, first 2 shown]
	ds_read2_b64 v[52:55], v24 offset0:128 offset1:160
	v_pk_fma_f16 v1, v51, v1, v78
	ds_read2_b64 v[76:79], v24 offset0:192 offset1:224
	v_mul_u32_u24_sdwa v51, v57, s31 dst_sel:DWORD dst_unused:UNUSED_PAD src0_sel:WORD_0 src1_sel:DWORD
	v_pk_fma_f16 v2, v48, v2, v80
	v_mul_u32_u24_sdwa v48, v57, s31 dst_sel:DWORD dst_unused:UNUSED_PAD src0_sel:WORD_1 src1_sel:DWORD
	s_waitcnt lgkmcnt(2)
	v_pk_fma_f16 v21, v73, v51, v21
	v_pk_fma_f16 v73, v73, v48, v50
	;; [unrolled: 1-line block ×8, first 2 shown]
	ds_read2_b64 v[48:51], v45 offset1:32
	v_mul_u32_u24_sdwa v57, v58, s31 dst_sel:DWORD dst_unused:UNUSED_PAD src0_sel:WORD_0 src1_sel:DWORD
	v_mul_u32_u24_sdwa v72, v58, s31 dst_sel:DWORD dst_unused:UNUSED_PAD src0_sel:WORD_1 src1_sel:DWORD
	v_mul_u32_u24_sdwa v75, v59, s31 dst_sel:DWORD dst_unused:UNUSED_PAD src0_sel:WORD_0 src1_sel:DWORD
	v_mul_u32_u24_sdwa v80, v59, s31 dst_sel:DWORD dst_unused:UNUSED_PAD src0_sel:WORD_1 src1_sel:DWORD
	s_waitcnt lgkmcnt(2)
	v_pk_fma_f16 v21, v53, v57, v21
	v_pk_fma_f16 v81, v54, v57, v56
	;; [unrolled: 1-line block ×4, first 2 shown]
	ds_read2_b64 v[56:59], v45 offset0:64 offset1:96
	v_pk_fma_f16 v73, v53, v72, v73
	v_pk_fma_f16 v74, v54, v72, v74
	v_pk_fma_f16 v42, v55, v72, v42
	v_pk_fma_f16 v2, v52, v72, v2
	ds_read2_b64 v[52:55], v45 offset0:128 offset1:160
	s_waitcnt lgkmcnt(3)
	v_pk_fma_f16 v21, v77, v75, v21
	v_pk_fma_f16 v77, v77, v80, v73
	;; [unrolled: 1-line block ×8, first 2 shown]
	ds_read2_b64 v[72:75], v45 offset0:192 offset1:224
	v_mul_u32_u24_sdwa v76, v60, s31 dst_sel:DWORD dst_unused:UNUSED_PAD src0_sel:WORD_0 src1_sel:DWORD
	v_mul_u32_u24_sdwa v60, v60, s31 dst_sel:DWORD dst_unused:UNUSED_PAD src0_sel:WORD_1 src1_sel:DWORD
	s_waitcnt lgkmcnt(3)
	v_pk_fma_f16 v21, v49, v76, v21
	v_pk_fma_f16 v77, v49, v60, v77
	;; [unrolled: 1-line block ×8, first 2 shown]
	ds_read2_b64 v[48:51], v46 offset1:32
	v_mul_u32_u24_sdwa v60, v61, s31 dst_sel:DWORD dst_unused:UNUSED_PAD src0_sel:WORD_0 src1_sel:DWORD
	v_mul_u32_u24_sdwa v61, v61, s31 dst_sel:DWORD dst_unused:UNUSED_PAD src0_sel:WORD_1 src1_sel:DWORD
	s_waitcnt lgkmcnt(3)
	v_pk_fma_f16 v21, v57, v60, v21
	v_pk_fma_f16 v76, v57, v61, v77
	v_pk_fma_f16 v77, v58, v60, v79
	v_pk_fma_f16 v78, v58, v61, v78
	v_pk_fma_f16 v20, v59, v60, v20
	v_pk_fma_f16 v42, v59, v61, v42
	v_pk_fma_f16 v1, v56, v60, v1
	v_pk_fma_f16 v2, v56, v61, v2
	ds_read2_b64 v[56:59], v46 offset0:64 offset1:96
	v_mul_u32_u24_sdwa v60, v62, s31 dst_sel:DWORD dst_unused:UNUSED_PAD src0_sel:WORD_0 src1_sel:DWORD
	v_mul_u32_u24_sdwa v79, v62, s31 dst_sel:DWORD dst_unused:UNUSED_PAD src0_sel:WORD_1 src1_sel:DWORD
	v_mul_u32_u24_sdwa v80, v63, s31 dst_sel:DWORD dst_unused:UNUSED_PAD src0_sel:WORD_0 src1_sel:DWORD
	v_mul_u32_u24_sdwa v81, v63, s31 dst_sel:DWORD dst_unused:UNUSED_PAD src0_sel:WORD_1 src1_sel:DWORD
	s_waitcnt lgkmcnt(3)
	v_pk_fma_f16 v21, v53, v60, v21
	v_pk_fma_f16 v77, v54, v60, v77
	v_pk_fma_f16 v20, v55, v60, v20
	v_pk_fma_f16 v1, v52, v60, v1
	ds_read2_b64 v[60:63], v46 offset0:128 offset1:160
	v_pk_fma_f16 v76, v53, v79, v76
	v_pk_fma_f16 v78, v54, v79, v78
	;; [unrolled: 1-line block ×4, first 2 shown]
	s_waitcnt lgkmcnt(3)
	v_pk_fma_f16 v21, v73, v80, v21
	v_pk_fma_f16 v76, v73, v81, v76
	v_pk_fma_f16 v77, v74, v80, v77
	v_pk_fma_f16 v78, v74, v81, v78
	v_pk_fma_f16 v20, v75, v80, v20
	v_pk_fma_f16 v42, v75, v81, v42
	v_pk_fma_f16 v1, v72, v80, v1
	v_pk_fma_f16 v2, v72, v81, v2
	v_mul_u32_u24_sdwa v79, v64, s31 dst_sel:DWORD dst_unused:UNUSED_PAD src0_sel:WORD_0 src1_sel:DWORD
	v_mul_u32_u24_sdwa v64, v64, s31 dst_sel:DWORD dst_unused:UNUSED_PAD src0_sel:WORD_1 src1_sel:DWORD
	s_waitcnt lgkmcnt(2)
	v_pk_fma_f16 v21, v49, v79, v21
	v_pk_fma_f16 v76, v49, v64, v76
	v_pk_fma_f16 v77, v50, v79, v77
	v_pk_fma_f16 v78, v50, v64, v78
	v_pk_fma_f16 v20, v51, v79, v20
	v_pk_fma_f16 v42, v51, v64, v42
	v_pk_fma_f16 v1, v48, v79, v1
	v_pk_fma_f16 v2, v48, v64, v2
	v_mul_u32_u24_sdwa v64, v65, s31 dst_sel:DWORD dst_unused:UNUSED_PAD src0_sel:WORD_0 src1_sel:DWORD
	v_mul_u32_u24_sdwa v65, v65, s31 dst_sel:DWORD dst_unused:UNUSED_PAD src0_sel:WORD_1 src1_sel:DWORD
	;; [unrolled: 11-line block ×3, first 2 shown]
	ds_read2_b64 v[52:55], v46 offset0:192 offset1:224
	ds_read2_b64 v[72:75], v47 offset1:32
	ds_read2_b64 v[48:51], v47 offset0:64 offset1:96
	ds_read2_b64 v[56:59], v47 offset0:128 offset1:160
	s_waitcnt lgkmcnt(4)
	v_pk_fma_f16 v21, v61, v64, v21
	v_pk_fma_f16 v66, v61, v65, v76
	;; [unrolled: 1-line block ×8, first 2 shown]
	ds_read2_b64 v[60:63], v47 offset0:192 offset1:224
	s_waitcnt lgkmcnt(0)
	s_barrier
	global_load_dwordx4 v[76:79], v[16:17], off
	s_nop 0
	global_load_dwordx4 v[1:4], v[3:4], off
	v_mul_u32_u24_sdwa v16, v67, s31 dst_sel:DWORD dst_unused:UNUSED_PAD src0_sel:WORD_0 src1_sel:DWORD
	v_mul_u32_u24_sdwa v17, v67, s31 dst_sel:DWORD dst_unused:UNUSED_PAD src0_sel:WORD_1 src1_sel:DWORD
	v_mul_u32_u24_sdwa v67, v68, s31 dst_sel:DWORD dst_unused:UNUSED_PAD src0_sel:WORD_0 src1_sel:DWORD
	v_pk_fma_f16 v21, v53, v16, v21
	v_pk_fma_f16 v80, v54, v16, v80
	v_pk_fma_f16 v20, v55, v16, v20
	v_pk_fma_f16 v16, v52, v16, v64
	v_mul_u32_u24_sdwa v64, v68, s31 dst_sel:DWORD dst_unused:UNUSED_PAD src0_sel:WORD_1 src1_sel:DWORD
	v_pk_fma_f16 v53, v53, v17, v66
	v_pk_fma_f16 v54, v54, v17, v81
	;; [unrolled: 1-line block ×4, first 2 shown]
	v_mul_u32_u24_sdwa v52, v69, s31 dst_sel:DWORD dst_unused:UNUSED_PAD src0_sel:WORD_0 src1_sel:DWORD
	v_mul_u32_u24_sdwa v55, v69, s31 dst_sel:DWORD dst_unused:UNUSED_PAD src0_sel:WORD_1 src1_sel:DWORD
	v_mul_u32_u24_sdwa v65, v70, s31 dst_sel:DWORD dst_unused:UNUSED_PAD src0_sel:WORD_0 src1_sel:DWORD
	v_mul_u32_u24_sdwa v66, v70, s31 dst_sel:DWORD dst_unused:UNUSED_PAD src0_sel:WORD_1 src1_sel:DWORD
	v_pk_fma_f16 v21, v73, v67, v21
	v_pk_fma_f16 v53, v73, v64, v53
	;; [unrolled: 1-line block ×16, first 2 shown]
	v_mul_u32_u24_sdwa v68, v71, s31 dst_sel:DWORD dst_unused:UNUSED_PAD src0_sel:WORD_0 src1_sel:DWORD
	v_mul_u32_u24_sdwa v69, v71, s31 dst_sel:DWORD dst_unused:UNUSED_PAD src0_sel:WORD_1 src1_sel:DWORD
	v_pk_fma_f16 v21, v57, v65, v21
	v_pk_fma_f16 v48, v57, v66, v49
	;; [unrolled: 1-line block ×16, first 2 shown]
	s_waitcnt vmcnt(1)
	ds_write_b128 v38, v[76:79]
	s_waitcnt vmcnt(0)
	ds_write_b128 v39, v[1:4]
	s_waitcnt lgkmcnt(0)
	s_barrier
	ds_read2_b64 v[48:51], v24 offset1:32
	ds_read_b128 v[52:55], v36 offset:64
	ds_read_b128 v[56:59], v36 offset:80
	;; [unrolled: 1-line block ×4, first 2 shown]
	ds_read2_b64 v[64:67], v24 offset0:64 offset1:96
	ds_read2_b64 v[68:71], v24 offset0:128 offset1:160
	;; [unrolled: 1-line block ×3, first 2 shown]
	s_waitcnt lgkmcnt(6)
	v_mul_u32_u24_sdwa v76, v52, s31 dst_sel:DWORD dst_unused:UNUSED_PAD src0_sel:WORD_0 src1_sel:DWORD
	v_mul_u32_u24_sdwa v52, v52, s31 dst_sel:DWORD dst_unused:UNUSED_PAD src0_sel:WORD_1 src1_sel:DWORD
	v_pk_fma_f16 v16, v48, v76, v16
	v_pk_fma_f16 v17, v48, v52, v17
	;; [unrolled: 1-line block ×8, first 2 shown]
	ds_read2_b64 v[48:51], v45 offset1:32
	v_mul_u32_u24_sdwa v52, v53, s31 dst_sel:DWORD dst_unused:UNUSED_PAD src0_sel:WORD_0 src1_sel:DWORD
	v_mul_u32_u24_sdwa v53, v53, s31 dst_sel:DWORD dst_unused:UNUSED_PAD src0_sel:WORD_1 src1_sel:DWORD
	s_waitcnt lgkmcnt(3)
	v_pk_fma_f16 v16, v64, v52, v16
	v_pk_fma_f16 v17, v64, v53, v17
	;; [unrolled: 1-line block ×8, first 2 shown]
	ds_read2_b64 v[64:67], v45 offset0:64 offset1:96
	v_mul_u32_u24_sdwa v52, v54, s31 dst_sel:DWORD dst_unused:UNUSED_PAD src0_sel:WORD_0 src1_sel:DWORD
	v_mul_u32_u24_sdwa v79, v54, s31 dst_sel:DWORD dst_unused:UNUSED_PAD src0_sel:WORD_1 src1_sel:DWORD
	v_mul_u32_u24_sdwa v80, v55, s31 dst_sel:DWORD dst_unused:UNUSED_PAD src0_sel:WORD_0 src1_sel:DWORD
	v_mul_u32_u24_sdwa v81, v55, s31 dst_sel:DWORD dst_unused:UNUSED_PAD src0_sel:WORD_1 src1_sel:DWORD
	s_waitcnt lgkmcnt(3)
	v_pk_fma_f16 v16, v68, v52, v16
	v_pk_fma_f16 v21, v69, v52, v21
	;; [unrolled: 1-line block ×4, first 2 shown]
	ds_read2_b64 v[52:55], v45 offset0:128 offset1:160
	v_pk_fma_f16 v17, v68, v79, v17
	v_pk_fma_f16 v76, v69, v79, v76
	;; [unrolled: 1-line block ×4, first 2 shown]
	ds_read2_b64 v[68:71], v45 offset0:192 offset1:224
	s_waitcnt lgkmcnt(4)
	v_pk_fma_f16 v16, v72, v80, v16
	v_pk_fma_f16 v17, v72, v81, v17
	;; [unrolled: 1-line block ×8, first 2 shown]
	ds_read2_b64 v[72:75], v46 offset1:32
	v_mul_u32_u24_sdwa v79, v56, s31 dst_sel:DWORD dst_unused:UNUSED_PAD src0_sel:WORD_0 src1_sel:DWORD
	v_mul_u32_u24_sdwa v56, v56, s31 dst_sel:DWORD dst_unused:UNUSED_PAD src0_sel:WORD_1 src1_sel:DWORD
	s_waitcnt lgkmcnt(4)
	v_pk_fma_f16 v16, v48, v79, v16
	v_pk_fma_f16 v17, v48, v56, v17
	;; [unrolled: 1-line block ×8, first 2 shown]
	ds_read2_b64 v[48:51], v46 offset0:64 offset1:96
	v_mul_u32_u24_sdwa v56, v57, s31 dst_sel:DWORD dst_unused:UNUSED_PAD src0_sel:WORD_0 src1_sel:DWORD
	v_mul_u32_u24_sdwa v57, v57, s31 dst_sel:DWORD dst_unused:UNUSED_PAD src0_sel:WORD_1 src1_sel:DWORD
	s_waitcnt lgkmcnt(4)
	v_pk_fma_f16 v16, v64, v56, v16
	v_pk_fma_f16 v17, v64, v57, v17
	;; [unrolled: 1-line block ×8, first 2 shown]
	v_mul_u32_u24_sdwa v56, v58, s31 dst_sel:DWORD dst_unused:UNUSED_PAD src0_sel:WORD_0 src1_sel:DWORD
	v_mul_u32_u24_sdwa v79, v58, s31 dst_sel:DWORD dst_unused:UNUSED_PAD src0_sel:WORD_1 src1_sel:DWORD
	ds_read2_b64 v[64:67], v46 offset0:128 offset1:160
	v_mul_u32_u24_sdwa v80, v59, s31 dst_sel:DWORD dst_unused:UNUSED_PAD src0_sel:WORD_0 src1_sel:DWORD
	v_mul_u32_u24_sdwa v81, v59, s31 dst_sel:DWORD dst_unused:UNUSED_PAD src0_sel:WORD_1 src1_sel:DWORD
	s_waitcnt lgkmcnt(4)
	v_pk_fma_f16 v16, v52, v56, v16
	v_pk_fma_f16 v21, v53, v56, v21
	;; [unrolled: 1-line block ×8, first 2 shown]
	ds_read2_b64 v[56:59], v46 offset0:192 offset1:224
	v_mul_u32_u24_sdwa v79, v60, s31 dst_sel:DWORD dst_unused:UNUSED_PAD src0_sel:WORD_0 src1_sel:DWORD
	s_waitcnt lgkmcnt(4)
	v_pk_fma_f16 v16, v68, v80, v16
	v_pk_fma_f16 v21, v69, v80, v21
	;; [unrolled: 1-line block ×4, first 2 shown]
	v_mul_u32_u24_sdwa v80, v60, s31 dst_sel:DWORD dst_unused:UNUSED_PAD src0_sel:WORD_1 src1_sel:DWORD
	v_pk_fma_f16 v17, v68, v81, v17
	v_pk_fma_f16 v68, v69, v81, v76
	;; [unrolled: 1-line block ×4, first 2 shown]
	ds_read2_b64 v[52:55], v47 offset1:32
	v_mul_u32_u24_sdwa v76, v61, s31 dst_sel:DWORD dst_unused:UNUSED_PAD src0_sel:WORD_0 src1_sel:DWORD
	v_mul_u32_u24_sdwa v78, v61, s31 dst_sel:DWORD dst_unused:UNUSED_PAD src0_sel:WORD_1 src1_sel:DWORD
	s_waitcnt lgkmcnt(4)
	v_pk_fma_f16 v16, v72, v79, v16
	v_pk_fma_f16 v21, v73, v79, v21
	;; [unrolled: 1-line block ×8, first 2 shown]
	v_mul_u32_u24_sdwa v81, v62, s31 dst_sel:DWORD dst_unused:UNUSED_PAD src0_sel:WORD_0 src1_sel:DWORD
	v_mul_u32_u24_sdwa v82, v62, s31 dst_sel:DWORD dst_unused:UNUSED_PAD src0_sel:WORD_1 src1_sel:DWORD
	v_mul_u32_u24_sdwa v83, v63, s31 dst_sel:DWORD dst_unused:UNUSED_PAD src0_sel:WORD_0 src1_sel:DWORD
	v_mul_u32_u24_sdwa v84, v63, s31 dst_sel:DWORD dst_unused:UNUSED_PAD src0_sel:WORD_1 src1_sel:DWORD
	ds_read2_b64 v[60:63], v47 offset0:64 offset1:96
	ds_read2_b64 v[68:71], v47 offset0:128 offset1:160
	v_mul_u32_u24_sdwa v74, v1, s31 dst_sel:DWORD dst_unused:UNUSED_PAD src0_sel:WORD_0 src1_sel:DWORD
	s_waitcnt lgkmcnt(5)
	v_pk_fma_f16 v16, v48, v76, v16
	v_pk_fma_f16 v21, v49, v76, v21
	v_pk_fma_f16 v75, v50, v76, v77
	v_pk_fma_f16 v20, v51, v76, v20
	v_mul_u32_u24_sdwa v76, v1, s31 dst_sel:DWORD dst_unused:UNUSED_PAD src0_sel:WORD_1 src1_sel:DWORD
	v_pk_fma_f16 v17, v48, v78, v17
	v_pk_fma_f16 v48, v49, v78, v72
	;; [unrolled: 1-line block ×4, first 2 shown]
	v_mul_u32_u24_sdwa v50, v2, s31 dst_sel:DWORD dst_unused:UNUSED_PAD src0_sel:WORD_0 src1_sel:DWORD
	v_mul_u32_u24_sdwa v51, v2, s31 dst_sel:DWORD dst_unused:UNUSED_PAD src0_sel:WORD_1 src1_sel:DWORD
	v_mul_u32_u24_sdwa v72, v3, s31 dst_sel:DWORD dst_unused:UNUSED_PAD src0_sel:WORD_0 src1_sel:DWORD
	v_mul_u32_u24_sdwa v73, v3, s31 dst_sel:DWORD dst_unused:UNUSED_PAD src0_sel:WORD_1 src1_sel:DWORD
	;; [unrolled: 2-line block ×3, first 2 shown]
	ds_read2_b64 v[1:4], v47 offset0:192 offset1:224
	s_waitcnt lgkmcnt(0)
	s_barrier
	s_load_dword s0, s[10:11], 0x4
	v_pk_fma_f16 v16, v64, v81, v16
	v_pk_fma_f16 v21, v65, v81, v21
	;; [unrolled: 1-line block ×24, first 2 shown]
	s_waitcnt lgkmcnt(0)
	s_lshl_b32 s0, s0, 5
	v_pk_fma_f16 v16, v60, v50, v16
	v_pk_fma_f16 v17, v60, v51, v17
	;; [unrolled: 1-line block ×8, first 2 shown]
	s_add_i32 s6, s0, s6
	v_pk_fma_f16 v16, v68, v72, v16
	v_pk_fma_f16 v17, v68, v73, v17
	;; [unrolled: 1-line block ×8, first 2 shown]
	s_cmp_ge_i32 s6, s30
	v_pk_fma_f16 v51, v1, v77, v16
	v_pk_fma_f16 v48, v1, v78, v17
	;; [unrolled: 1-line block ×8, first 2 shown]
	s_cbranch_scc0 .LBB30_9
.LBB30_10:
	v_cmp_lt_i32_e32 vcc, v32, v27
	v_cndmask_b32_e32 v1, v26, v32, vcc
	v_lshlrev_b32_e32 v1, 2, v1
	ds_bpermute_b32 v2, v1, v19
	ds_bpermute_b32 v1, v1, v18
	v_cmp_lt_i32_e32 vcc, v31, v27
	v_cndmask_b32_e32 v3, v26, v31, vcc
	v_lshlrev_b32_e32 v3, 2, v3
	s_waitcnt lgkmcnt(1)
	v_add_f32_e32 v2, v19, v2
	s_waitcnt lgkmcnt(0)
	v_add_f32_e32 v1, v18, v1
	ds_bpermute_b32 v4, v3, v2
	ds_bpermute_b32 v3, v3, v1
	v_cmp_lt_i32_e32 vcc, v30, v27
	v_cndmask_b32_e32 v5, v26, v30, vcc
	v_lshlrev_b32_e32 v5, 2, v5
	s_waitcnt lgkmcnt(1)
	v_add_f32_e32 v2, v2, v4
	s_waitcnt lgkmcnt(0)
	v_add_f32_e32 v1, v1, v3
	;; [unrolled: 9-line block ×4, first 2 shown]
	ds_bpermute_b32 v4, v5, v2
	ds_bpermute_b32 v5, v5, v3
	s_cmp_lg_u64 s[16:17], 0
	s_cselect_b64 s[0:1], -1, 0
	s_cmp_eq_u32 s7, 0
	s_cselect_b64 s[2:3], -1, 0
	s_and_b64 s[0:1], s[2:3], s[0:1]
	s_waitcnt lgkmcnt(1)
	v_add_f32_e32 v1, v2, v4
	s_waitcnt lgkmcnt(0)
	v_add_f32_e32 v2, v3, v5
	s_and_b64 vcc, exec, s[0:1]
	s_cbranch_vccz .LBB30_13
; %bb.11:
	s_ashr_i32 s29, s28, 31
	s_lshl_b64 s[0:1], s[28:29], 2
	s_add_u32 s0, s16, s0
	s_addc_u32 s1, s17, s1
	v_mov_b32_e32 v3, 0
	global_load_dwordx2 v[3:4], v3, s[0:1]
	v_max_f32_e32 v5, v14, v14
	v_max_f32_e32 v6, v15, v15
	s_mov_b32 s0, 0x3fb8aa3b
	s_mov_b32 s1, 0xc2ce8ed0
	;; [unrolled: 1-line block ×3, first 2 shown]
	v_mov_b32_e32 v7, 0x7f800000
	s_waitcnt vmcnt(0)
	v_max_f32_e32 v8, v3, v3
	v_max_f32_e32 v9, v4, v4
	;; [unrolled: 1-line block ×4, first 2 shown]
	v_sub_f32_e32 v8, v14, v5
	v_sub_f32_e32 v9, v15, v6
	v_mov_b32_e32 v15, v6
	v_sub_f32_e32 v3, v3, v5
	v_mov_b32_e32 v14, v5
	v_mul_f32_e32 v5, 0x3fb8aa3b, v8
	v_sub_f32_e32 v4, v4, v6
	v_mul_f32_e32 v6, 0x3fb8aa3b, v3
	v_fma_f32 v12, v8, s0, -v5
	v_rndne_f32_e32 v13, v5
	v_mul_f32_e32 v10, 0x3fb8aa3b, v9
	v_fma_f32 v16, v3, s0, -v6
	v_rndne_f32_e32 v17, v6
	v_fmac_f32_e32 v12, 0x32a5705f, v8
	v_sub_f32_e32 v5, v5, v13
	v_mul_f32_e32 v11, 0x3fb8aa3b, v4
	v_fma_f32 v18, v9, s0, -v10
	v_rndne_f32_e32 v19, v10
	v_fmac_f32_e32 v16, 0x32a5705f, v3
	v_sub_f32_e32 v6, v6, v17
	v_add_f32_e32 v5, v5, v12
	v_fma_f32 v20, v4, s0, -v11
	v_rndne_f32_e32 v21, v11
	v_cvt_i32_f32_e32 v13, v13
	v_fmac_f32_e32 v18, 0x32a5705f, v9
	v_sub_f32_e32 v10, v10, v19
	v_add_f32_e32 v6, v6, v16
	v_exp_f32_e32 v5, v5
	v_cvt_i32_f32_e32 v17, v17
	v_fmac_f32_e32 v20, 0x32a5705f, v4
	v_sub_f32_e32 v11, v11, v21
	v_add_f32_e32 v10, v10, v18
	v_exp_f32_e32 v6, v6
	v_cvt_i32_f32_e32 v19, v19
	v_add_f32_e32 v11, v11, v20
	v_exp_f32_e32 v10, v10
	v_cvt_i32_f32_e32 v21, v21
	v_exp_f32_e32 v11, v11
	v_ldexp_f32 v5, v5, v13
	v_cmp_ngt_f32_e32 vcc, s1, v8
	v_ldexp_f32 v6, v6, v17
	v_cndmask_b32_e32 v5, 0, v5, vcc
	v_cmp_ngt_f32_e32 vcc, s1, v3
	v_ldexp_f32 v10, v10, v19
	v_cndmask_b32_e32 v6, 0, v6, vcc
	;; [unrolled: 3-line block ×3, first 2 shown]
	v_cmp_ngt_f32_e32 vcc, s1, v4
	v_cndmask_b32_e32 v11, 0, v11, vcc
	v_cmp_nlt_f32_e32 vcc, s2, v8
	v_cndmask_b32_e32 v5, v7, v5, vcc
	v_cmp_nlt_f32_e32 vcc, s2, v3
	;; [unrolled: 2-line block ×4, first 2 shown]
	v_cndmask_b32_e32 v4, v7, v11, vcc
	v_fmac_f32_e32 v3, v1, v5
	v_cvt_f16_f32_e32 v5, v5
	v_cvt_f16_f32_e32 v7, v6
	v_fmac_f32_e32 v4, v2, v6
	v_mov_b32_e32 v1, v3
	v_mul_u32_u24_e32 v2, 0x10001, v5
	v_mul_u32_u24_e32 v5, 0x10001, v7
	v_pk_mul_f16 v51, v51, v2
	v_pk_mul_f16 v54, v54, v2
	;; [unrolled: 1-line block ×8, first 2 shown]
	v_mov_b32_e32 v2, v4
	v_cmp_gt_i32_e32 vcc, s26, v22
	s_and_saveexec_b64 s[0:1], vcc
	s_cbranch_execnz .LBB30_14
.LBB30_12:
	s_endpgm
.LBB30_13:
	v_mov_b32_e32 v4, v2
	v_mov_b32_e32 v3, v1
	v_cmp_gt_i32_e32 vcc, s26, v22
	s_and_saveexec_b64 s[0:1], vcc
	s_cbranch_execz .LBB30_12
.LBB30_14:
	s_load_dword s6, s[4:5], 0xd4
	v_mov_b32_e32 v5, 1.0
	s_waitcnt lgkmcnt(0)
	s_cmp_lg_u32 s6, 1
	s_cselect_b64 s[0:1], -1, 0
	s_cmp_eq_u32 s6, 1
	s_cselect_b64 s[2:3], -1, 0
	s_and_b64 vcc, exec, s[0:1]
	s_cbranch_vccnz .LBB30_16
; %bb.15:
	v_div_scale_f32 v5, s[4:5], v1, v1, 1.0
	v_div_scale_f32 v6, vcc, 1.0, v1, 1.0
	v_rcp_f32_e32 v7, v5
	v_fma_f32 v8, -v5, v7, 1.0
	v_fmac_f32_e32 v7, v8, v7
	v_mul_f32_e32 v8, v6, v7
	v_fma_f32 v9, -v5, v8, v6
	v_fmac_f32_e32 v8, v9, v7
	v_fma_f32 v5, -v5, v8, v6
	v_div_fmas_f32 v5, v5, v7, v8
	v_div_fixup_f32 v5, v5, v1, 1.0
.LBB30_16:
	s_mul_i32 s33, s33, s26
	v_add_u32_e32 v1, s33, v22
	v_mul_lo_u32 v1, v1, s27
	v_cmp_eq_u32_e32 vcc, 0, v0
	v_cvt_f32_f16_sdwa v6, v54 dst_sel:DWORD dst_unused:UNUSED_PAD src0_sel:WORD_1
	v_cvt_f32_f16_e32 v11, v51
	v_add_u32_e32 v0, s28, v1
	v_mul_lo_u32 v0, s6, v0
	v_cvt_f32_f16_e32 v7, v54
	v_cvt_f32_f16_sdwa v1, v51 dst_sel:DWORD dst_unused:UNUSED_PAD src0_sel:WORD_1
	v_mul_f32_e32 v9, v5, v6
	v_add_u32_e32 v0, s7, v0
	v_lshl_add_u32 v10, v0, 8, v23
	v_mul_f32_e32 v6, v5, v11
	v_mov_b32_e32 v11, 0
	v_lshlrev_b64 v[12:13], 2, v[10:11]
	s_and_b64 s[0:1], vcc, s[0:1]
	v_mul_f32_e32 v8, v5, v7
	v_mul_f32_e32 v7, v5, v1
	v_mov_b32_e32 v1, s21
	v_add_co_u32_e32 v12, vcc, s20, v12
	v_addc_co_u32_e32 v13, vcc, v1, v13, vcc
	global_store_dwordx4 v[12:13], v[6:9], off
	v_cvt_f32_f16_sdwa v1, v53 dst_sel:DWORD dst_unused:UNUSED_PAD src0_sel:WORD_1
	v_cvt_f32_f16_e32 v6, v53
	v_cvt_f32_f16_sdwa v9, v52 dst_sel:DWORD dst_unused:UNUSED_PAD src0_sel:WORD_1
	v_cvt_f32_f16_e32 v12, v52
	v_add_u32_e32 v10, 0x80, v10
	v_mul_f32_e32 v7, v5, v6
	v_mul_f32_e32 v6, v5, v9
	v_lshlrev_b64 v[9:10], 2, v[10:11]
	v_mul_f32_e32 v8, v5, v1
	v_mov_b32_e32 v1, s21
	v_add_co_u32_e32 v9, vcc, s20, v9
	v_mul_f32_e32 v5, v5, v12
	v_addc_co_u32_e32 v10, vcc, v1, v10, vcc
	global_store_dwordx4 v[9:10], v[5:8], off
	s_and_saveexec_b64 s[4:5], s[0:1]
	s_cbranch_execz .LBB30_18
; %bb.17:
	v_ashrrev_i32_e32 v1, 31, v0
	v_lshlrev_b64 v[5:6], 3, v[0:1]
	v_mov_b32_e32 v1, s23
	v_add_co_u32_e32 v5, vcc, s22, v5
	v_addc_co_u32_e32 v6, vcc, v1, v6, vcc
	v_mov_b32_e32 v7, v14
	v_mov_b32_e32 v8, v3
	global_store_dwordx2 v[5:6], v[7:8], off
.LBB30_18:
	s_or_b64 exec, exec, s[4:5]
	s_andn2_b64 vcc, exec, s[2:3]
	v_mov_b32_e32 v1, 1.0
	s_cbranch_vccnz .LBB30_20
; %bb.19:
	v_div_scale_f32 v1, s[2:3], v2, v2, 1.0
	v_div_scale_f32 v3, vcc, 1.0, v2, 1.0
	v_rcp_f32_e32 v5, v1
	v_fma_f32 v6, -v1, v5, 1.0
	v_fmac_f32_e32 v5, v6, v5
	v_mul_f32_e32 v6, v3, v5
	v_fma_f32 v7, -v1, v6, v3
	v_fmac_f32_e32 v6, v7, v5
	v_fma_f32 v1, -v1, v6, v3
	v_div_fmas_f32 v1, v1, v5, v6
	v_div_fixup_f32 v1, v1, v2, 1.0
.LBB30_20:
	v_cvt_f32_f16_sdwa v3, v50 dst_sel:DWORD dst_unused:UNUSED_PAD src0_sel:WORD_1
	v_cvt_f32_f16_e32 v5, v50
	v_cvt_f32_f16_e32 v9, v48
	v_add_u32_e32 v0, s6, v0
	v_lshl_add_u32 v2, v0, 8, v23
	v_cvt_f32_f16_sdwa v6, v48 dst_sel:DWORD dst_unused:UNUSED_PAD src0_sel:WORD_1
	v_mul_f32_e32 v8, v1, v3
	v_mov_b32_e32 v3, 0
	v_mul_f32_e32 v7, v1, v5
	v_mul_f32_e32 v5, v1, v9
	v_lshlrev_b64 v[9:10], 2, v[2:3]
	v_mov_b32_e32 v11, s21
	v_add_co_u32_e32 v9, vcc, s20, v9
	v_mul_f32_e32 v6, v1, v6
	v_addc_co_u32_e32 v10, vcc, v11, v10, vcc
	global_store_dwordx4 v[9:10], v[5:8], off
	v_cvt_f32_f16_sdwa v9, v49 dst_sel:DWORD dst_unused:UNUSED_PAD src0_sel:WORD_1
	v_cvt_f32_f16_sdwa v5, v42 dst_sel:DWORD dst_unused:UNUSED_PAD src0_sel:WORD_1
	v_cvt_f32_f16_e32 v6, v42
	v_cvt_f32_f16_e32 v10, v49
	v_add_u32_e32 v2, 0x80, v2
	v_mul_f32_e32 v8, v1, v5
	v_mul_f32_e32 v7, v1, v6
	;; [unrolled: 1-line block ×4, first 2 shown]
	v_lshlrev_b64 v[1:2], 2, v[2:3]
	v_mov_b32_e32 v3, s21
	v_add_co_u32_e32 v1, vcc, s20, v1
	v_addc_co_u32_e32 v2, vcc, v3, v2, vcc
	global_store_dwordx4 v[1:2], v[5:8], off
	s_and_b64 exec, exec, s[0:1]
	s_cbranch_execz .LBB30_12
; %bb.21:
	v_ashrrev_i32_e32 v1, 31, v0
	v_lshlrev_b64 v[0:1], 3, v[0:1]
	v_mov_b32_e32 v2, s23
	v_add_co_u32_e32 v0, vcc, s22, v0
	v_addc_co_u32_e32 v1, vcc, v2, v1, vcc
	v_mov_b32_e32 v3, v15
	global_store_dwordx2 v[0:1], v[3:4], off
	s_endpgm
	.section	.rodata,"a",@progbits
	.p2align	6, 0x0
	.amdhsa_kernel _ZL15flash_attn_tileILi256ELi256ELi8ELi2ELb0EEvPKcS1_S1_S1_S1_PKiPfP15HIP_vector_typeIfLj2EEffffjfiS5_IjLj3EEiiiiiiiiiiiliiliiiiil
		.amdhsa_group_segment_fixed_size 17920
		.amdhsa_private_segment_fixed_size 0
		.amdhsa_kernarg_size 464
		.amdhsa_user_sgpr_count 6
		.amdhsa_user_sgpr_private_segment_buffer 1
		.amdhsa_user_sgpr_dispatch_ptr 0
		.amdhsa_user_sgpr_queue_ptr 0
		.amdhsa_user_sgpr_kernarg_segment_ptr 1
		.amdhsa_user_sgpr_dispatch_id 0
		.amdhsa_user_sgpr_flat_scratch_init 0
		.amdhsa_user_sgpr_private_segment_size 0
		.amdhsa_uses_dynamic_stack 0
		.amdhsa_system_sgpr_private_segment_wavefront_offset 0
		.amdhsa_system_sgpr_workgroup_id_x 1
		.amdhsa_system_sgpr_workgroup_id_y 1
		.amdhsa_system_sgpr_workgroup_id_z 1
		.amdhsa_system_sgpr_workgroup_info 0
		.amdhsa_system_vgpr_workitem_id 1
		.amdhsa_next_free_vgpr 85
		.amdhsa_next_free_sgpr 98
		.amdhsa_reserve_vcc 1
		.amdhsa_reserve_flat_scratch 0
		.amdhsa_float_round_mode_32 0
		.amdhsa_float_round_mode_16_64 0
		.amdhsa_float_denorm_mode_32 3
		.amdhsa_float_denorm_mode_16_64 3
		.amdhsa_dx10_clamp 1
		.amdhsa_ieee_mode 1
		.amdhsa_fp16_overflow 0
		.amdhsa_exception_fp_ieee_invalid_op 0
		.amdhsa_exception_fp_denorm_src 0
		.amdhsa_exception_fp_ieee_div_zero 0
		.amdhsa_exception_fp_ieee_overflow 0
		.amdhsa_exception_fp_ieee_underflow 0
		.amdhsa_exception_fp_ieee_inexact 0
		.amdhsa_exception_int_div_zero 0
	.end_amdhsa_kernel
	.section	.text._ZL15flash_attn_tileILi256ELi256ELi8ELi2ELb0EEvPKcS1_S1_S1_S1_PKiPfP15HIP_vector_typeIfLj2EEffffjfiS5_IjLj3EEiiiiiiiiiiiliiliiiiil,"axG",@progbits,_ZL15flash_attn_tileILi256ELi256ELi8ELi2ELb0EEvPKcS1_S1_S1_S1_PKiPfP15HIP_vector_typeIfLj2EEffffjfiS5_IjLj3EEiiiiiiiiiiiliiliiiiil,comdat
.Lfunc_end30:
	.size	_ZL15flash_attn_tileILi256ELi256ELi8ELi2ELb0EEvPKcS1_S1_S1_S1_PKiPfP15HIP_vector_typeIfLj2EEffffjfiS5_IjLj3EEiiiiiiiiiiiliiliiiiil, .Lfunc_end30-_ZL15flash_attn_tileILi256ELi256ELi8ELi2ELb0EEvPKcS1_S1_S1_S1_PKiPfP15HIP_vector_typeIfLj2EEffffjfiS5_IjLj3EEiiiiiiiiiiiliiliiiiil
                                        ; -- End function
	.set _ZL15flash_attn_tileILi256ELi256ELi8ELi2ELb0EEvPKcS1_S1_S1_S1_PKiPfP15HIP_vector_typeIfLj2EEffffjfiS5_IjLj3EEiiiiiiiiiiiliiliiiiil.num_vgpr, 85
	.set _ZL15flash_attn_tileILi256ELi256ELi8ELi2ELb0EEvPKcS1_S1_S1_S1_PKiPfP15HIP_vector_typeIfLj2EEffffjfiS5_IjLj3EEiiiiiiiiiiiliiliiiiil.num_agpr, 0
	.set _ZL15flash_attn_tileILi256ELi256ELi8ELi2ELb0EEvPKcS1_S1_S1_S1_PKiPfP15HIP_vector_typeIfLj2EEffffjfiS5_IjLj3EEiiiiiiiiiiiliiliiiiil.numbered_sgpr, 39
	.set _ZL15flash_attn_tileILi256ELi256ELi8ELi2ELb0EEvPKcS1_S1_S1_S1_PKiPfP15HIP_vector_typeIfLj2EEffffjfiS5_IjLj3EEiiiiiiiiiiiliiliiiiil.num_named_barrier, 0
	.set _ZL15flash_attn_tileILi256ELi256ELi8ELi2ELb0EEvPKcS1_S1_S1_S1_PKiPfP15HIP_vector_typeIfLj2EEffffjfiS5_IjLj3EEiiiiiiiiiiiliiliiiiil.private_seg_size, 0
	.set _ZL15flash_attn_tileILi256ELi256ELi8ELi2ELb0EEvPKcS1_S1_S1_S1_PKiPfP15HIP_vector_typeIfLj2EEffffjfiS5_IjLj3EEiiiiiiiiiiiliiliiiiil.uses_vcc, 1
	.set _ZL15flash_attn_tileILi256ELi256ELi8ELi2ELb0EEvPKcS1_S1_S1_S1_PKiPfP15HIP_vector_typeIfLj2EEffffjfiS5_IjLj3EEiiiiiiiiiiiliiliiiiil.uses_flat_scratch, 0
	.set _ZL15flash_attn_tileILi256ELi256ELi8ELi2ELb0EEvPKcS1_S1_S1_S1_PKiPfP15HIP_vector_typeIfLj2EEffffjfiS5_IjLj3EEiiiiiiiiiiiliiliiiiil.has_dyn_sized_stack, 0
	.set _ZL15flash_attn_tileILi256ELi256ELi8ELi2ELb0EEvPKcS1_S1_S1_S1_PKiPfP15HIP_vector_typeIfLj2EEffffjfiS5_IjLj3EEiiiiiiiiiiiliiliiiiil.has_recursion, 0
	.set _ZL15flash_attn_tileILi256ELi256ELi8ELi2ELb0EEvPKcS1_S1_S1_S1_PKiPfP15HIP_vector_typeIfLj2EEffffjfiS5_IjLj3EEiiiiiiiiiiiliiliiiiil.has_indirect_call, 0
	.section	.AMDGPU.csdata,"",@progbits
; Kernel info:
; codeLenInByte = 10548
; TotalNumSgprs: 43
; NumVgprs: 85
; ScratchSize: 0
; MemoryBound: 0
; FloatMode: 240
; IeeeMode: 1
; LDSByteSize: 17920 bytes/workgroup (compile time only)
; SGPRBlocks: 12
; VGPRBlocks: 21
; NumSGPRsForWavesPerEU: 102
; NumVGPRsForWavesPerEU: 85
; Occupancy: 2
; WaveLimiterHint : 1
; COMPUTE_PGM_RSRC2:SCRATCH_EN: 0
; COMPUTE_PGM_RSRC2:USER_SGPR: 6
; COMPUTE_PGM_RSRC2:TRAP_HANDLER: 0
; COMPUTE_PGM_RSRC2:TGID_X_EN: 1
; COMPUTE_PGM_RSRC2:TGID_Y_EN: 1
; COMPUTE_PGM_RSRC2:TGID_Z_EN: 1
; COMPUTE_PGM_RSRC2:TIDIG_COMP_CNT: 1
	.section	.text._ZL33flash_attn_stream_k_fixup_uniformILi256ELi8ELi2EEvPfPK15HIP_vector_typeIfLj2EEiiiiiiS1_IjLj3EES5_S5_,"axG",@progbits,_ZL33flash_attn_stream_k_fixup_uniformILi256ELi8ELi2EEvPfPK15HIP_vector_typeIfLj2EEiiiiiiS1_IjLj3EES5_S5_,comdat
	.globl	_ZL33flash_attn_stream_k_fixup_uniformILi256ELi8ELi2EEvPfPK15HIP_vector_typeIfLj2EEiiiiiiS1_IjLj3EES5_S5_ ; -- Begin function _ZL33flash_attn_stream_k_fixup_uniformILi256ELi8ELi2EEvPfPK15HIP_vector_typeIfLj2EEiiiiiiS1_IjLj3EES5_S5_
	.p2align	8
	.type	_ZL33flash_attn_stream_k_fixup_uniformILi256ELi8ELi2EEvPfPK15HIP_vector_typeIfLj2EEiiiiiiS1_IjLj3EES5_S5_,@function
_ZL33flash_attn_stream_k_fixup_uniformILi256ELi8ELi2EEvPfPK15HIP_vector_typeIfLj2EEiiiiiiS1_IjLj3EES5_S5_: ; @_ZL33flash_attn_stream_k_fixup_uniformILi256ELi8ELi2EEvPfPK15HIP_vector_typeIfLj2EEiiiiiiS1_IjLj3EES5_S5_
; %bb.0:
	s_load_dwordx8 s[12:19], s[4:5], 0x1c
	s_load_dwordx2 s[10:11], s[4:5], 0x10
	s_load_dwordx4 s[0:3], s[4:5], 0x3c
	s_waitcnt lgkmcnt(0)
	s_mul_hi_u32 s9, s15, s6
	s_add_i32 s9, s6, s9
	s_lshr_b32 s9, s9, s16
	s_mul_i32 s15, s9, s17
	s_sub_i32 s15, s6, s15
	s_mul_hi_u32 s16, s15, s18
	s_add_i32 s16, s15, s16
	s_lshr_b32 s16, s16, s19
	s_mul_i32 s0, s16, s0
	s_sub_i32 s0, s15, s0
	;; [unrolled: 5-line block ×3, first 2 shown]
	s_lshl_b32 s0, s17, 3
	s_lshl_b32 s15, s1, 1
	s_add_i32 s0, s0, s7
	s_cmp_lt_i32 s0, s10
	s_cselect_b64 s[0:1], -1, 0
	s_add_i32 s2, s15, s8
	s_cmp_lt_i32 s2, s13
	s_cselect_b64 s[2:3], -1, 0
	s_and_b64 s[0:1], s[0:1], s[2:3]
	s_andn2_b64 vcc, exec, s[0:1]
	s_cbranch_vccnz .LBB31_6
; %bb.1:
	s_load_dwordx4 s[0:3], s[4:5], 0x0
	s_mul_i32 s4, s9, s10
	s_add_i32 s4, s4, s7
	s_mul_i32 s4, s4, s11
	s_mul_i32 s16, s16, s13
	s_add_i32 s4, s4, s8
	s_add_i32 s4, s4, s16
	s_mul_i32 s5, s11, s17
	s_add_i32 s4, s4, s15
	s_lshl_b32 s5, s5, 11
	s_lshl_b32 s4, s4, 8
	s_add_i32 s5, s5, s4
	v_or_b32_e32 v1, s5, v0
	v_ashrrev_i32_e32 v2, 31, v1
	v_lshlrev_b64 v[1:2], 2, v[1:2]
	s_waitcnt lgkmcnt(0)
	v_mov_b32_e32 v3, s1
	v_add_co_u32_e32 v1, vcc, s0, v1
	v_addc_co_u32_e32 v2, vcc, v3, v2, vcc
	global_load_dword v8, v[1:2], off
	s_mul_i32 s9, s14, s6
	s_lshl_b32 s4, s7, 1
	s_add_i32 s11, s9, s14
	s_add_i32 s0, s4, s8
	s_lshl_b32 s1, s11, 4
	s_add_i32 s0, s0, s1
	s_add_i32 s0, s0, -16
	s_ashr_i32 s1, s0, 31
	s_lshl_b64 s[0:1], s[0:1], 3
	s_add_u32 s0, s2, s0
	s_addc_u32 s1, s3, s1
	s_load_dword s5, s[0:1], 0x4
	s_add_i32 s10, s11, -2
	s_cmp_lt_i32 s10, s9
	s_cbranch_scc1 .LBB31_4
; %bb.2:
	s_lshl_b32 s16, s12, 6
	s_ashr_i32 s17, s16, 31
	s_lshl_b64 s[16:17], s[16:17], 2
	s_add_u32 s10, s2, s16
	s_addc_u32 s13, s3, s17
	s_add_i32 s6, s6, 1
	s_load_dword s0, s[0:1], 0x0
	s_mul_i32 s1, s14, s6
	s_lshl_b32 s7, s7, 9
	s_lshl_b32 s14, s8, 8
	;; [unrolled: 1-line block ×3, first 2 shown]
	s_add_i32 s7, s14, s7
	s_lshl_b32 s1, s1, 4
	s_add_i32 s7, s7, s6
	s_add_i32 s1, s8, s1
	s_lshl_b32 s6, s12, 4
	s_add_i32 s1, s1, s6
	v_or_b32_e32 v0, s7, v0
	s_add_i32 s1, s1, s4
	s_add_i32 s11, s11, -1
	v_add_u32_e32 v3, 0xffffe000, v0
	s_sub_i32 s4, s1, 32
	s_waitcnt lgkmcnt(0)
	v_mov_b32_e32 v7, s5
	v_mov_b32_e32 v6, s0
	;; [unrolled: 1-line block ×3, first 2 shown]
	s_mov_b32 s6, 0x3fb8aa3b
	s_mov_b32 s7, 0xc2ce8ed0
	;; [unrolled: 1-line block ×3, first 2 shown]
	v_mov_b32_e32 v5, 0x7f800000
	s_mov_b32 s12, 0xc1a00000
.LBB31_3:                               ; =>This Inner Loop Header: Depth=1
	v_ashrrev_i32_e32 v4, 31, v3
	v_lshlrev_b64 v[9:10], 2, v[3:4]
	s_ashr_i32 s5, s4, 31
	v_add_co_u32_e32 v9, vcc, s10, v9
	v_addc_co_u32_e32 v10, vcc, v0, v10, vcc
	global_load_dword v4, v[9:10], off
	s_lshl_b64 s[0:1], s[4:5], 3
	s_add_u32 s0, s2, s0
	s_addc_u32 s1, s3, s1
	s_load_dwordx2 s[14:15], s[0:1], 0x0
	s_waitcnt vmcnt(1)
	v_mov_b32_e32 v9, v8
	v_max_f32_e32 v8, v6, v6
	v_mov_b32_e32 v10, v7
	s_add_i32 s11, s11, -1
	s_waitcnt lgkmcnt(0)
	v_max_f32_e64 v7, s14, s14
	v_max_f32_e32 v7, v8, v7
	v_sub_f32_e32 v11, s14, v7
	v_sub_f32_e32 v8, v6, v7
	v_mul_f32_e32 v12, 0x3fb8aa3b, v11
	v_mov_b32_e32 v6, v7
	v_mul_f32_e32 v7, 0x3fb8aa3b, v8
	v_fma_f32 v15, v11, s6, -v12
	v_rndne_f32_e32 v16, v12
	v_fma_f32 v13, v8, s6, -v7
	v_rndne_f32_e32 v14, v7
	v_fmac_f32_e32 v15, 0x32a5705f, v11
	v_sub_f32_e32 v12, v12, v16
	v_fmac_f32_e32 v13, 0x32a5705f, v8
	v_sub_f32_e32 v7, v7, v14
	v_add_f32_e32 v12, v12, v15
	v_cvt_i32_f32_e32 v16, v16
	v_add_f32_e32 v7, v7, v13
	v_exp_f32_e32 v12, v12
	v_cvt_i32_f32_e32 v14, v14
	v_exp_f32_e32 v7, v7
	v_cmp_ngt_f32_e32 vcc, s7, v11
	v_ldexp_f32 v12, v12, v16
	v_cmp_ngt_f32_e64 s[0:1], s7, v8
	v_ldexp_f32 v7, v7, v14
	v_cndmask_b32_e32 v12, 0, v12, vcc
	v_cmp_nlt_f32_e32 vcc, s8, v11
	v_cndmask_b32_e64 v7, 0, v7, s[0:1]
	v_cmp_nlt_f32_e64 s[0:1], s8, v8
	v_cndmask_b32_e32 v12, v5, v12, vcc
	v_cmp_le_f32_e32 vcc, s12, v11
	v_cndmask_b32_e64 v7, v5, v7, s[0:1]
	v_cmp_le_f32_e64 s[0:1], s12, v8
	v_cndmask_b32_e32 v8, 0, v12, vcc
	s_add_i32 s4, s4, -16
	v_cndmask_b32_e64 v11, 0, v7, s[0:1]
	v_mul_f32_e32 v7, s15, v8
	v_add_u32_e32 v3, 0xfffff000, v3
	s_cmp_le_i32 s11, s9
	v_fmac_f32_e32 v7, v10, v11
	s_waitcnt vmcnt(0)
	v_mul_f32_e32 v8, v4, v8
	v_fmac_f32_e32 v8, v9, v11
	s_cbranch_scc0 .LBB31_3
	s_branch .LBB31_5
.LBB31_4:
	s_waitcnt lgkmcnt(0)
	v_mov_b32_e32 v7, s5
.LBB31_5:
	s_waitcnt vmcnt(0)
	v_div_scale_f32 v0, s[0:1], v7, v7, v8
	v_div_scale_f32 v3, vcc, v8, v7, v8
	v_rcp_f32_e32 v4, v0
	v_fma_f32 v5, -v0, v4, 1.0
	v_fmac_f32_e32 v4, v5, v4
	v_mul_f32_e32 v5, v3, v4
	v_fma_f32 v6, -v0, v5, v3
	v_fmac_f32_e32 v5, v6, v4
	v_fma_f32 v0, -v0, v5, v3
	v_div_fmas_f32 v0, v0, v4, v5
	v_div_fixup_f32 v0, v0, v7, v8
	global_store_dword v[1:2], v0, off
.LBB31_6:
	s_endpgm
	.section	.rodata,"a",@progbits
	.p2align	6, 0x0
	.amdhsa_kernel _ZL33flash_attn_stream_k_fixup_uniformILi256ELi8ELi2EEvPfPK15HIP_vector_typeIfLj2EEiiiiiiS1_IjLj3EES5_S5_
		.amdhsa_group_segment_fixed_size 0
		.amdhsa_private_segment_fixed_size 0
		.amdhsa_kernarg_size 76
		.amdhsa_user_sgpr_count 6
		.amdhsa_user_sgpr_private_segment_buffer 1
		.amdhsa_user_sgpr_dispatch_ptr 0
		.amdhsa_user_sgpr_queue_ptr 0
		.amdhsa_user_sgpr_kernarg_segment_ptr 1
		.amdhsa_user_sgpr_dispatch_id 0
		.amdhsa_user_sgpr_flat_scratch_init 0
		.amdhsa_user_sgpr_private_segment_size 0
		.amdhsa_uses_dynamic_stack 0
		.amdhsa_system_sgpr_private_segment_wavefront_offset 0
		.amdhsa_system_sgpr_workgroup_id_x 1
		.amdhsa_system_sgpr_workgroup_id_y 1
		.amdhsa_system_sgpr_workgroup_id_z 1
		.amdhsa_system_sgpr_workgroup_info 0
		.amdhsa_system_vgpr_workitem_id 0
		.amdhsa_next_free_vgpr 17
		.amdhsa_next_free_sgpr 20
		.amdhsa_reserve_vcc 1
		.amdhsa_reserve_flat_scratch 0
		.amdhsa_float_round_mode_32 0
		.amdhsa_float_round_mode_16_64 0
		.amdhsa_float_denorm_mode_32 3
		.amdhsa_float_denorm_mode_16_64 3
		.amdhsa_dx10_clamp 1
		.amdhsa_ieee_mode 1
		.amdhsa_fp16_overflow 0
		.amdhsa_exception_fp_ieee_invalid_op 0
		.amdhsa_exception_fp_denorm_src 0
		.amdhsa_exception_fp_ieee_div_zero 0
		.amdhsa_exception_fp_ieee_overflow 0
		.amdhsa_exception_fp_ieee_underflow 0
		.amdhsa_exception_fp_ieee_inexact 0
		.amdhsa_exception_int_div_zero 0
	.end_amdhsa_kernel
	.section	.text._ZL33flash_attn_stream_k_fixup_uniformILi256ELi8ELi2EEvPfPK15HIP_vector_typeIfLj2EEiiiiiiS1_IjLj3EES5_S5_,"axG",@progbits,_ZL33flash_attn_stream_k_fixup_uniformILi256ELi8ELi2EEvPfPK15HIP_vector_typeIfLj2EEiiiiiiS1_IjLj3EES5_S5_,comdat
.Lfunc_end31:
	.size	_ZL33flash_attn_stream_k_fixup_uniformILi256ELi8ELi2EEvPfPK15HIP_vector_typeIfLj2EEiiiiiiS1_IjLj3EES5_S5_, .Lfunc_end31-_ZL33flash_attn_stream_k_fixup_uniformILi256ELi8ELi2EEvPfPK15HIP_vector_typeIfLj2EEiiiiiiS1_IjLj3EES5_S5_
                                        ; -- End function
	.set _ZL33flash_attn_stream_k_fixup_uniformILi256ELi8ELi2EEvPfPK15HIP_vector_typeIfLj2EEiiiiiiS1_IjLj3EES5_S5_.num_vgpr, 17
	.set _ZL33flash_attn_stream_k_fixup_uniformILi256ELi8ELi2EEvPfPK15HIP_vector_typeIfLj2EEiiiiiiS1_IjLj3EES5_S5_.num_agpr, 0
	.set _ZL33flash_attn_stream_k_fixup_uniformILi256ELi8ELi2EEvPfPK15HIP_vector_typeIfLj2EEiiiiiiS1_IjLj3EES5_S5_.numbered_sgpr, 20
	.set _ZL33flash_attn_stream_k_fixup_uniformILi256ELi8ELi2EEvPfPK15HIP_vector_typeIfLj2EEiiiiiiS1_IjLj3EES5_S5_.num_named_barrier, 0
	.set _ZL33flash_attn_stream_k_fixup_uniformILi256ELi8ELi2EEvPfPK15HIP_vector_typeIfLj2EEiiiiiiS1_IjLj3EES5_S5_.private_seg_size, 0
	.set _ZL33flash_attn_stream_k_fixup_uniformILi256ELi8ELi2EEvPfPK15HIP_vector_typeIfLj2EEiiiiiiS1_IjLj3EES5_S5_.uses_vcc, 1
	.set _ZL33flash_attn_stream_k_fixup_uniformILi256ELi8ELi2EEvPfPK15HIP_vector_typeIfLj2EEiiiiiiS1_IjLj3EES5_S5_.uses_flat_scratch, 0
	.set _ZL33flash_attn_stream_k_fixup_uniformILi256ELi8ELi2EEvPfPK15HIP_vector_typeIfLj2EEiiiiiiS1_IjLj3EES5_S5_.has_dyn_sized_stack, 0
	.set _ZL33flash_attn_stream_k_fixup_uniformILi256ELi8ELi2EEvPfPK15HIP_vector_typeIfLj2EEiiiiiiS1_IjLj3EES5_S5_.has_recursion, 0
	.set _ZL33flash_attn_stream_k_fixup_uniformILi256ELi8ELi2EEvPfPK15HIP_vector_typeIfLj2EEiiiiiiS1_IjLj3EES5_S5_.has_indirect_call, 0
	.section	.AMDGPU.csdata,"",@progbits
; Kernel info:
; codeLenInByte = 856
; TotalNumSgprs: 24
; NumVgprs: 17
; ScratchSize: 0
; MemoryBound: 0
; FloatMode: 240
; IeeeMode: 1
; LDSByteSize: 0 bytes/workgroup (compile time only)
; SGPRBlocks: 2
; VGPRBlocks: 4
; NumSGPRsForWavesPerEU: 24
; NumVGPRsForWavesPerEU: 17
; Occupancy: 10
; WaveLimiterHint : 0
; COMPUTE_PGM_RSRC2:SCRATCH_EN: 0
; COMPUTE_PGM_RSRC2:USER_SGPR: 6
; COMPUTE_PGM_RSRC2:TRAP_HANDLER: 0
; COMPUTE_PGM_RSRC2:TGID_X_EN: 1
; COMPUTE_PGM_RSRC2:TGID_Y_EN: 1
; COMPUTE_PGM_RSRC2:TGID_Z_EN: 1
; COMPUTE_PGM_RSRC2:TIDIG_COMP_CNT: 0
	.section	.text._ZL33flash_attn_stream_k_fixup_generalILi256ELi8ELi2EEvPfPK15HIP_vector_typeIfLj2EEiiiiS1_IjLj3EES5_S5_S5_,"axG",@progbits,_ZL33flash_attn_stream_k_fixup_generalILi256ELi8ELi2EEvPfPK15HIP_vector_typeIfLj2EEiiiiS1_IjLj3EES5_S5_S5_,comdat
	.globl	_ZL33flash_attn_stream_k_fixup_generalILi256ELi8ELi2EEvPfPK15HIP_vector_typeIfLj2EEiiiiS1_IjLj3EES5_S5_S5_ ; -- Begin function _ZL33flash_attn_stream_k_fixup_generalILi256ELi8ELi2EEvPfPK15HIP_vector_typeIfLj2EEiiiiS1_IjLj3EES5_S5_S5_
	.p2align	8
	.type	_ZL33flash_attn_stream_k_fixup_generalILi256ELi8ELi2EEvPfPK15HIP_vector_typeIfLj2EEiiiiS1_IjLj3EES5_S5_S5_,@function
_ZL33flash_attn_stream_k_fixup_generalILi256ELi8ELi2EEvPfPK15HIP_vector_typeIfLj2EEiiiiS1_IjLj3EES5_S5_S5_: ; @_ZL33flash_attn_stream_k_fixup_generalILi256ELi8ELi2EEvPfPK15HIP_vector_typeIfLj2EEiiiiS1_IjLj3EES5_S5_S5_
; %bb.0:
	s_load_dwordx4 s[0:3], s[4:5], 0x10
	s_load_dword s22, s[4:5], 0x50
	s_mov_b32 s12, 0
	s_waitcnt lgkmcnt(0)
	s_mul_hi_i32 s13, s3, s6
	s_cmp_lg_u64 s[12:13], 0
	s_mul_i32 s9, s3, s6
	s_cbranch_scc0 .LBB32_20
; %bb.1:
	s_add_u32 s10, s22, 0
	s_addc_u32 s11, 0, 0
	s_xor_b64 s[10:11], s[10:11], 0
	v_cvt_f32_u32_e32 v1, s10
	v_cvt_f32_u32_e32 v2, s11
	s_sub_u32 s12, 0, s10
	s_subb_u32 s18, 0, s11
	v_madmk_f32 v1, v2, 0x4f800000, v1
	v_rcp_f32_e32 v1, v1
	v_mul_f32_e32 v1, 0x5f7ffffc, v1
	v_mul_f32_e32 v2, 0x2f800000, v1
	v_trunc_f32_e32 v2, v2
	v_madmk_f32 v1, v2, 0xcf800000, v1
	v_cvt_u32_f32_e32 v2, v2
	v_cvt_u32_f32_e32 v1, v1
	v_readfirstlane_b32 s19, v2
	v_readfirstlane_b32 s14, v1
	s_mul_i32 s15, s12, s19
	s_mul_hi_u32 s21, s12, s14
	s_mul_i32 s20, s18, s14
	s_add_i32 s15, s21, s15
	s_add_i32 s15, s15, s20
	s_mul_i32 s23, s12, s14
	s_mul_i32 s21, s14, s15
	s_mul_hi_u32 s24, s14, s23
	s_mul_hi_u32 s20, s14, s15
	s_add_u32 s21, s24, s21
	s_addc_u32 s20, 0, s20
	s_mul_hi_u32 s25, s19, s23
	s_mul_i32 s23, s19, s23
	s_add_u32 s21, s21, s23
	s_mul_hi_u32 s24, s19, s15
	s_addc_u32 s20, s20, s25
	s_addc_u32 s21, s24, 0
	s_mul_i32 s15, s19, s15
	s_add_u32 s15, s20, s15
	s_addc_u32 s20, 0, s21
	s_add_u32 s21, s14, s15
	s_cselect_b64 s[14:15], -1, 0
	s_cmp_lg_u64 s[14:15], 0
	s_addc_u32 s19, s19, s20
	s_mul_i32 s14, s12, s19
	s_mul_hi_u32 s15, s12, s21
	s_add_i32 s14, s15, s14
	s_mul_i32 s18, s18, s21
	s_add_i32 s14, s14, s18
	s_mul_i32 s12, s12, s21
	s_mul_hi_u32 s18, s19, s12
	s_mul_i32 s20, s19, s12
	s_mul_i32 s24, s21, s14
	s_mul_hi_u32 s12, s21, s12
	s_mul_hi_u32 s23, s21, s14
	s_add_u32 s12, s12, s24
	s_addc_u32 s23, 0, s23
	s_add_u32 s12, s12, s20
	s_mul_hi_u32 s15, s19, s14
	s_addc_u32 s12, s23, s18
	s_addc_u32 s15, s15, 0
	s_mul_i32 s14, s19, s14
	s_add_u32 s12, s12, s14
	s_addc_u32 s18, 0, s15
	s_add_u32 s20, s21, s12
	s_cselect_b64 s[14:15], -1, 0
	s_cmp_lg_u64 s[14:15], 0
	s_addc_u32 s18, s19, s18
	s_ashr_i32 s14, s13, 31
	s_add_u32 s12, s9, s14
	s_mov_b32 s15, s14
	s_addc_u32 s13, s13, s14
	s_xor_b64 s[12:13], s[12:13], s[14:15]
	s_mul_i32 s21, s12, s18
	s_mul_hi_u32 s23, s12, s20
	s_mul_hi_u32 s19, s12, s18
	s_add_u32 s21, s23, s21
	s_addc_u32 s19, 0, s19
	s_mul_hi_u32 s24, s13, s20
	s_mul_i32 s20, s13, s20
	s_add_u32 s20, s21, s20
	s_mul_hi_u32 s23, s13, s18
	s_addc_u32 s19, s19, s24
	s_addc_u32 s20, s23, 0
	s_mul_i32 s18, s13, s18
	s_add_u32 s23, s19, s18
	s_addc_u32 s24, 0, s20
	s_mul_i32 s18, s10, s24
	s_mul_hi_u32 s19, s10, s23
	s_add_i32 s18, s19, s18
	s_mul_i32 s19, s11, s23
	s_add_i32 s25, s18, s19
	s_sub_i32 s20, s13, s25
	s_mul_i32 s18, s10, s23
	s_sub_u32 s12, s12, s18
	s_cselect_b64 s[18:19], -1, 0
	s_cmp_lg_u64 s[18:19], 0
	s_subb_u32 s26, s20, s11
	s_sub_u32 s27, s12, s10
	s_cselect_b64 s[20:21], -1, 0
	s_cmp_lg_u64 s[20:21], 0
	s_subb_u32 s20, s26, 0
	s_cmp_ge_u32 s20, s11
	s_cselect_b32 s21, -1, 0
	s_cmp_ge_u32 s27, s10
	s_cselect_b32 s26, -1, 0
	s_cmp_eq_u32 s20, s11
	s_cselect_b32 s20, s26, s21
	s_add_u32 s21, s23, 1
	s_addc_u32 s26, s24, 0
	s_add_u32 s27, s23, 2
	s_addc_u32 s28, s24, 0
	s_cmp_lg_u32 s20, 0
	s_cselect_b32 s20, s27, s21
	s_cselect_b32 s21, s28, s26
	s_cmp_lg_u64 s[18:19], 0
	s_subb_u32 s13, s13, s25
	s_cmp_ge_u32 s13, s11
	s_cselect_b32 s18, -1, 0
	s_cmp_ge_u32 s12, s10
	s_cselect_b32 s10, -1, 0
	s_cmp_eq_u32 s13, s11
	s_cselect_b32 s10, s10, s18
	s_cmp_lg_u32 s10, 0
	s_cselect_b32 s11, s21, s24
	s_cselect_b32 s10, s20, s23
	s_xor_b64 s[12:13], s[14:15], 0
	s_xor_b64 s[10:11], s[10:11], s[12:13]
	s_sub_u32 s10, s10, s12
	s_load_dwordx4 s[12:15], s[4:5], 0x44
	s_cbranch_execnz .LBB32_3
.LBB32_2:
	v_cvt_f32_u32_e32 v1, s22
	s_sub_i32 s10, 0, s22
	v_rcp_iflag_f32_e32 v1, v1
	v_mul_f32_e32 v1, 0x4f7ffffe, v1
	v_cvt_u32_f32_e32 v1, v1
	v_readfirstlane_b32 s11, v1
	s_mul_i32 s10, s10, s11
	s_mul_hi_u32 s10, s11, s10
	s_add_i32 s11, s11, s10
	s_mul_hi_u32 s10, s9, s11
	s_waitcnt lgkmcnt(0)
	s_mul_i32 s15, s10, s22
	s_sub_i32 s9, s9, s15
	s_add_i32 s11, s10, 1
	s_sub_i32 s15, s9, s22
	s_cmp_ge_u32 s9, s22
	s_cselect_b32 s10, s11, s10
	s_cselect_b32 s9, s15, s9
	s_add_i32 s11, s10, 1
	s_cmp_ge_u32 s9, s22
	s_cselect_b32 s10, s11, s10
.LBB32_3:
	s_add_i32 s9, s6, 1
	s_mul_hi_i32 s21, s3, s9
	s_mov_b32 s20, 0
	s_cmp_lg_u64 s[20:21], 0
	s_mul_i32 s9, s3, s9
	s_cbranch_scc0 .LBB32_21
; %bb.4:
	s_add_u32 s16, s22, 0
	s_addc_u32 s17, 0, 0
	s_xor_b64 s[18:19], s[16:17], 0
	v_cvt_f32_u32_e32 v1, s18
	v_cvt_f32_u32_e32 v2, s19
	s_sub_u32 s11, 0, s18
	s_waitcnt lgkmcnt(0)
	s_subb_u32 s15, 0, s19
	v_madmk_f32 v1, v2, 0x4f800000, v1
	v_rcp_f32_e32 v1, v1
	v_mul_f32_e32 v1, 0x5f7ffffc, v1
	v_mul_f32_e32 v2, 0x2f800000, v1
	v_trunc_f32_e32 v2, v2
	v_madmk_f32 v1, v2, 0xcf800000, v1
	v_cvt_u32_f32_e32 v2, v2
	v_cvt_u32_f32_e32 v1, v1
	v_readfirstlane_b32 s20, v2
	v_readfirstlane_b32 s23, v1
	s_mul_i32 s24, s11, s20
	s_mul_hi_u32 s26, s11, s23
	s_mul_i32 s25, s15, s23
	s_add_i32 s24, s26, s24
	s_add_i32 s24, s24, s25
	s_mul_i32 s27, s11, s23
	s_mul_i32 s26, s23, s24
	s_mul_hi_u32 s28, s23, s27
	s_mul_hi_u32 s25, s23, s24
	s_add_u32 s26, s28, s26
	s_addc_u32 s25, 0, s25
	s_mul_hi_u32 s29, s20, s27
	s_mul_i32 s27, s20, s27
	s_add_u32 s26, s26, s27
	s_mul_hi_u32 s28, s20, s24
	s_addc_u32 s25, s25, s29
	s_addc_u32 s26, s28, 0
	s_mul_i32 s24, s20, s24
	s_add_u32 s24, s25, s24
	s_addc_u32 s26, 0, s26
	s_add_u32 s23, s23, s24
	s_cselect_b64 s[24:25], -1, 0
	s_cmp_lg_u64 s[24:25], 0
	s_addc_u32 s20, s20, s26
	s_mul_i32 s24, s11, s20
	s_mul_hi_u32 s25, s11, s23
	s_add_i32 s24, s25, s24
	s_mul_i32 s15, s15, s23
	s_add_i32 s24, s24, s15
	s_mul_i32 s11, s11, s23
	s_mul_hi_u32 s25, s20, s11
	s_mul_i32 s26, s20, s11
	s_mul_i32 s28, s23, s24
	s_mul_hi_u32 s11, s23, s11
	s_mul_hi_u32 s27, s23, s24
	s_add_u32 s11, s11, s28
	s_addc_u32 s27, 0, s27
	s_add_u32 s11, s11, s26
	s_mul_hi_u32 s15, s20, s24
	s_addc_u32 s11, s27, s25
	s_addc_u32 s15, s15, 0
	s_mul_i32 s24, s20, s24
	s_add_u32 s11, s11, s24
	s_addc_u32 s15, 0, s15
	s_add_u32 s11, s23, s11
	s_cselect_b64 s[24:25], -1, 0
	s_cmp_lg_u64 s[24:25], 0
	s_addc_u32 s15, s20, s15
	s_ashr_i32 s24, s21, 31
	s_add_u32 s20, s9, s24
	s_mov_b32 s25, s24
	s_addc_u32 s21, s21, s24
	s_xor_b64 s[20:21], s[20:21], s[24:25]
	s_mul_i32 s26, s20, s15
	s_mul_hi_u32 s27, s20, s11
	s_mul_hi_u32 s23, s20, s15
	s_add_u32 s26, s27, s26
	s_addc_u32 s23, 0, s23
	s_mul_hi_u32 s28, s21, s11
	s_mul_i32 s11, s21, s11
	s_add_u32 s11, s26, s11
	s_mul_hi_u32 s27, s21, s15
	s_addc_u32 s11, s23, s28
	s_addc_u32 s23, s27, 0
	s_mul_i32 s15, s21, s15
	s_add_u32 s11, s11, s15
	s_addc_u32 s15, 0, s23
	s_mul_i32 s23, s18, s15
	s_mul_hi_u32 s26, s18, s11
	s_add_i32 s23, s26, s23
	s_mul_i32 s26, s19, s11
	s_add_i32 s23, s23, s26
	s_sub_i32 s28, s21, s23
	s_mul_i32 s26, s18, s11
	s_sub_u32 s20, s20, s26
	s_cselect_b64 s[26:27], -1, 0
	s_cmp_lg_u64 s[26:27], 0
	s_subb_u32 s30, s28, s19
	s_sub_u32 s31, s20, s18
	s_cselect_b64 s[28:29], -1, 0
	s_cmp_lg_u64 s[28:29], 0
	s_subb_u32 s28, s30, 0
	s_cmp_ge_u32 s28, s19
	s_cselect_b32 s29, -1, 0
	s_cmp_ge_u32 s31, s18
	s_cselect_b32 s30, -1, 0
	s_cmp_eq_u32 s28, s19
	s_cselect_b32 s28, s30, s29
	s_add_u32 s29, s11, 1
	s_addc_u32 s30, s15, 0
	s_add_u32 s31, s11, 2
	s_addc_u32 s33, s15, 0
	s_cmp_lg_u32 s28, 0
	s_cselect_b32 s28, s31, s29
	s_cselect_b32 s29, s33, s30
	s_cmp_lg_u64 s[26:27], 0
	s_subb_u32 s21, s21, s23
	s_cmp_ge_u32 s21, s19
	s_cselect_b32 s23, -1, 0
	s_cmp_ge_u32 s20, s18
	s_cselect_b32 s18, -1, 0
	s_cmp_eq_u32 s21, s19
	s_cselect_b32 s18, s18, s23
	s_cmp_lg_u32 s18, 0
	s_cselect_b32 s19, s29, s15
	s_cselect_b32 s18, s28, s11
	s_xor_b64 s[20:21], s[24:25], 0
	s_xor_b64 s[18:19], s[18:19], s[20:21]
	s_sub_u32 s18, s18, s20
	s_cbranch_execnz .LBB32_6
.LBB32_5:
	v_cvt_f32_u32_e32 v1, s22
	s_sub_i32 s11, 0, s22
	v_rcp_iflag_f32_e32 v1, v1
	v_mul_f32_e32 v1, 0x4f7ffffe, v1
	v_cvt_u32_f32_e32 v1, v1
	s_waitcnt lgkmcnt(0)
	v_readfirstlane_b32 s15, v1
	s_mul_i32 s11, s11, s15
	s_mul_hi_u32 s11, s15, s11
	s_add_i32 s15, s15, s11
	s_mul_hi_u32 s11, s9, s15
	s_mul_i32 s16, s11, s22
	s_sub_i32 s9, s9, s16
	s_add_i32 s15, s11, 1
	s_sub_i32 s16, s9, s22
	s_cmp_ge_u32 s9, s22
	s_cselect_b32 s11, s15, s11
	s_cselect_b32 s9, s16, s9
	s_add_i32 s15, s11, 1
	s_cmp_ge_u32 s9, s22
	s_cselect_b32 s18, s15, s11
.LBB32_6:
	s_cmp_eq_u32 s10, s18
	s_waitcnt lgkmcnt(0)
	s_mul_hi_u32 s9, s10, s12
	s_cselect_b64 s[16:17], -1, 0
	s_add_i32 s9, s9, s10
	s_lshr_b32 s11, s9, s13
	s_mul_i32 s9, s11, s14
	s_cmp_eq_u32 s9, s10
	s_mul_hi_u32 s9, s18, s12
	s_cselect_b64 s[20:21], -1, 0
	s_add_i32 s9, s9, s18
	s_lshr_b32 s9, s9, s13
	s_cmp_eq_u32 s11, s9
	s_mul_i32 s9, s9, s14
	s_cselect_b64 s[24:25], -1, 0
	s_cmp_lg_u32 s9, s18
	s_cselect_b64 s[18:19], -1, 0
	s_and_b64 s[18:19], s[24:25], s[18:19]
	s_or_b64 s[16:17], s[16:17], s[20:21]
	s_or_b64 s[16:17], s[16:17], s[18:19]
	s_and_b64 vcc, exec, s[16:17]
	s_cbranch_vccnz .LBB32_23
; %bb.7:
	s_load_dwordx8 s[24:31], s[4:5], 0x20
	s_load_dword s15, s[4:5], 0x40
	s_waitcnt lgkmcnt(0)
	s_mul_hi_u32 s9, s10, s24
	s_add_i32 s9, s9, s10
	s_lshr_b32 s9, s9, s25
	s_mul_i32 s16, s9, s26
	s_sub_i32 s16, s10, s16
	s_mul_hi_u32 s17, s16, s27
	s_add_i32 s17, s16, s17
	s_lshr_b32 s23, s17, s28
	s_mul_i32 s17, s23, s29
	s_sub_i32 s16, s16, s17
	;; [unrolled: 5-line block ×3, first 2 shown]
	s_mul_hi_u32 s16, s15, s12
	s_add_i32 s15, s15, s16
	s_lshr_b32 s25, s15, s13
	s_lshl_b32 s15, s25, 3
	s_lshl_b32 s24, s17, 1
	s_add_i32 s15, s15, s7
	s_cmp_lt_i32 s15, s0
	s_cselect_b64 s[16:17], -1, 0
	s_add_i32 s15, s24, s8
	s_cmp_lt_i32 s15, s2
	s_cselect_b64 s[18:19], -1, 0
	s_and_b64 s[16:17], s[16:17], s[18:19]
	s_andn2_b64 vcc, exec, s[16:17]
	s_cbranch_vccnz .LBB32_23
; %bb.8:
	s_load_dwordx4 s[16:19], s[4:5], 0x0
	s_mov_b32 s4, 0
	s_lshl_b32 s15, s7, 1
	s_lshl_b32 s20, s22, 6
	s_mov_b32 s21, s4
	s_add_i32 s15, s15, s8
	s_lshl_b64 s[20:21], s[20:21], 2
	s_waitcnt lgkmcnt(0)
	s_add_u32 s20, s18, s20
	s_mul_i32 s0, s9, s0
	s_addc_u32 s21, s19, s21
	s_add_i32 s0, s0, s7
	s_mul_i32 s0, s0, s1
	s_mul_i32 s23, s23, s2
	s_add_i32 s0, s0, s8
	s_add_i32 s0, s0, s23
	s_mul_i32 s2, s1, s25
	s_add_i32 s0, s0, s24
	s_lshl_b32 s2, s2, 11
	s_lshl_b32 s0, s0, 8
	s_add_i32 s2, s2, s0
	v_or_b32_e32 v1, s2, v0
	v_ashrrev_i32_e32 v2, 31, v1
	v_lshlrev_b64 v[1:2], 2, v[1:2]
	v_mov_b32_e32 v3, s17
	v_add_co_u32_e32 v1, vcc, s16, v1
	v_addc_co_u32_e32 v2, vcc, v3, v2, vcc
	global_load_dword v3, v[1:2], off
	v_cvt_f32_u32_e32 v4, s22
	s_lshl_b32 s0, s6, 4
	s_add_i32 s0, s15, s0
	s_ashr_i32 s1, s0, 31
	s_lshl_b64 s[0:1], s[0:1], 3
	v_rcp_iflag_f32_e32 v4, v4
	s_add_u32 s0, s18, s0
	s_addc_u32 s1, s19, s1
	s_load_dwordx2 s[0:1], s[0:1], 0x0
	v_mul_f32_e32 v4, 0x4f7ffffe, v4
	v_cvt_u32_f32_e32 v4, v4
	s_add_i32 s24, s6, -1
	v_lshl_or_b32 v0, s15, 8, v0
	s_waitcnt lgkmcnt(0)
	v_mov_b32_e32 v6, s1
	v_mov_b32_e32 v7, s0
	s_mov_b32 s2, 0x3fb8aa3b
	s_mov_b32 s16, 0xc2ce8ed0
	;; [unrolled: 1-line block ×4, first 2 shown]
	v_mov_b32_e32 v5, 0x7f800000
	s_mul_hi_i32 s5, s24, s3
	s_cmp_lg_u64 s[4:5], 0
	s_mul_i32 s8, s24, s3
	s_cbranch_scc0 .LBB32_19
.LBB32_9:
	s_add_u32 s0, s22, 0
	s_addc_u32 s1, 0, 0
	s_xor_b64 s[0:1], s[0:1], 0
	v_cvt_f32_u32_e32 v8, s0
	v_cvt_f32_u32_e32 v9, s1
	s_sub_u32 s9, 0, s0
	s_subb_u32 s25, 0, s1
	v_mac_f32_e32 v8, 0x4f800000, v9
	v_rcp_f32_e32 v8, v8
	v_mul_f32_e32 v8, 0x5f7ffffc, v8
	v_mul_f32_e32 v9, 0x2f800000, v8
	v_trunc_f32_e32 v9, v9
	v_mac_f32_e32 v8, 0xcf800000, v9
	v_cvt_u32_f32_e32 v9, v9
	v_cvt_u32_f32_e32 v8, v8
	v_readfirstlane_b32 s26, v9
	v_readfirstlane_b32 s6, v8
	s_mul_i32 s7, s9, s26
	s_mul_hi_u32 s28, s9, s6
	s_mul_i32 s27, s25, s6
	s_add_i32 s7, s28, s7
	s_mul_i32 s29, s9, s6
	s_add_i32 s7, s7, s27
	s_mul_i32 s28, s6, s7
	s_mul_hi_u32 s30, s6, s29
	s_mul_hi_u32 s27, s6, s7
	s_add_u32 s28, s30, s28
	s_addc_u32 s27, 0, s27
	s_mul_hi_u32 s31, s26, s29
	s_mul_i32 s29, s26, s29
	s_add_u32 s28, s28, s29
	s_mul_hi_u32 s30, s26, s7
	s_addc_u32 s27, s27, s31
	s_addc_u32 s28, s30, 0
	s_mul_i32 s7, s26, s7
	s_add_u32 s7, s27, s7
	s_addc_u32 s27, 0, s28
	s_add_u32 s28, s6, s7
	s_cselect_b64 s[6:7], -1, 0
	s_cmp_lg_u64 s[6:7], 0
	s_addc_u32 s26, s26, s27
	s_mul_i32 s6, s9, s26
	s_mul_hi_u32 s7, s9, s28
	s_add_i32 s6, s7, s6
	s_mul_i32 s25, s25, s28
	s_add_i32 s6, s6, s25
	s_mul_i32 s9, s9, s28
	s_mul_hi_u32 s25, s26, s9
	s_mul_i32 s27, s26, s9
	s_mul_i32 s30, s28, s6
	s_mul_hi_u32 s9, s28, s9
	s_mul_hi_u32 s29, s28, s6
	s_add_u32 s9, s9, s30
	s_addc_u32 s29, 0, s29
	s_add_u32 s9, s9, s27
	s_mul_hi_u32 s7, s26, s6
	s_addc_u32 s9, s29, s25
	s_addc_u32 s7, s7, 0
	s_mul_i32 s6, s26, s6
	s_add_u32 s6, s9, s6
	s_addc_u32 s9, 0, s7
	s_add_u32 s25, s28, s6
	s_cselect_b64 s[6:7], -1, 0
	s_cmp_lg_u64 s[6:7], 0
	s_addc_u32 s9, s26, s9
	s_ashr_i32 s6, s5, 31
	s_add_u32 s26, s8, s6
	s_mov_b32 s7, s6
	s_addc_u32 s27, s5, s6
	s_xor_b64 s[26:27], s[26:27], s[6:7]
	s_mul_i32 s28, s26, s9
	s_mul_hi_u32 s29, s26, s25
	s_mul_hi_u32 s5, s26, s9
	s_add_u32 s28, s29, s28
	s_addc_u32 s5, 0, s5
	s_mul_hi_u32 s30, s27, s25
	s_mul_i32 s25, s27, s25
	s_add_u32 s25, s28, s25
	s_mul_hi_u32 s29, s27, s9
	s_addc_u32 s5, s5, s30
	s_addc_u32 s25, s29, 0
	s_mul_i32 s9, s27, s9
	s_add_u32 s5, s5, s9
	s_addc_u32 s9, 0, s25
	s_mul_i32 s25, s0, s9
	s_mul_hi_u32 s28, s0, s5
	s_add_i32 s25, s28, s25
	s_mul_i32 s28, s1, s5
	s_add_i32 s25, s25, s28
	s_sub_i32 s30, s27, s25
	s_mul_i32 s28, s0, s5
	s_sub_u32 s26, s26, s28
	s_cselect_b64 s[28:29], -1, 0
	s_cmp_lg_u64 s[28:29], 0
	s_subb_u32 s33, s30, s1
	s_sub_u32 s34, s26, s0
	s_cselect_b64 s[30:31], -1, 0
	s_cmp_lg_u64 s[30:31], 0
	s_subb_u32 s30, s33, 0
	s_cmp_ge_u32 s30, s1
	s_cselect_b32 s31, -1, 0
	s_cmp_ge_u32 s34, s0
	s_cselect_b32 s33, -1, 0
	s_cmp_eq_u32 s30, s1
	s_cselect_b32 s30, s33, s31
	s_add_u32 s31, s5, 1
	s_addc_u32 s33, s9, 0
	s_add_u32 s34, s5, 2
	s_addc_u32 s35, s9, 0
	s_cmp_lg_u32 s30, 0
	s_cselect_b32 s30, s34, s31
	s_cselect_b32 s31, s35, s33
	s_cmp_lg_u64 s[28:29], 0
	s_subb_u32 s25, s27, s25
	s_cmp_ge_u32 s25, s1
	s_cselect_b32 s27, -1, 0
	s_cmp_ge_u32 s26, s0
	s_cselect_b32 s0, -1, 0
	s_cmp_eq_u32 s25, s1
	s_cselect_b32 s0, s0, s27
	s_cmp_lg_u32 s0, 0
	s_cselect_b32 s1, s31, s9
	s_cselect_b32 s0, s30, s5
	s_xor_b64 s[6:7], s[6:7], 0
	s_xor_b64 s[0:1], s[0:1], s[6:7]
	s_sub_u32 s6, s0, s6
	s_cbranch_execnz .LBB32_11
.LBB32_10:
	s_sub_i32 s0, 0, s22
	v_readfirstlane_b32 s1, v4
	s_mul_i32 s0, s0, s1
	s_mul_hi_u32 s0, s1, s0
	s_add_i32 s1, s1, s0
	s_mul_hi_u32 s0, s8, s1
	s_mul_i32 s5, s0, s22
	s_sub_i32 s5, s8, s5
	s_add_i32 s1, s0, 1
	s_sub_i32 s6, s5, s22
	s_cmp_ge_u32 s5, s22
	s_cselect_b32 s0, s1, s0
	s_cselect_b32 s5, s6, s5
	s_add_i32 s1, s0, 1
	s_cmp_ge_u32 s5, s22
	s_cselect_b32 s6, s1, s0
.LBB32_11:
	s_cmp_lg_u32 s10, s6
	s_mov_b64 s[8:9], -1
                                        ; implicit-def: $sgpr0_sgpr1
                                        ; implicit-def: $vgpr10
                                        ; implicit-def: $vgpr8
                                        ; implicit-def: $vgpr9
                                        ; implicit-def: $sgpr5
                                        ; implicit-def: $sgpr7
	s_cbranch_scc1 .LBB32_14
; %bb.12:
	s_andn2_b64 vcc, exec, s[8:9]
	s_cbranch_vccz .LBB32_17
.LBB32_13:
	s_andn2_b64 vcc, exec, s[0:1]
	s_cbranch_vccnz .LBB32_18
	s_branch .LBB32_22
.LBB32_14:
	s_add_i32 s0, s24, s22
	s_lshl_b32 s0, s0, 4
	s_add_i32 s0, s0, s15
	s_mov_b32 s1, s4
	s_lshl_b64 s[0:1], s[0:1], 3
	s_add_u32 s8, s18, s0
	s_mul_hi_u32 s0, s6, s12
	s_addc_u32 s9, s19, s1
	s_add_i32 s0, s0, s6
	s_lshr_b32 s5, s0, s13
	s_mul_i32 s0, s5, s14
	s_cmp_eq_u32 s0, s6
	s_cselect_b64 s[0:1], -1, 0
	s_cmp_lt_u32 s5, s11
	s_cselect_b64 s[26:27], -1, 0
	s_or_b64 s[26:27], s[26:27], s[0:1]
	s_mov_b64 s[0:1], -1
	s_and_b64 vcc, exec, s[26:27]
	s_mov_b32 s5, s24
	s_mov_b32 s7, s10
	s_cbranch_vccnz .LBB32_16
; %bb.15:
	s_add_i32 s5, s24, -1
	s_mov_b64 s[0:1], 0
	s_mov_b32 s7, s6
.LBB32_16:
	v_lshl_add_u32 v8, s24, 12, v0
	v_ashrrev_i32_e32 v9, 31, v8
	v_lshlrev_b64 v[8:9], 2, v[8:9]
	v_mov_b32_e32 v10, s21
	v_add_co_u32_e32 v8, vcc, s20, v8
	v_addc_co_u32_e32 v9, vcc, v10, v9, vcc
	global_load_dword v10, v[8:9], off
	s_load_dwordx2 s[8:9], s[8:9], 0x0
	v_max_f32_e32 v8, v7, v7
	s_waitcnt lgkmcnt(0)
	v_max_f32_e64 v9, s8, s8
	v_max_f32_e32 v8, v8, v9
	v_sub_f32_e32 v9, v7, v8
	v_sub_f32_e32 v11, s8, v8
	v_mul_f32_e32 v12, 0x3fb8aa3b, v9
	v_mul_f32_e32 v13, 0x3fb8aa3b, v11
	v_fma_f32 v14, v9, s2, -v12
	v_rndne_f32_e32 v15, v12
	v_fma_f32 v16, v11, s2, -v13
	v_rndne_f32_e32 v17, v13
	v_fmac_f32_e32 v14, 0x32a5705f, v9
	v_sub_f32_e32 v12, v12, v15
	v_fmac_f32_e32 v16, 0x32a5705f, v11
	v_sub_f32_e32 v13, v13, v17
	v_add_f32_e32 v12, v12, v14
	v_cvt_i32_f32_e32 v15, v15
	v_add_f32_e32 v13, v13, v16
	v_exp_f32_e32 v12, v12
	v_cvt_i32_f32_e32 v17, v17
	v_exp_f32_e32 v13, v13
	v_cmp_ngt_f32_e32 vcc, s16, v9
	v_ldexp_f32 v12, v12, v15
	v_cndmask_b32_e32 v12, 0, v12, vcc
	v_ldexp_f32 v13, v13, v17
	v_cmp_ngt_f32_e32 vcc, s16, v11
	v_cndmask_b32_e32 v13, 0, v13, vcc
	v_cmp_nlt_f32_e32 vcc, s17, v9
	v_cndmask_b32_e32 v12, v5, v12, vcc
	v_cmp_nlt_f32_e32 vcc, s17, v11
	v_cndmask_b32_e32 v13, v5, v13, vcc
	v_cmp_le_f32_e32 vcc, s23, v9
	v_cndmask_b32_e32 v12, 0, v12, vcc
	v_cmp_le_f32_e32 vcc, s23, v11
	v_cndmask_b32_e32 v11, 0, v13, vcc
	v_mul_f32_e32 v9, s9, v11
	v_fmac_f32_e32 v9, v6, v12
	s_waitcnt vmcnt(0)
	v_mul_f32_e32 v10, v10, v11
	v_fmac_f32_e32 v10, v3, v12
	s_cbranch_execnz .LBB32_13
.LBB32_17:
	s_add_i32 s5, s24, -1
	s_mov_b32 s7, s10
	v_mov_b32_e32 v9, v6
	v_mov_b32_e32 v8, v7
	s_waitcnt vmcnt(0)
	v_mov_b32_e32 v10, v3
	s_cbranch_execz .LBB32_22
.LBB32_18:
	s_mov_b32 s10, s7
	s_mov_b32 s24, s5
	v_mov_b32_e32 v6, v9
	v_mov_b32_e32 v7, v8
	s_waitcnt vmcnt(0)
	v_mov_b32_e32 v3, v10
	s_mul_hi_i32 s5, s24, s3
	s_cmp_lg_u64 s[4:5], 0
	s_mul_i32 s8, s24, s3
	s_cbranch_scc1 .LBB32_9
.LBB32_19:
                                        ; implicit-def: $sgpr6_sgpr7
	s_branch .LBB32_10
.LBB32_20:
                                        ; implicit-def: $sgpr10_sgpr11
	s_load_dwordx4 s[12:15], s[4:5], 0x44
	s_branch .LBB32_2
.LBB32_21:
                                        ; implicit-def: $sgpr18_sgpr19
	s_branch .LBB32_5
.LBB32_22:
	v_div_scale_f32 v0, s[0:1], v9, v9, v10
	s_waitcnt vmcnt(0)
	v_div_scale_f32 v3, vcc, v10, v9, v10
	v_rcp_f32_e32 v4, v0
	v_fma_f32 v5, -v0, v4, 1.0
	v_fmac_f32_e32 v4, v5, v4
	v_mul_f32_e32 v5, v3, v4
	v_fma_f32 v6, -v0, v5, v3
	v_fmac_f32_e32 v5, v6, v4
	v_fma_f32 v0, -v0, v5, v3
	v_div_fmas_f32 v0, v0, v4, v5
	v_div_fixup_f32 v0, v0, v9, v10
	global_store_dword v[1:2], v0, off
.LBB32_23:
	s_endpgm
	.section	.rodata,"a",@progbits
	.p2align	6, 0x0
	.amdhsa_kernel _ZL33flash_attn_stream_k_fixup_generalILi256ELi8ELi2EEvPfPK15HIP_vector_typeIfLj2EEiiiiS1_IjLj3EES5_S5_S5_
		.amdhsa_group_segment_fixed_size 0
		.amdhsa_private_segment_fixed_size 0
		.amdhsa_kernarg_size 336
		.amdhsa_user_sgpr_count 6
		.amdhsa_user_sgpr_private_segment_buffer 1
		.amdhsa_user_sgpr_dispatch_ptr 0
		.amdhsa_user_sgpr_queue_ptr 0
		.amdhsa_user_sgpr_kernarg_segment_ptr 1
		.amdhsa_user_sgpr_dispatch_id 0
		.amdhsa_user_sgpr_flat_scratch_init 0
		.amdhsa_user_sgpr_private_segment_size 0
		.amdhsa_uses_dynamic_stack 0
		.amdhsa_system_sgpr_private_segment_wavefront_offset 0
		.amdhsa_system_sgpr_workgroup_id_x 1
		.amdhsa_system_sgpr_workgroup_id_y 1
		.amdhsa_system_sgpr_workgroup_id_z 1
		.amdhsa_system_sgpr_workgroup_info 0
		.amdhsa_system_vgpr_workitem_id 0
		.amdhsa_next_free_vgpr 18
		.amdhsa_next_free_sgpr 36
		.amdhsa_reserve_vcc 1
		.amdhsa_reserve_flat_scratch 0
		.amdhsa_float_round_mode_32 0
		.amdhsa_float_round_mode_16_64 0
		.amdhsa_float_denorm_mode_32 3
		.amdhsa_float_denorm_mode_16_64 3
		.amdhsa_dx10_clamp 1
		.amdhsa_ieee_mode 1
		.amdhsa_fp16_overflow 0
		.amdhsa_exception_fp_ieee_invalid_op 0
		.amdhsa_exception_fp_denorm_src 0
		.amdhsa_exception_fp_ieee_div_zero 0
		.amdhsa_exception_fp_ieee_overflow 0
		.amdhsa_exception_fp_ieee_underflow 0
		.amdhsa_exception_fp_ieee_inexact 0
		.amdhsa_exception_int_div_zero 0
	.end_amdhsa_kernel
	.section	.text._ZL33flash_attn_stream_k_fixup_generalILi256ELi8ELi2EEvPfPK15HIP_vector_typeIfLj2EEiiiiS1_IjLj3EES5_S5_S5_,"axG",@progbits,_ZL33flash_attn_stream_k_fixup_generalILi256ELi8ELi2EEvPfPK15HIP_vector_typeIfLj2EEiiiiS1_IjLj3EES5_S5_S5_,comdat
.Lfunc_end32:
	.size	_ZL33flash_attn_stream_k_fixup_generalILi256ELi8ELi2EEvPfPK15HIP_vector_typeIfLj2EEiiiiS1_IjLj3EES5_S5_S5_, .Lfunc_end32-_ZL33flash_attn_stream_k_fixup_generalILi256ELi8ELi2EEvPfPK15HIP_vector_typeIfLj2EEiiiiS1_IjLj3EES5_S5_S5_
                                        ; -- End function
	.set _ZL33flash_attn_stream_k_fixup_generalILi256ELi8ELi2EEvPfPK15HIP_vector_typeIfLj2EEiiiiS1_IjLj3EES5_S5_S5_.num_vgpr, 18
	.set _ZL33flash_attn_stream_k_fixup_generalILi256ELi8ELi2EEvPfPK15HIP_vector_typeIfLj2EEiiiiS1_IjLj3EES5_S5_S5_.num_agpr, 0
	.set _ZL33flash_attn_stream_k_fixup_generalILi256ELi8ELi2EEvPfPK15HIP_vector_typeIfLj2EEiiiiS1_IjLj3EES5_S5_S5_.numbered_sgpr, 36
	.set _ZL33flash_attn_stream_k_fixup_generalILi256ELi8ELi2EEvPfPK15HIP_vector_typeIfLj2EEiiiiS1_IjLj3EES5_S5_S5_.num_named_barrier, 0
	.set _ZL33flash_attn_stream_k_fixup_generalILi256ELi8ELi2EEvPfPK15HIP_vector_typeIfLj2EEiiiiS1_IjLj3EES5_S5_S5_.private_seg_size, 0
	.set _ZL33flash_attn_stream_k_fixup_generalILi256ELi8ELi2EEvPfPK15HIP_vector_typeIfLj2EEiiiiS1_IjLj3EES5_S5_S5_.uses_vcc, 1
	.set _ZL33flash_attn_stream_k_fixup_generalILi256ELi8ELi2EEvPfPK15HIP_vector_typeIfLj2EEiiiiS1_IjLj3EES5_S5_S5_.uses_flat_scratch, 0
	.set _ZL33flash_attn_stream_k_fixup_generalILi256ELi8ELi2EEvPfPK15HIP_vector_typeIfLj2EEiiiiS1_IjLj3EES5_S5_S5_.has_dyn_sized_stack, 0
	.set _ZL33flash_attn_stream_k_fixup_generalILi256ELi8ELi2EEvPfPK15HIP_vector_typeIfLj2EEiiiiS1_IjLj3EES5_S5_S5_.has_recursion, 0
	.set _ZL33flash_attn_stream_k_fixup_generalILi256ELi8ELi2EEvPfPK15HIP_vector_typeIfLj2EEiiiiS1_IjLj3EES5_S5_S5_.has_indirect_call, 0
	.section	.AMDGPU.csdata,"",@progbits
; Kernel info:
; codeLenInByte = 2940
; TotalNumSgprs: 40
; NumVgprs: 18
; ScratchSize: 0
; MemoryBound: 0
; FloatMode: 240
; IeeeMode: 1
; LDSByteSize: 0 bytes/workgroup (compile time only)
; SGPRBlocks: 4
; VGPRBlocks: 4
; NumSGPRsForWavesPerEU: 40
; NumVGPRsForWavesPerEU: 18
; Occupancy: 10
; WaveLimiterHint : 0
; COMPUTE_PGM_RSRC2:SCRATCH_EN: 0
; COMPUTE_PGM_RSRC2:USER_SGPR: 6
; COMPUTE_PGM_RSRC2:TRAP_HANDLER: 0
; COMPUTE_PGM_RSRC2:TGID_X_EN: 1
; COMPUTE_PGM_RSRC2:TGID_Y_EN: 1
; COMPUTE_PGM_RSRC2:TGID_Z_EN: 1
; COMPUTE_PGM_RSRC2:TIDIG_COMP_CNT: 0
	.section	.text._ZL15flash_attn_tileILi256ELi256ELi4ELi2ELb0EEvPKcS1_S1_S1_S1_PKiPfP15HIP_vector_typeIfLj2EEffffjfiS5_IjLj3EEiiiiiiiiiiiliiliiiiil,"axG",@progbits,_ZL15flash_attn_tileILi256ELi256ELi4ELi2ELb0EEvPKcS1_S1_S1_S1_PKiPfP15HIP_vector_typeIfLj2EEffffjfiS5_IjLj3EEiiiiiiiiiiiliiliiiiil,comdat
	.globl	_ZL15flash_attn_tileILi256ELi256ELi4ELi2ELb0EEvPKcS1_S1_S1_S1_PKiPfP15HIP_vector_typeIfLj2EEffffjfiS5_IjLj3EEiiiiiiiiiiiliiliiiiil ; -- Begin function _ZL15flash_attn_tileILi256ELi256ELi4ELi2ELb0EEvPKcS1_S1_S1_S1_PKiPfP15HIP_vector_typeIfLj2EEffffjfiS5_IjLj3EEiiiiiiiiiiiliiliiiiil
	.p2align	8
	.type	_ZL15flash_attn_tileILi256ELi256ELi4ELi2ELb0EEvPKcS1_S1_S1_S1_PKiPfP15HIP_vector_typeIfLj2EEffffjfiS5_IjLj3EEiiiiiiiiiiiliiliiiiil,@function
_ZL15flash_attn_tileILi256ELi256ELi4ELi2ELb0EEvPKcS1_S1_S1_S1_PKiPfP15HIP_vector_typeIfLj2EEffffjfiS5_IjLj3EEiiiiiiiiiiiliiliiiiil: ; @_ZL15flash_attn_tileILi256ELi256ELi4ELi2ELb0EEvPKcS1_S1_S1_S1_PKiPfP15HIP_vector_typeIfLj2EEffffjfiS5_IjLj3EEiiiiiiiiiiiliiliiiiil
; %bb.0:
	s_load_dwordx4 s[24:27], s[4:5], 0x5c
	s_load_dwordx2 s[28:29], s[4:5], 0x80
	s_load_dwordx2 s[34:35], s[4:5], 0xb8
	s_mov_b64 s[30:31], 0
	s_waitcnt lgkmcnt(0)
	s_lshr_b32 s0, s27, 31
	s_add_i32 s0, s27, s0
	s_ashr_i32 s0, s0, 1
	v_cvt_f32_u32_e32 v2, s0
	s_sub_i32 s1, 0, s0
	v_rcp_iflag_f32_e32 v2, v2
	v_mul_f32_e32 v2, 0x4f7ffffe, v2
	v_cvt_u32_f32_e32 v2, v2
	v_readfirstlane_b32 s2, v2
	s_mul_i32 s1, s1, s2
	s_mul_hi_u32 s1, s2, s1
	s_add_i32 s2, s2, s1
	s_mul_hi_u32 s1, s8, s2
	s_mul_i32 s2, s1, s0
	s_sub_i32 s2, s8, s2
	s_add_i32 s3, s1, 1
	s_sub_i32 s9, s2, s0
	s_cmp_ge_u32 s2, s0
	s_cselect_b32 s1, s3, s1
	s_cselect_b32 s2, s9, s2
	s_add_i32 s3, s1, 1
	s_cmp_ge_u32 s2, s0
	s_cselect_b32 s33, s3, s1
	s_abs_i32 s0, s29
	v_cvt_f32_u32_e32 v2, s0
	s_lshl_b32 s1, s8, 1
	s_mul_i32 s8, s33, s27
	s_xor_b32 s2, s27, s29
	v_rcp_iflag_f32_e32 v2, v2
	s_sub_i32 s9, 0, s0
	s_sub_i32 s29, s1, s8
	s_abs_i32 s3, s27
	v_mul_f32_e32 v2, 0x4f7ffffe, v2
	v_cvt_u32_f32_e32 v2, v2
	s_ashr_i32 s2, s2, 31
	v_readfirstlane_b32 s1, v2
	s_mul_i32 s9, s9, s1
	s_mul_hi_u32 s8, s1, s9
	s_add_i32 s1, s1, s8
	s_mul_hi_u32 s1, s3, s1
	s_mul_i32 s8, s1, s0
	s_sub_i32 s3, s3, s8
	s_add_i32 s9, s1, 1
	s_sub_i32 s8, s3, s0
	s_cmp_ge_u32 s3, s0
	s_cselect_b32 s1, s9, s1
	s_cselect_b32 s3, s8, s3
	s_add_i32 s8, s1, 1
	s_cmp_ge_u32 s3, s0
	s_cselect_b32 s0, s8, s1
	s_xor_b32 s0, s0, s2
	s_sub_i32 s37, s0, s2
	s_abs_i32 s36, s37
	v_cvt_f32_u32_e32 v2, s36
	s_load_dwordx16 s[8:23], s[4:5], 0x0
	v_rcp_iflag_f32_e32 v2, v2
	s_waitcnt lgkmcnt(0)
	s_cmp_eq_u64 s[14:15], 0
	v_mul_f32_e32 v2, 0x4f7ffffe, v2
	v_cvt_u32_f32_e32 v2, v2
	v_readfirstlane_b32 s38, v2
	s_cbranch_scc1 .LBB33_2
; %bb.1:
	s_abs_i32 s2, s34
	v_cvt_f32_u32_e32 v2, s2
	s_sub_i32 s31, 0, s2
	s_abs_i32 s30, s33
	s_ashr_i32 s3, s33, 31
	v_rcp_iflag_f32_e32 v2, v2
	s_load_dwordx2 s[0:1], s[4:5], 0xc8
	v_mul_f32_e32 v2, 0x4f7ffffe, v2
	v_cvt_u32_f32_e32 v2, v2
	v_readfirstlane_b32 s34, v2
	s_mul_i32 s31, s31, s34
	s_mul_hi_u32 s31, s34, s31
	s_add_i32 s34, s34, s31
	s_mul_hi_u32 s31, s30, s34
	s_mul_i32 s31, s31, s2
	s_sub_i32 s30, s30, s31
	s_sub_i32 s31, s30, s2
	s_cmp_ge_u32 s30, s2
	s_cselect_b32 s30, s31, s30
	s_sub_i32 s31, s30, s2
	s_cmp_ge_u32 s30, s2
	s_cselect_b32 s2, s31, s30
	s_xor_b32 s2, s2, s3
	s_sub_i32 s2, s2, s3
	s_ashr_i32 s3, s2, 31
	s_waitcnt lgkmcnt(0)
	s_mul_hi_u32 s30, s0, s2
	s_mul_i32 s3, s0, s3
	s_mul_i32 s1, s1, s2
	s_add_i32 s3, s30, s3
	s_add_i32 s3, s3, s1
	s_mul_i32 s0, s0, s2
	s_add_u32 s30, s14, s0
	s_addc_u32 s31, s15, s3
.LBB33_2:
	v_lshrrev_b32_e32 v2, 1, v1
	s_load_dwordx4 s[0:3], s[4:5], 0x70
	v_lshl_add_u32 v45, s6, 2, v2
	v_mul_hi_u32 v2, s24, v45
	v_and_b32_e32 v44, 1, v1
	v_lshlrev_b32_e32 v47, 3, v0
	s_waitcnt lgkmcnt(0)
	s_mul_i32 s2, s33, s2
	v_add_u32_e32 v2, v45, v2
	s_ashr_i32 s14, s2, 31
	v_lshrrev_b32_e32 v2, s25, v2
	s_mul_i32 s3, s29, s1
	s_add_u32 s2, s8, s2
	v_mul_lo_u32 v2, v2, s26
	s_addc_u32 s8, s9, s14
	s_ashr_i32 s9, s3, 31
	s_add_u32 s14, s2, s3
	s_addc_u32 s15, s8, s9
	s_ashr_i32 s3, s1, 31
	s_mov_b32 s2, s1
	s_ashr_i32 s1, s0, 31
	v_sub_u32_e32 v2, v45, v2
	s_lshr_b64 s[8:9], s[0:1], 2
	v_mad_u64_u32 v[3:4], s[8:9], s8, v2, 0
	s_lshr_b32 s0, s3, 2
	v_mul_lo_u32 v6, s0, v44
	s_lshr_b32 s0, s1, 2
	s_lshr_b64 s[8:9], s[2:3], 2
	v_mad_u64_u32 v[4:5], s[0:1], s0, v2, v[4:5]
	v_mul_lo_u32 v5, s8, v44
	v_mov_b32_e32 v7, s15
	v_lshlrev_b64 v[3:4], 2, v[3:4]
	s_load_dword s0, s[4:5], 0x40
	v_lshlrev_b64 v[5:6], 2, v[5:6]
	s_cmp_eq_u64 s[18:19], 0
	v_add_co_u32_e32 v5, vcc, s14, v5
	v_addc_co_u32_e32 v6, vcc, v7, v6, vcc
	v_add_co_u32_e32 v3, vcc, v5, v3
	v_addc_co_u32_e32 v4, vcc, v6, v4, vcc
	v_lshlrev_b32_e32 v5, 4, v0
	v_add_co_u32_e32 v12, vcc, v3, v5
	v_addc_co_u32_e32 v13, vcc, 0, v4, vcc
	global_load_dwordx4 v[4:7], v[12:13], off
	global_load_dwordx4 v[8:11], v[12:13], off offset:512
	v_lshlrev_b32_e32 v3, 9, v1
	v_add_u32_e32 v48, 0x4400, v3
	v_add_u32_e32 v12, v48, v47
	s_waitcnt vmcnt(1) lgkmcnt(0)
	v_fma_mixlo_f16 v4, s0, v4, 0
	v_fma_mixlo_f16 v5, s0, v5, 0
	;; [unrolled: 1-line block ×4, first 2 shown]
	s_waitcnt vmcnt(0)
	v_fma_mixlo_f16 v8, s0, v8, 0
	v_fma_mixlo_f16 v9, s0, v9, 0
	v_fma_mixlo_f16 v10, s0, v10, 0
	v_fma_mixlo_f16 v11, s0, v11, 0
	v_lshlrev_b32_e32 v5, 16, v5
	v_and_b32_e32 v4, 0xffff, v4
	v_lshlrev_b32_e32 v7, 16, v7
	v_and_b32_e32 v6, 0xffff, v6
	;; [unrolled: 2-line block ×4, first 2 shown]
	v_or_b32_e32 v4, v5, v4
	v_or3_b32 v5, v7, v6, 0
	v_or_b32_e32 v6, v9, v8
	v_or3_b32 v7, v11, v10, 0
	v_or3_b32 v4, 0, 0, v4
	;; [unrolled: 1-line block ×3, first 2 shown]
	ds_write2_b64 v12, v[4:5], v[6:7] offset1:32
	s_waitcnt lgkmcnt(0)
	s_barrier
	s_cbranch_scc1 .LBB33_4
; %bb.3:
	s_load_dword s0, s[4:5], 0xd0
	s_mov_b32 s1, 0
	s_waitcnt lgkmcnt(0)
	s_mul_i32 s0, s0, s33
	s_add_i32 s0, s0, s6
	s_lshl_b64 s[0:1], s[0:1], 2
	s_add_u32 s0, s18, s0
	s_addc_u32 s1, s19, s1
	s_load_dword s28, s[0:1], 0x0
.LBB33_4:
	s_lshl_b32 s6, s7, 6
	v_lshlrev_b32_e32 v17, 2, v0
	s_waitcnt lgkmcnt(0)
	s_cmp_lt_i32 s6, s28
	v_mbcnt_lo_u32_b32 v4, -1, 0
	s_cbranch_scc1 .LBB33_7
; %bb.5:
	v_mbcnt_hi_u32_b32 v49, -1, v4
	v_and_b32_e32 v5, 0x60, v49
	v_add_u32_e32 v50, 32, v5
	v_xor_b32_e32 v55, 16, v49
	v_xor_b32_e32 v54, 8, v49
	v_xor_b32_e32 v53, 4, v49
	v_xor_b32_e32 v52, 2, v49
	v_xor_b32_e32 v51, 1, v49
	s_cbranch_execz .LBB33_8
; %bb.6:
	v_mov_b32_e32 v80, 0
	v_mov_b32_e32 v31, 0
	v_mov_b32_e32 v30, 0xfeffffff
	v_mov_b32_e32 v81, 0
	v_mov_b32_e32 v79, 0
	v_mov_b32_e32 v78, 0
	s_branch .LBB33_11
.LBB33_7:
                                        ; implicit-def: $vgpr49
                                        ; implicit-def: $vgpr50
                                        ; implicit-def: $vgpr55
                                        ; implicit-def: $vgpr54
                                        ; implicit-def: $vgpr53
                                        ; implicit-def: $vgpr52
                                        ; implicit-def: $vgpr51
.LBB33_8:
	s_sub_i32 s0, 0, s36
	s_mul_i32 s0, s0, s38
	s_mul_hi_u32 s0, s38, s0
	s_add_i32 s38, s38, s0
	s_load_dwordx2 s[8:9], s[4:5], 0x8c
	s_load_dwordx4 s[0:3], s[4:5], 0x98
	s_abs_i32 s18, s29
	s_mul_hi_u32 s19, s18, s38
	s_ashr_i32 s34, s29, 31
	s_waitcnt lgkmcnt(0)
	s_ashr_i32 s15, s8, 2
	s_ashr_i32 s8, s33, 31
	;; [unrolled: 1-line block ×4, first 2 shown]
	s_mul_hi_u32 s35, s0, s33
	s_mul_i32 s38, s0, s8
	s_add_i32 s35, s35, s38
	s_mul_i32 s1, s1, s33
	s_ashr_i32 s37, s37, 31
	s_add_i32 s35, s35, s1
	s_mul_i32 s0, s0, s33
	s_add_u32 s0, s10, s0
	s_addc_u32 s1, s11, s35
	s_mul_i32 s11, s19, s36
	s_sub_i32 s11, s18, s11
	s_xor_b32 s10, s34, s37
	s_add_i32 s18, s19, 1
	s_sub_i32 s34, s11, s36
	s_cmp_ge_u32 s11, s36
	s_cselect_b32 s18, s18, s19
	s_cselect_b32 s11, s34, s11
	s_add_i32 s19, s18, 1
	s_cmp_ge_u32 s11, s36
	s_cselect_b32 s11, s19, s18
	s_load_dwordx2 s[24:25], s[4:5], 0xa8
	s_xor_b32 s11, s11, s10
	s_sub_i32 s10, s11, s10
	s_mul_i32 s9, s10, s9
	s_ashr_i32 s11, s9, 31
	s_add_u32 s18, s0, s9
	s_addc_u32 s19, s1, s11
	s_waitcnt lgkmcnt(0)
	s_mul_hi_u32 s0, s24, s33
	s_mul_i32 s1, s24, s8
	s_add_i32 s0, s0, s1
	s_mul_i32 s1, s25, s33
	s_add_i32 s0, s0, s1
	s_mul_i32 s1, s24, s33
	v_lshrrev_b32_e32 v5, 4, v0
	s_add_u32 s1, s12, s1
	s_mul_i32 s10, s10, s3
	v_lshl_add_u32 v6, v1, 1, v5
	s_addc_u32 s0, s13, s0
	s_ashr_i32 s3, s10, 31
	v_mul_lo_u32 v5, s15, v6
	s_add_u32 s12, s1, s10
	v_and_b32_e32 v16, 60, v17
	s_addc_u32 s13, s0, s3
	v_lshlrev_b32_e32 v7, 2, v16
	s_movk_i32 s0, 0x110
	v_mad_u32_u24 v56, v6, s0, v7
	s_lshl_b32 s0, s15, 4
	v_add_u32_e32 v7, s0, v5
	v_add_u32_e32 v9, s0, v7
	;; [unrolled: 1-line block ×3, first 2 shown]
	v_mad_u64_u32 v[13:14], s[0:1], v2, s2, v[0:1]
	v_mov_b32_e32 v2, 0x5400
	v_lshl_add_u32 v61, v1, 7, v2
	v_mul_lo_u32 v2, s14, v1
	s_lshl_b32 s0, s14, 3
	v_lshlrev_b32_e32 v63, 2, v17
	v_ashrrev_i32_e32 v6, 31, v5
	v_add_u32_e32 v24, s0, v2
	v_add_u32_e32 v26, s0, v24
	;; [unrolled: 1-line block ×3, first 2 shown]
	v_ashrrev_i32_e32 v8, 31, v7
	v_ashrrev_i32_e32 v10, 31, v9
	;; [unrolled: 1-line block ×3, first 2 shown]
	v_add_u32_e32 v64, v3, v63
	v_ashrrev_i32_e32 v3, 31, v2
	v_lshl_add_u32 v1, v1, 9, v63
	v_ashrrev_i32_e32 v25, 31, v24
	v_ashrrev_i32_e32 v27, 31, v26
	;; [unrolled: 1-line block ×3, first 2 shown]
	v_mbcnt_hi_u32_b32 v49, -1, v4
	v_add_u32_e32 v65, 0x1000, v1
	v_add_u32_e32 v66, 0x2000, v1
	;; [unrolled: 1-line block ×3, first 2 shown]
	s_add_u32 s10, s4, 0xd0
	v_lshlrev_b64 v[14:15], 2, v[5:6]
	v_lshlrev_b32_e32 v68, 2, v16
	v_lshlrev_b64 v[16:17], 2, v[7:8]
	v_lshlrev_b64 v[18:19], 2, v[9:10]
	;; [unrolled: 1-line block ×3, first 2 shown]
	v_and_b32_e32 v1, 0x60, v49
	v_lshlrev_b64 v[22:23], 2, v[2:3]
	v_lshlrev_b64 v[24:25], 2, v[24:25]
	;; [unrolled: 1-line block ×4, first 2 shown]
	v_mov_b32_e32 v78, 0
	v_add_u32_e32 v57, 0x1100, v56
	v_add_u32_e32 v58, 0x2200, v56
	;; [unrolled: 1-line block ×3, first 2 shown]
	v_mul_u32_u24_e32 v60, 0x110, v0
	v_lshl_add_u32 v62, v0, 1, v61
	s_addc_u32 s11, s5, 0
	v_mov_b32_e32 v30, 0xfeffffff
	v_add_u32_e32 v50, 32, v1
	v_xor_b32_e32 v55, 16, v49
	v_xor_b32_e32 v54, 8, v49
	;; [unrolled: 1-line block ×5, first 2 shown]
	v_mov_b32_e32 v69, s31
	s_mov_b32 s24, 0x3fb8aa3b
	s_mov_b32 s25, 0xc2ce8ed0
	;; [unrolled: 1-line block ×3, first 2 shown]
	v_mov_b32_e32 v70, 0x7f800000
	s_mov_b32 s34, 0x10001
	v_add_u32_e32 v71, 0x800, v47
	v_add_u32_e32 v72, 0x1000, v47
	;; [unrolled: 1-line block ×7, first 2 shown]
	v_mov_b32_e32 v79, 0
	v_mov_b32_e32 v81, 0
	;; [unrolled: 1-line block ×4, first 2 shown]
.LBB33_9:                               ; =>This Inner Loop Header: Depth=1
	v_cmp_lt_i32_e32 vcc, v55, v50
	v_cndmask_b32_e32 v3, v49, v55, vcc
	v_cmp_lt_i32_e32 vcc, v54, v50
	s_mul_hi_i32 s1, s6, s15
	s_mul_i32 s0, s6, s15
	v_add_u32_e32 v1, s6, v13
	v_cndmask_b32_e32 v4, v49, v54, vcc
	v_cmp_lt_i32_e32 vcc, v53, v50
	v_cndmask_b32_e32 v5, v49, v53, vcc
	v_cmp_lt_i32_e32 vcc, v52, v50
	s_lshl_b64 s[0:1], s[0:1], 2
	v_ashrrev_i32_e32 v2, 31, v1
	v_cndmask_b32_e32 v6, v49, v52, vcc
	v_cmp_lt_i32_e32 vcc, v51, v50
	s_add_u32 s38, s18, s0
	v_lshlrev_b64 v[1:2], 1, v[1:2]
	v_cndmask_b32_e32 v7, v49, v51, vcc
	s_addc_u32 s8, s19, s1
	v_lshlrev_b32_e32 v89, 2, v4
	v_lshlrev_b32_e32 v88, 2, v5
	;; [unrolled: 1-line block ×3, first 2 shown]
	v_mov_b32_e32 v4, s8
	v_mov_b32_e32 v5, s8
	;; [unrolled: 1-line block ×4, first 2 shown]
	v_add_co_u32_e64 v1, s[8:9], s30, v1
	v_addc_co_u32_e64 v2, s[8:9], v69, v2, s[8:9]
	s_mul_hi_i32 s3, s6, s14
	s_mul_i32 s2, s6, s14
	v_lshlrev_b32_e32 v90, 2, v3
	v_lshlrev_b32_e32 v87, 2, v6
	v_add_co_u32_e32 v6, vcc, s38, v16
	v_add_co_u32_e64 v3, s[8:9], s38, v14
	s_lshl_b64 s[36:37], s[2:3], 2
	v_add_co_u32_e64 v8, s[0:1], s38, v18
	v_add_co_u32_e64 v10, s[2:3], s38, v20
	v_addc_co_u32_e64 v4, s[8:9], v4, v15, s[8:9]
	v_addc_co_u32_e32 v5, vcc, v5, v17, vcc
	v_add_co_u32_e32 v11, vcc, v6, v68
	v_addc_co_u32_e64 v6, s[0:1], v7, v19, s[0:1]
	v_addc_co_u32_e64 v7, s[2:3], v9, v21, s[2:3]
	v_add_co_u32_e64 v42, s[8:9], v3, v68
	v_mov_b32_e32 v82, v30
	v_add_co_u32_e64 v30, s[0:1], v8, v68
	v_add_co_u32_e64 v32, s[2:3], v10, v68
	v_addc_co_u32_e64 v43, s[8:9], 0, v4, s[8:9]
	v_mov_b32_e32 v85, v31
	v_addc_co_u32_e32 v12, vcc, 0, v5, vcc
	v_addc_co_u32_e64 v31, vcc, 0, v6, s[0:1]
	v_addc_co_u32_e64 v33, vcc, 0, v7, s[2:3]
	global_load_dwordx4 v[91:94], v[42:43], off
	global_load_dwordx4 v[95:98], v[11:12], off
	;; [unrolled: 1-line block ×4, first 2 shown]
	v_mov_b32_e32 v83, 0
	v_mov_b32_e32 v84, 0
	s_add_u32 s35, s12, s36
	s_addc_u32 s36, s13, s37
	v_mov_b32_e32 v3, s36
	v_add_co_u32_e32 v4, vcc, s35, v22
	v_mov_b32_e32 v5, s36
	v_add_co_u32_e64 v6, s[0:1], s35, v24
	v_mov_b32_e32 v7, s36
	v_add_co_u32_e64 v8, s[2:3], s35, v26
	;; [unrolled: 2-line block ×3, first 2 shown]
	v_addc_co_u32_e32 v3, vcc, v3, v23, vcc
	v_addc_co_u32_e64 v5, vcc, v5, v25, s[0:1]
	v_add_co_u32_e32 v34, vcc, v6, v63
	v_addc_co_u32_e64 v6, s[0:1], v7, v27, s[2:3]
	s_waitcnt vmcnt(3)
	ds_write_b128 v56, v[91:94]
	s_waitcnt vmcnt(2)
	ds_write_b128 v57, v[95:98]
	;; [unrolled: 2-line block ×4, first 2 shown]
	s_waitcnt lgkmcnt(0)
	s_barrier
	ds_read_b128 v[91:94], v60
	ds_read_b128 v[95:98], v48
	ds_read_b128 v[99:102], v60 offset:8704
	s_waitcnt lgkmcnt(1)
	;;#ASMSTART
	v_dot2_f32_f16 v83, v91, v95, v83
	;;#ASMEND
	;;#ASMSTART
	v_dot2_f32_f16 v83, v92, v96, v83
	;;#ASMEND
	;;#ASMSTART
	v_dot2_f32_f16 v83, v93, v97, v83
	;;#ASMEND
	;;#ASMSTART
	v_dot2_f32_f16 v83, v94, v98, v83
	;;#ASMEND
	s_waitcnt lgkmcnt(0)
	;;#ASMSTART
	v_dot2_f32_f16 v84, v99, v95, v84
	;;#ASMEND
	;;#ASMSTART
	v_dot2_f32_f16 v84, v100, v96, v84
	;;#ASMEND
	;;#ASMSTART
	v_dot2_f32_f16 v84, v101, v97, v84
	;;#ASMEND
	;;#ASMSTART
	v_dot2_f32_f16 v84, v102, v98, v84
	;;#ASMEND
	ds_read_b128 v[91:94], v60 offset:16
	ds_read_b128 v[95:98], v48 offset:16
	ds_read_b128 v[99:102], v60 offset:8720
	s_waitcnt lgkmcnt(1)
	;;#ASMSTART
	v_dot2_f32_f16 v83, v91, v95, v83
	;;#ASMEND
	;;#ASMSTART
	v_dot2_f32_f16 v83, v92, v96, v83
	;;#ASMEND
	;;#ASMSTART
	v_dot2_f32_f16 v83, v93, v97, v83
	;;#ASMEND
	;;#ASMSTART
	v_dot2_f32_f16 v83, v94, v98, v83
	;;#ASMEND
	s_waitcnt lgkmcnt(0)
	;;#ASMSTART
	v_dot2_f32_f16 v84, v99, v95, v84
	;;#ASMEND
	;;#ASMSTART
	v_dot2_f32_f16 v84, v100, v96, v84
	;;#ASMEND
	;;#ASMSTART
	v_dot2_f32_f16 v84, v101, v97, v84
	;;#ASMEND
	;;#ASMSTART
	v_dot2_f32_f16 v84, v102, v98, v84
	;;#ASMEND
	ds_read_b128 v[91:94], v60 offset:32
	ds_read_b128 v[95:98], v48 offset:32
	;; [unrolled: 29-line block ×15, first 2 shown]
	ds_read_b128 v[99:102], v60 offset:8944
	s_waitcnt lgkmcnt(1)
	;;#ASMSTART
	v_dot2_f32_f16 v83, v91, v95, v83
	;;#ASMEND
	;;#ASMSTART
	v_dot2_f32_f16 v83, v92, v96, v83
	;;#ASMEND
	;; [unrolled: 3-line block ×4, first 2 shown]
	s_waitcnt lgkmcnt(0)
	;;#ASMSTART
	v_dot2_f32_f16 v84, v99, v95, v84
	;;#ASMEND
	;;#ASMSTART
	v_dot2_f32_f16 v84, v100, v96, v84
	;;#ASMEND
	;; [unrolled: 3-line block ×4, first 2 shown]
	s_barrier
	global_load_dwordx4 v[91:94], v[42:43], off offset:256
	global_load_dwordx4 v[95:98], v[11:12], off offset:256
	;; [unrolled: 1-line block ×3, first 2 shown]
	s_nop 0
	global_load_dwordx4 v[30:33], v[32:33], off offset:256
	s_waitcnt vmcnt(3)
	ds_write_b128 v56, v[91:94]
	s_waitcnt vmcnt(2)
	ds_write_b128 v57, v[95:98]
	;; [unrolled: 2-line block ×4, first 2 shown]
	s_waitcnt lgkmcnt(0)
	s_barrier
	ds_read_b128 v[30:33], v60
	ds_read_b128 v[91:94], v48 offset:256
	ds_read_b128 v[95:98], v60 offset:8704
	s_waitcnt lgkmcnt(1)
	;;#ASMSTART
	v_dot2_f32_f16 v83, v30, v91, v83
	;;#ASMEND
	;;#ASMSTART
	v_dot2_f32_f16 v83, v31, v92, v83
	;;#ASMEND
	;;#ASMSTART
	v_dot2_f32_f16 v83, v32, v93, v83
	;;#ASMEND
	;;#ASMSTART
	v_dot2_f32_f16 v83, v33, v94, v83
	;;#ASMEND
	s_waitcnt lgkmcnt(0)
	;;#ASMSTART
	v_dot2_f32_f16 v84, v95, v91, v84
	;;#ASMEND
	;;#ASMSTART
	v_dot2_f32_f16 v84, v96, v92, v84
	;;#ASMEND
	;;#ASMSTART
	v_dot2_f32_f16 v84, v97, v93, v84
	;;#ASMEND
	;;#ASMSTART
	v_dot2_f32_f16 v84, v98, v94, v84
	;;#ASMEND
	ds_read_b128 v[30:33], v60 offset:16
	ds_read_b128 v[91:94], v48 offset:272
	ds_read_b128 v[95:98], v60 offset:8720
	s_waitcnt lgkmcnt(1)
	;;#ASMSTART
	v_dot2_f32_f16 v83, v30, v91, v83
	;;#ASMEND
	;;#ASMSTART
	v_dot2_f32_f16 v83, v31, v92, v83
	;;#ASMEND
	;;#ASMSTART
	v_dot2_f32_f16 v83, v32, v93, v83
	;;#ASMEND
	;;#ASMSTART
	v_dot2_f32_f16 v83, v33, v94, v83
	;;#ASMEND
	s_waitcnt lgkmcnt(0)
	;;#ASMSTART
	v_dot2_f32_f16 v84, v95, v91, v84
	;;#ASMEND
	;;#ASMSTART
	v_dot2_f32_f16 v84, v96, v92, v84
	;;#ASMEND
	;;#ASMSTART
	v_dot2_f32_f16 v84, v97, v93, v84
	;;#ASMEND
	;;#ASMSTART
	v_dot2_f32_f16 v84, v98, v94, v84
	;;#ASMEND
	ds_read_b128 v[30:33], v60 offset:32
	;; [unrolled: 29-line block ×15, first 2 shown]
	ds_read_b128 v[91:94], v48 offset:496
	ds_read_b128 v[95:98], v60 offset:8944
	s_waitcnt lgkmcnt(1)
	;;#ASMSTART
	v_dot2_f32_f16 v83, v30, v91, v83
	;;#ASMEND
	;;#ASMSTART
	v_dot2_f32_f16 v83, v31, v92, v83
	;;#ASMEND
	;; [unrolled: 3-line block ×4, first 2 shown]
	s_waitcnt lgkmcnt(0)
	;;#ASMSTART
	v_dot2_f32_f16 v84, v95, v91, v84
	;;#ASMEND
	;;#ASMSTART
	v_dot2_f32_f16 v84, v96, v92, v84
	;;#ASMEND
	;; [unrolled: 3-line block ×4, first 2 shown]
	global_load_ushort v11, v[1:2], off
	s_nop 0
	global_load_ushort v1, v[1:2], off offset:64
	v_addc_co_u32_e64 v7, s[2:3], v9, v29, s[8:9]
	v_add_co_u32_e64 v36, s[0:1], v8, v63
	v_add_co_u32_e64 v38, s[2:3], v10, v63
	;; [unrolled: 1-line block ×3, first 2 shown]
	v_addc_co_u32_e64 v41, s[8:9], 0, v3, s[8:9]
	v_addc_co_u32_e32 v35, vcc, 0, v5, vcc
	v_addc_co_u32_e64 v37, vcc, 0, v6, s[0:1]
	v_addc_co_u32_e64 v39, vcc, 0, v7, s[2:3]
	s_waitcnt vmcnt(0)
	s_barrier
	global_load_dwordx4 v[40:43], v[40:41], off
	s_nop 0
	global_load_dwordx4 v[32:35], v[34:35], off
	s_nop 0
	;; [unrolled: 2-line block ×3, first 2 shown]
	global_load_dwordx4 v[36:39], v[38:39], off
	s_or_b32 s38, s6, 32
	s_mul_hi_i32 s37, s38, s14
	s_mul_i32 s36, s38, s14
	s_lshl_b64 s[36:37], s[36:37], 2
	s_add_u32 s8, s12, s36
	s_addc_u32 s2, s13, s37
	v_mov_b32_e32 v3, s2
	v_mov_b32_e32 v4, s2
	v_add_co_u32_e32 v5, vcc, s8, v24
	v_mov_b32_e32 v6, s2
	v_add_co_u32_e64 v7, s[0:1], s8, v26
	v_mov_b32_e32 v8, s2
	v_add_co_u32_e64 v9, s[2:3], s8, v28
	v_add_co_u32_e64 v10, s[8:9], s8, v22
	v_addc_co_u32_e32 v4, vcc, v4, v25, vcc
	v_addc_co_u32_e64 v108, s[0:1], v6, v27, s[0:1]
	v_addc_co_u32_e64 v109, s[2:3], v8, v29, s[2:3]
	;; [unrolled: 1-line block ×3, first 2 shown]
	v_add_co_u32_e32 v5, vcc, v5, v63
	v_add_co_u32_e64 v7, s[0:1], v7, v63
	v_add_co_u32_e64 v3, s[2:3], v9, v63
	v_addc_co_u32_e32 v6, vcc, 0, v4, vcc
	v_addc_co_u32_e64 v8, vcc, 0, v108, s[0:1]
	v_addc_co_u32_e64 v4, vcc, 0, v109, s[2:3]
	v_add_co_u32_e64 v9, s[8:9], v10, v63
	v_addc_co_u32_e64 v10, s[8:9], 0, v107, s[8:9]
	v_cvt_f32_f16_e32 v2, v11
	v_cvt_f32_f16_e32 v1, v1
	v_add_f32_e32 v2, v83, v2
	v_add_f32_e32 v1, v84, v1
	;; [unrolled: 1-line block ×4, first 2 shown]
	v_max3_f32 v11, v82, v11, v12
	ds_bpermute_b32 v12, v90, v11
	s_waitcnt lgkmcnt(0)
	v_max_f32_e32 v12, v12, v12
	v_max_f32_e32 v11, v11, v12
	ds_bpermute_b32 v12, v89, v11
	s_waitcnt lgkmcnt(0)
	v_max_f32_e32 v12, v12, v12
	v_max_f32_e32 v11, v11, v12
	;; [unrolled: 4-line block ×5, first 2 shown]
	v_sub_f32_e32 v11, v82, v30
	v_sub_f32_e32 v2, v2, v30
	;; [unrolled: 1-line block ×3, first 2 shown]
	v_mul_f32_e32 v12, 0x3fb8aa3b, v2
	v_mul_f32_e32 v31, 0x3fb8aa3b, v1
	;; [unrolled: 1-line block ×3, first 2 shown]
	v_fma_f32 v83, v2, s24, -v12
	v_rndne_f32_e32 v84, v12
	v_fma_f32 v86, v1, s24, -v31
	v_rndne_f32_e32 v87, v31
	;; [unrolled: 2-line block ×3, first 2 shown]
	v_fmac_f32_e32 v83, 0x32a5705f, v2
	v_sub_f32_e32 v12, v12, v84
	v_fmac_f32_e32 v86, 0x32a5705f, v1
	v_sub_f32_e32 v31, v31, v87
	;; [unrolled: 2-line block ×3, first 2 shown]
	v_add_f32_e32 v12, v12, v83
	v_add_f32_e32 v31, v31, v86
	v_add_f32_e32 v82, v82, v88
	v_cvt_i32_f32_e32 v84, v84
	v_cvt_i32_f32_e32 v87, v87
	;; [unrolled: 1-line block ×3, first 2 shown]
	v_exp_f32_e32 v12, v12
	v_exp_f32_e32 v31, v31
	;; [unrolled: 1-line block ×3, first 2 shown]
	v_cmp_ngt_f32_e32 vcc, s25, v1
	v_ldexp_f32 v12, v12, v84
	v_ldexp_f32 v31, v31, v87
	;; [unrolled: 1-line block ×3, first 2 shown]
	v_cmp_ngt_f32_e64 s[0:1], s25, v11
	v_cmp_ngt_f32_e64 s[2:3], s25, v2
	v_cndmask_b32_e64 v12, 0, v12, s[2:3]
	v_cndmask_b32_e32 v31, 0, v31, vcc
	v_cmp_nlt_f32_e32 vcc, s31, v1
	v_cndmask_b32_e64 v1, 0, v82, s[0:1]
	v_cmp_nlt_f32_e64 s[0:1], s31, v11
	v_cmp_nlt_f32_e64 s[2:3], s31, v2
	v_cndmask_b32_e64 v2, v70, v12, s[2:3]
	v_cndmask_b32_e32 v11, v70, v31, vcc
	v_cndmask_b32_e64 v1, v70, v1, s[0:1]
	v_cvt_f16_f32_e32 v12, v2
	v_add_f32_e32 v31, v2, v11
	v_cvt_f16_f32_e32 v2, v1
	v_cvt_f16_f32_e32 v11, v11
	v_fmac_f32_e32 v31, v85, v1
	ds_write_b16 v62, v12
	ds_write_b16 v62, v11 offset:64
	s_waitcnt vmcnt(3)
	ds_write_b128 v64, v[40:43]
	s_waitcnt vmcnt(2)
	ds_write_b128 v65, v[32:35]
	;; [unrolled: 2-line block ×4, first 2 shown]
	v_mul_u32_u24_e32 v1, 0x10001, v2
	s_waitcnt lgkmcnt(0)
	s_barrier
	ds_read2_b64 v[32:35], v47 offset1:32
	ds_read_b128 v[36:39], v61
	ds_read_b128 v[40:43], v61 offset:16
	ds_read_b128 v[82:85], v61 offset:32
	;; [unrolled: 1-line block ×3, first 2 shown]
	ds_read2_b64 v[90:93], v47 offset0:64 offset1:96
	ds_read2_b64 v[94:97], v47 offset0:128 offset1:160
	ds_read2_b64 v[98:101], v47 offset0:192 offset1:224
	ds_read2_b64 v[102:105], v71 offset1:32
	ds_read2_b64 v[106:109], v71 offset0:64 offset1:96
	ds_read2_b64 v[110:113], v71 offset0:128 offset1:160
	;; [unrolled: 1-line block ×3, first 2 shown]
	ds_read2_b64 v[118:121], v72 offset1:32
	ds_read2_b64 v[122:125], v72 offset0:64 offset1:96
	s_waitcnt lgkmcnt(12)
	v_mul_u32_u24_sdwa v12, v36, s34 dst_sel:DWORD dst_unused:UNUSED_PAD src0_sel:WORD_0 src1_sel:DWORD
	v_pk_mul_f16 v2, v79, v1
	v_pk_mul_f16 v11, v78, v1
	;; [unrolled: 1-line block ×4, first 2 shown]
	v_pk_fma_f16 v2, v34, v12, v2
	v_pk_fma_f16 v11, v35, v12, v11
	v_mul_u32_u24_sdwa v12, v36, s34 dst_sel:DWORD dst_unused:UNUSED_PAD src0_sel:WORD_1 src1_sel:DWORD
	v_pk_fma_f16 v36, v80, v1, v78
	v_pk_fma_f16 v1, v81, v1, v79
	s_waitcnt lgkmcnt(8)
	v_pk_fma_f16 v2, v92, v12, v2
	v_pk_fma_f16 v11, v93, v12, v11
	v_pk_fma_f16 v36, v90, v12, v36
	v_pk_fma_f16 v1, v91, v12, v1
	v_mul_u32_u24_sdwa v12, v37, s34 dst_sel:DWORD dst_unused:UNUSED_PAD src0_sel:WORD_0 src1_sel:DWORD
	s_waitcnt lgkmcnt(7)
	v_pk_fma_f16 v2, v96, v12, v2
	v_pk_fma_f16 v11, v97, v12, v11
	;; [unrolled: 1-line block ×4, first 2 shown]
	v_mul_u32_u24_sdwa v12, v37, s34 dst_sel:DWORD dst_unused:UNUSED_PAD src0_sel:WORD_1 src1_sel:DWORD
	s_waitcnt lgkmcnt(6)
	v_pk_fma_f16 v2, v100, v12, v2
	v_pk_fma_f16 v11, v101, v12, v11
	;; [unrolled: 1-line block ×4, first 2 shown]
	v_mul_u32_u24_sdwa v12, v38, s34 dst_sel:DWORD dst_unused:UNUSED_PAD src0_sel:WORD_0 src1_sel:DWORD
	s_waitcnt lgkmcnt(5)
	v_pk_fma_f16 v2, v104, v12, v2
	v_pk_fma_f16 v11, v105, v12, v11
	;; [unrolled: 1-line block ×4, first 2 shown]
	v_mul_u32_u24_sdwa v12, v38, s34 dst_sel:DWORD dst_unused:UNUSED_PAD src0_sel:WORD_1 src1_sel:DWORD
	ds_read2_b64 v[32:35], v72 offset0:128 offset1:160
	s_waitcnt lgkmcnt(5)
	v_pk_fma_f16 v2, v108, v12, v2
	v_pk_fma_f16 v11, v109, v12, v11
	;; [unrolled: 1-line block ×4, first 2 shown]
	v_mul_u32_u24_sdwa v12, v39, s34 dst_sel:DWORD dst_unused:UNUSED_PAD src0_sel:WORD_0 src1_sel:DWORD
	ds_read2_b64 v[78:81], v72 offset0:192 offset1:224
	s_waitcnt lgkmcnt(5)
	v_pk_fma_f16 v2, v112, v12, v2
	v_pk_fma_f16 v11, v113, v12, v11
	;; [unrolled: 1-line block ×4, first 2 shown]
	v_mul_u32_u24_sdwa v12, v39, s34 dst_sel:DWORD dst_unused:UNUSED_PAD src0_sel:WORD_1 src1_sel:DWORD
	ds_read2_b64 v[90:93], v73 offset1:32
	s_waitcnt lgkmcnt(5)
	v_pk_fma_f16 v2, v116, v12, v2
	v_pk_fma_f16 v11, v117, v12, v11
	;; [unrolled: 1-line block ×4, first 2 shown]
	v_mul_u32_u24_sdwa v12, v40, s34 dst_sel:DWORD dst_unused:UNUSED_PAD src0_sel:WORD_0 src1_sel:DWORD
	ds_read2_b64 v[94:97], v73 offset0:64 offset1:96
	s_waitcnt lgkmcnt(5)
	v_pk_fma_f16 v2, v120, v12, v2
	v_pk_fma_f16 v11, v121, v12, v11
	;; [unrolled: 1-line block ×4, first 2 shown]
	v_mul_u32_u24_sdwa v12, v40, s34 dst_sel:DWORD dst_unused:UNUSED_PAD src0_sel:WORD_1 src1_sel:DWORD
	ds_read2_b64 v[98:101], v73 offset0:128 offset1:160
	s_waitcnt lgkmcnt(5)
	v_pk_fma_f16 v2, v124, v12, v2
	v_pk_fma_f16 v11, v125, v12, v11
	;; [unrolled: 1-line block ×4, first 2 shown]
	v_mul_u32_u24_sdwa v12, v41, s34 dst_sel:DWORD dst_unused:UNUSED_PAD src0_sel:WORD_0 src1_sel:DWORD
	ds_read2_b64 v[102:105], v73 offset0:192 offset1:224
	s_waitcnt lgkmcnt(5)
	v_pk_fma_f16 v2, v34, v12, v2
	v_pk_fma_f16 v11, v35, v12, v11
	;; [unrolled: 1-line block ×4, first 2 shown]
	v_mul_u32_u24_sdwa v12, v41, s34 dst_sel:DWORD dst_unused:UNUSED_PAD src0_sel:WORD_1 src1_sel:DWORD
	s_waitcnt lgkmcnt(4)
	v_pk_fma_f16 v2, v80, v12, v2
	v_pk_fma_f16 v11, v81, v12, v11
	;; [unrolled: 1-line block ×4, first 2 shown]
	v_mul_u32_u24_sdwa v12, v42, s34 dst_sel:DWORD dst_unused:UNUSED_PAD src0_sel:WORD_0 src1_sel:DWORD
	ds_read2_b64 v[106:109], v74 offset1:32
	ds_read2_b64 v[110:113], v74 offset0:64 offset1:96
	s_waitcnt lgkmcnt(5)
	v_pk_fma_f16 v2, v92, v12, v2
	v_pk_fma_f16 v11, v93, v12, v11
	;; [unrolled: 1-line block ×4, first 2 shown]
	v_mul_u32_u24_sdwa v12, v42, s34 dst_sel:DWORD dst_unused:UNUSED_PAD src0_sel:WORD_1 src1_sel:DWORD
	ds_read2_b64 v[36:39], v74 offset0:128 offset1:160
	s_waitcnt lgkmcnt(5)
	v_pk_fma_f16 v2, v96, v12, v2
	v_pk_fma_f16 v11, v97, v12, v11
	;; [unrolled: 1-line block ×4, first 2 shown]
	v_mul_u32_u24_sdwa v12, v43, s34 dst_sel:DWORD dst_unused:UNUSED_PAD src0_sel:WORD_0 src1_sel:DWORD
	ds_read2_b64 v[114:117], v74 offset0:192 offset1:224
	s_waitcnt lgkmcnt(5)
	v_pk_fma_f16 v2, v100, v12, v2
	v_pk_fma_f16 v11, v101, v12, v11
	;; [unrolled: 1-line block ×4, first 2 shown]
	v_mul_u32_u24_sdwa v12, v43, s34 dst_sel:DWORD dst_unused:UNUSED_PAD src0_sel:WORD_1 src1_sel:DWORD
	ds_read2_b64 v[118:121], v75 offset1:32
	s_waitcnt lgkmcnt(5)
	v_pk_fma_f16 v2, v104, v12, v2
	v_pk_fma_f16 v11, v105, v12, v11
	v_pk_fma_f16 v102, v102, v12, v40
	v_pk_fma_f16 v1, v103, v12, v1
	v_mul_u32_u24_sdwa v12, v82, s34 dst_sel:DWORD dst_unused:UNUSED_PAD src0_sel:WORD_0 src1_sel:DWORD
	s_waitcnt lgkmcnt(4)
	v_pk_fma_f16 v2, v108, v12, v2
	v_pk_fma_f16 v11, v109, v12, v11
	;; [unrolled: 1-line block ×4, first 2 shown]
	v_mul_u32_u24_sdwa v12, v82, s34 dst_sel:DWORD dst_unused:UNUSED_PAD src0_sel:WORD_1 src1_sel:DWORD
	s_waitcnt lgkmcnt(3)
	v_pk_fma_f16 v2, v112, v12, v2
	v_pk_fma_f16 v11, v113, v12, v11
	;; [unrolled: 1-line block ×4, first 2 shown]
	v_mul_u32_u24_sdwa v12, v83, s34 dst_sel:DWORD dst_unused:UNUSED_PAD src0_sel:WORD_0 src1_sel:DWORD
	ds_read2_b64 v[32:35], v75 offset0:64 offset1:96
	s_waitcnt lgkmcnt(3)
	v_pk_fma_f16 v2, v38, v12, v2
	v_pk_fma_f16 v11, v39, v12, v11
	;; [unrolled: 1-line block ×4, first 2 shown]
	v_mul_u32_u24_sdwa v12, v83, s34 dst_sel:DWORD dst_unused:UNUSED_PAD src0_sel:WORD_1 src1_sel:DWORD
	s_waitcnt lgkmcnt(2)
	v_pk_fma_f16 v2, v116, v12, v2
	v_pk_fma_f16 v83, v117, v12, v11
	;; [unrolled: 1-line block ×4, first 2 shown]
	v_mul_u32_u24_sdwa v114, v84, s34 dst_sel:DWORD dst_unused:UNUSED_PAD src0_sel:WORD_0 src1_sel:DWORD
	ds_read2_b64 v[78:81], v75 offset0:128 offset1:160
	ds_read2_b64 v[90:93], v75 offset0:192 offset1:224
	ds_read2_b64 v[94:97], v76 offset1:32
	ds_read2_b64 v[98:101], v76 offset0:64 offset1:96
	ds_read2_b64 v[122:125], v76 offset0:128 offset1:160
	;; [unrolled: 1-line block ×3, first 2 shown]
	ds_read2_b64 v[102:105], v77 offset1:32
	ds_read2_b64 v[106:109], v77 offset0:64 offset1:96
	ds_read2_b64 v[36:39], v77 offset0:128 offset1:160
	;; [unrolled: 1-line block ×3, first 2 shown]
	s_waitcnt lgkmcnt(0)
	s_barrier
	global_load_dwordx4 v[9:12], v[9:10], off
	v_pk_fma_f16 v2, v120, v114, v2
	v_pk_fma_f16 v83, v121, v114, v83
	;; [unrolled: 1-line block ×4, first 2 shown]
	global_load_dwordx4 v[114:117], v[5:6], off
	s_nop 0
	global_load_dwordx4 v[5:8], v[7:8], off
	v_mul_u32_u24_sdwa v84, v84, s34 dst_sel:DWORD dst_unused:UNUSED_PAD src0_sel:WORD_1 src1_sel:DWORD
	v_pk_fma_f16 v34, v34, v84, v2
	v_pk_fma_f16 v33, v33, v84, v1
	global_load_dwordx4 v[1:4], v[3:4], off
	v_mul_u32_u24_sdwa v118, v85, s34 dst_sel:DWORD dst_unused:UNUSED_PAD src0_sel:WORD_0 src1_sel:DWORD
	v_pk_fma_f16 v35, v35, v84, v83
	v_pk_fma_f16 v32, v32, v84, v82
	v_mul_u32_u24_sdwa v85, v85, s34 dst_sel:DWORD dst_unused:UNUSED_PAD src0_sel:WORD_1 src1_sel:DWORD
	v_pk_fma_f16 v34, v80, v118, v34
	v_pk_fma_f16 v35, v81, v118, v35
	v_pk_fma_f16 v32, v78, v118, v32
	v_pk_fma_f16 v33, v79, v118, v33
	v_mul_u32_u24_sdwa v119, v86, s34 dst_sel:DWORD dst_unused:UNUSED_PAD src0_sel:WORD_0 src1_sel:DWORD
	v_pk_fma_f16 v34, v92, v85, v34
	v_pk_fma_f16 v35, v93, v85, v35
	v_pk_fma_f16 v32, v90, v85, v32
	v_pk_fma_f16 v33, v91, v85, v33
	v_mul_u32_u24_sdwa v86, v86, s34 dst_sel:DWORD dst_unused:UNUSED_PAD src0_sel:WORD_1 src1_sel:DWORD
	v_pk_fma_f16 v34, v96, v119, v34
	v_pk_fma_f16 v35, v97, v119, v35
	v_pk_fma_f16 v32, v94, v119, v32
	v_pk_fma_f16 v33, v95, v119, v33
	v_mul_u32_u24_sdwa v120, v87, s34 dst_sel:DWORD dst_unused:UNUSED_PAD src0_sel:WORD_0 src1_sel:DWORD
	v_pk_fma_f16 v34, v100, v86, v34
	v_pk_fma_f16 v35, v101, v86, v35
	;; [unrolled: 10-line block ×4, first 2 shown]
	v_pk_fma_f16 v32, v106, v84, v32
	v_pk_fma_f16 v33, v107, v84, v33
	v_mul_u32_u24_sdwa v88, v89, s34 dst_sel:DWORD dst_unused:UNUSED_PAD src0_sel:WORD_1 src1_sel:DWORD
	v_pk_fma_f16 v34, v38, v87, v34
	v_pk_fma_f16 v35, v39, v87, v35
	;; [unrolled: 1-line block ×8, first 2 shown]
	s_waitcnt vmcnt(3)
	ds_write_b128 v64, v[9:12]
	s_waitcnt vmcnt(2)
	ds_write_b128 v65, v[114:117]
	s_waitcnt vmcnt(1)
	ds_write_b128 v66, v[5:8]
	s_waitcnt vmcnt(0)
	ds_write_b128 v67, v[1:4]
	s_waitcnt lgkmcnt(0)
	s_barrier
	ds_read2_b64 v[32:35], v47 offset1:32
	ds_read_b128 v[36:39], v61 offset:64
	ds_read_b128 v[9:12], v61 offset:80
	;; [unrolled: 1-line block ×4, first 2 shown]
	ds_read2_b64 v[40:43], v47 offset0:64 offset1:96
	ds_read2_b64 v[78:81], v47 offset0:128 offset1:160
	;; [unrolled: 1-line block ×3, first 2 shown]
	ds_read2_b64 v[86:89], v71 offset1:32
	ds_read2_b64 v[90:93], v71 offset0:64 offset1:96
	ds_read2_b64 v[94:97], v71 offset0:128 offset1:160
	;; [unrolled: 1-line block ×3, first 2 shown]
	ds_read2_b64 v[102:105], v72 offset1:32
	ds_read2_b64 v[106:109], v72 offset0:64 offset1:96
	ds_read2_b64 v[110:113], v72 offset0:128 offset1:160
	;; [unrolled: 1-line block ×3, first 2 shown]
	s_waitcnt lgkmcnt(14)
	v_mul_u32_u24_sdwa v122, v36, s34 dst_sel:DWORD dst_unused:UNUSED_PAD src0_sel:WORD_0 src1_sel:DWORD
	v_pk_fma_f16 v120, v32, v122, v120
	v_pk_fma_f16 v121, v33, v122, v121
	v_pk_fma_f16 v118, v34, v122, v118
	v_pk_fma_f16 v119, v35, v122, v119
	v_mul_u32_u24_sdwa v36, v36, s34 dst_sel:DWORD dst_unused:UNUSED_PAD src0_sel:WORD_1 src1_sel:DWORD
	s_waitcnt lgkmcnt(10)
	v_pk_fma_f16 v120, v40, v36, v120
	v_pk_fma_f16 v121, v41, v36, v121
	v_pk_fma_f16 v118, v42, v36, v118
	v_pk_fma_f16 v36, v43, v36, v119
	v_mul_u32_u24_sdwa v119, v37, s34 dst_sel:DWORD dst_unused:UNUSED_PAD src0_sel:WORD_0 src1_sel:DWORD
	s_waitcnt lgkmcnt(9)
	v_pk_fma_f16 v120, v78, v119, v120
	v_pk_fma_f16 v121, v79, v119, v121
	v_pk_fma_f16 v118, v80, v119, v118
	v_pk_fma_f16 v36, v81, v119, v36
	v_mul_u32_u24_sdwa v37, v37, s34 dst_sel:DWORD dst_unused:UNUSED_PAD src0_sel:WORD_1 src1_sel:DWORD
	s_waitcnt lgkmcnt(8)
	v_pk_fma_f16 v119, v82, v37, v120
	v_pk_fma_f16 v120, v83, v37, v121
	v_pk_fma_f16 v118, v84, v37, v118
	v_pk_fma_f16 v36, v85, v37, v36
	v_mul_u32_u24_sdwa v37, v38, s34 dst_sel:DWORD dst_unused:UNUSED_PAD src0_sel:WORD_0 src1_sel:DWORD
	s_waitcnt lgkmcnt(7)
	;; [unrolled: 12-line block ×3, first 2 shown]
	v_pk_fma_f16 v38, v94, v37, v38
	v_pk_fma_f16 v122, v95, v37, v119
	v_pk_fma_f16 v123, v96, v37, v118
	v_pk_fma_f16 v36, v97, v37, v36
	v_mul_u32_u24_sdwa v37, v39, s34 dst_sel:DWORD dst_unused:UNUSED_PAD src0_sel:WORD_1 src1_sel:DWORD
	ds_read2_b64 v[32:35], v73 offset1:32
	s_waitcnt lgkmcnt(5)
	v_pk_fma_f16 v98, v98, v37, v38
	v_pk_fma_f16 v99, v99, v37, v122
	;; [unrolled: 1-line block ×4, first 2 shown]
	v_mul_u32_u24_sdwa v122, v9, s34 dst_sel:DWORD dst_unused:UNUSED_PAD src0_sel:WORD_0 src1_sel:DWORD
	ds_read2_b64 v[40:43], v73 offset0:64 offset1:96
	s_waitcnt lgkmcnt(5)
	v_pk_fma_f16 v102, v102, v122, v98
	v_pk_fma_f16 v103, v103, v122, v99
	;; [unrolled: 1-line block ×4, first 2 shown]
	v_mul_u32_u24_sdwa v9, v9, s34 dst_sel:DWORD dst_unused:UNUSED_PAD src0_sel:WORD_1 src1_sel:DWORD
	ds_read2_b64 v[78:81], v73 offset0:128 offset1:160
	s_waitcnt lgkmcnt(5)
	v_pk_fma_f16 v106, v106, v9, v102
	v_pk_fma_f16 v107, v107, v9, v103
	;; [unrolled: 1-line block ×4, first 2 shown]
	v_mul_u32_u24_sdwa v109, v10, s34 dst_sel:DWORD dst_unused:UNUSED_PAD src0_sel:WORD_0 src1_sel:DWORD
	ds_read2_b64 v[82:85], v73 offset0:192 offset1:224
	s_waitcnt lgkmcnt(5)
	v_pk_fma_f16 v110, v110, v109, v106
	v_pk_fma_f16 v111, v111, v109, v107
	v_pk_fma_f16 v112, v112, v109, v108
	v_pk_fma_f16 v9, v113, v109, v9
	v_mul_u32_u24_sdwa v10, v10, s34 dst_sel:DWORD dst_unused:UNUSED_PAD src0_sel:WORD_1 src1_sel:DWORD
	ds_read2_b64 v[86:89], v74 offset1:32
	s_waitcnt lgkmcnt(5)
	v_pk_fma_f16 v114, v114, v10, v110
	v_pk_fma_f16 v115, v115, v10, v111
	;; [unrolled: 1-line block ×4, first 2 shown]
	v_mul_u32_u24_sdwa v10, v11, s34 dst_sel:DWORD dst_unused:UNUSED_PAD src0_sel:WORD_0 src1_sel:DWORD
	ds_read2_b64 v[90:93], v74 offset0:64 offset1:96
	s_waitcnt lgkmcnt(5)
	v_pk_fma_f16 v114, v32, v10, v114
	v_pk_fma_f16 v115, v33, v10, v115
	;; [unrolled: 1-line block ×4, first 2 shown]
	v_mul_u32_u24_sdwa v10, v11, s34 dst_sel:DWORD dst_unused:UNUSED_PAD src0_sel:WORD_1 src1_sel:DWORD
	s_waitcnt lgkmcnt(4)
	v_pk_fma_f16 v11, v40, v10, v114
	v_pk_fma_f16 v114, v41, v10, v115
	;; [unrolled: 1-line block ×4, first 2 shown]
	v_mul_u32_u24_sdwa v10, v12, s34 dst_sel:DWORD dst_unused:UNUSED_PAD src0_sel:WORD_0 src1_sel:DWORD
	ds_read2_b64 v[94:97], v74 offset0:128 offset1:160
	ds_read2_b64 v[118:121], v74 offset0:192 offset1:224
	s_waitcnt lgkmcnt(5)
	v_pk_fma_f16 v11, v78, v10, v11
	v_pk_fma_f16 v122, v79, v10, v114
	;; [unrolled: 1-line block ×4, first 2 shown]
	v_mul_u32_u24_sdwa v10, v12, s34 dst_sel:DWORD dst_unused:UNUSED_PAD src0_sel:WORD_1 src1_sel:DWORD
	ds_read2_b64 v[36:39], v75 offset1:32
	v_mul_u32_u24_sdwa v12, v5, s34 dst_sel:DWORD dst_unused:UNUSED_PAD src0_sel:WORD_0 src1_sel:DWORD
	s_waitcnt lgkmcnt(5)
	v_pk_fma_f16 v11, v82, v10, v11
	v_pk_fma_f16 v82, v83, v10, v122
	;; [unrolled: 1-line block ×4, first 2 shown]
	ds_read2_b64 v[98:101], v75 offset0:64 offset1:96
	v_mul_u32_u24_sdwa v124, v5, s34 dst_sel:DWORD dst_unused:UNUSED_PAD src0_sel:WORD_1 src1_sel:DWORD
	s_waitcnt lgkmcnt(5)
	v_pk_fma_f16 v84, v86, v12, v11
	v_pk_fma_f16 v82, v87, v12, v82
	;; [unrolled: 1-line block ×4, first 2 shown]
	ds_read2_b64 v[102:105], v75 offset0:128 offset1:160
	v_mul_u32_u24_sdwa v125, v6, s34 dst_sel:DWORD dst_unused:UNUSED_PAD src0_sel:WORD_0 src1_sel:DWORD
	s_waitcnt lgkmcnt(5)
	v_pk_fma_f16 v86, v90, v124, v84
	v_pk_fma_f16 v87, v91, v124, v82
	;; [unrolled: 1-line block ×4, first 2 shown]
	ds_read2_b64 v[106:109], v75 offset0:192 offset1:224
	v_mul_u32_u24_sdwa v122, v6, s34 dst_sel:DWORD dst_unused:UNUSED_PAD src0_sel:WORD_1 src1_sel:DWORD
	s_waitcnt lgkmcnt(5)
	v_pk_fma_f16 v86, v94, v125, v86
	v_pk_fma_f16 v87, v95, v125, v87
	;; [unrolled: 1-line block ×4, first 2 shown]
	ds_read2_b64 v[110:113], v76 offset1:32
	v_mul_u32_u24_sdwa v123, v7, s34 dst_sel:DWORD dst_unused:UNUSED_PAD src0_sel:WORD_0 src1_sel:DWORD
	s_waitcnt lgkmcnt(5)
	v_pk_fma_f16 v86, v118, v122, v86
	v_pk_fma_f16 v87, v119, v122, v87
	v_pk_fma_f16 v88, v120, v122, v88
	v_pk_fma_f16 v89, v121, v122, v89
	ds_read2_b64 v[32:35], v76 offset0:64 offset1:96
	v_mul_u32_u24_sdwa v126, v7, s34 dst_sel:DWORD dst_unused:UNUSED_PAD src0_sel:WORD_1 src1_sel:DWORD
	s_waitcnt lgkmcnt(5)
	v_pk_fma_f16 v36, v36, v123, v86
	v_pk_fma_f16 v37, v37, v123, v87
	;; [unrolled: 1-line block ×4, first 2 shown]
	ds_read2_b64 v[40:43], v76 offset0:128 offset1:160
	v_mul_u32_u24_sdwa v127, v8, s34 dst_sel:DWORD dst_unused:UNUSED_PAD src0_sel:WORD_0 src1_sel:DWORD
	s_waitcnt lgkmcnt(5)
	v_pk_fma_f16 v36, v98, v126, v36
	v_pk_fma_f16 v37, v99, v126, v37
	;; [unrolled: 1-line block ×4, first 2 shown]
	v_mul_u32_u24_sdwa v46, v8, s34 dst_sel:DWORD dst_unused:UNUSED_PAD src0_sel:WORD_1 src1_sel:DWORD
	s_waitcnt lgkmcnt(4)
	v_pk_fma_f16 v36, v102, v127, v36
	v_pk_fma_f16 v37, v103, v127, v37
	;; [unrolled: 1-line block ×4, first 2 shown]
	ds_read2_b64 v[78:81], v76 offset0:192 offset1:224
	ds_read2_b64 v[114:117], v77 offset1:32
	v_mul_u32_u24_sdwa v90, v1, s34 dst_sel:DWORD dst_unused:UNUSED_PAD src0_sel:WORD_0 src1_sel:DWORD
	s_waitcnt lgkmcnt(5)
	v_pk_fma_f16 v36, v106, v46, v36
	v_pk_fma_f16 v37, v107, v46, v37
	v_pk_fma_f16 v38, v108, v46, v38
	v_pk_fma_f16 v39, v109, v46, v39
	ds_read2_b64 v[5:8], v77 offset0:64 offset1:96
	ds_read2_b64 v[9:12], v77 offset0:128 offset1:160
	;; [unrolled: 1-line block ×3, first 2 shown]
	s_waitcnt lgkmcnt(0)
	s_barrier
	s_load_dword s0, s[10:11], 0x4
	v_mul_u32_u24_sdwa v1, v1, s34 dst_sel:DWORD dst_unused:UNUSED_PAD src0_sel:WORD_1 src1_sel:DWORD
	v_pk_fma_f16 v36, v110, v90, v36
	v_pk_fma_f16 v37, v111, v90, v37
	v_pk_fma_f16 v38, v112, v90, v38
	v_pk_fma_f16 v39, v113, v90, v39
	v_mul_u32_u24_sdwa v91, v2, s34 dst_sel:DWORD dst_unused:UNUSED_PAD src0_sel:WORD_0 src1_sel:DWORD
	v_pk_fma_f16 v32, v32, v1, v36
	v_pk_fma_f16 v33, v33, v1, v37
	;; [unrolled: 1-line block ×4, first 2 shown]
	v_mul_u32_u24_sdwa v2, v2, s34 dst_sel:DWORD dst_unused:UNUSED_PAD src0_sel:WORD_1 src1_sel:DWORD
	v_pk_fma_f16 v32, v40, v91, v32
	v_pk_fma_f16 v33, v41, v91, v33
	v_pk_fma_f16 v34, v42, v91, v34
	v_pk_fma_f16 v1, v43, v91, v1
	v_mul_u32_u24_sdwa v92, v3, s34 dst_sel:DWORD dst_unused:UNUSED_PAD src0_sel:WORD_0 src1_sel:DWORD
	v_pk_fma_f16 v32, v78, v2, v32
	v_pk_fma_f16 v33, v79, v2, v33
	;; [unrolled: 1-line block ×4, first 2 shown]
	v_mul_u32_u24_sdwa v3, v3, s34 dst_sel:DWORD dst_unused:UNUSED_PAD src0_sel:WORD_1 src1_sel:DWORD
	v_pk_fma_f16 v2, v114, v92, v32
	v_pk_fma_f16 v32, v115, v92, v33
	;; [unrolled: 1-line block ×4, first 2 shown]
	v_mul_u32_u24_sdwa v93, v4, s34 dst_sel:DWORD dst_unused:UNUSED_PAD src0_sel:WORD_0 src1_sel:DWORD
	s_waitcnt lgkmcnt(0)
	s_lshl_b32 s0, s0, 6
	v_pk_fma_f16 v2, v5, v3, v2
	v_pk_fma_f16 v5, v6, v3, v32
	;; [unrolled: 1-line block ×4, first 2 shown]
	v_mul_u32_u24_sdwa v4, v4, s34 dst_sel:DWORD dst_unused:UNUSED_PAD src0_sel:WORD_1 src1_sel:DWORD
	s_add_i32 s6, s0, s6
	v_pk_fma_f16 v2, v9, v93, v2
	v_pk_fma_f16 v3, v10, v93, v5
	;; [unrolled: 1-line block ×4, first 2 shown]
	s_cmp_ge_i32 s6, s28
	v_pk_fma_f16 v80, v82, v4, v2
	v_pk_fma_f16 v81, v83, v4, v3
	;; [unrolled: 1-line block ×4, first 2 shown]
	s_cbranch_scc0 .LBB33_9
; %bb.10:
	v_lshlrev_b32_e32 v17, 2, v0
.LBB33_11:
	v_cmp_lt_i32_e32 vcc, v55, v50
	v_cndmask_b32_e32 v1, v49, v55, vcc
	v_lshlrev_b32_e32 v1, 2, v1
	ds_bpermute_b32 v1, v1, v31
	v_cmp_lt_i32_e32 vcc, v54, v50
	v_cndmask_b32_e32 v2, v49, v54, vcc
	v_lshlrev_b32_e32 v2, 2, v2
	v_cmp_lt_i32_e32 vcc, v53, v50
	s_waitcnt lgkmcnt(0)
	v_add_f32_e32 v1, v31, v1
	ds_bpermute_b32 v2, v2, v1
	v_cndmask_b32_e32 v3, v49, v53, vcc
	v_lshlrev_b32_e32 v3, 2, v3
	v_cmp_lt_i32_e32 vcc, v52, v50
	s_cmp_lg_u64 s[16:17], 0
	s_waitcnt lgkmcnt(0)
	v_add_f32_e32 v1, v1, v2
	ds_bpermute_b32 v2, v3, v1
	v_cndmask_b32_e32 v3, v49, v52, vcc
	v_lshlrev_b32_e32 v3, 2, v3
	v_cmp_lt_i32_e32 vcc, v51, v50
	s_cselect_b64 s[0:1], -1, 0
	s_waitcnt lgkmcnt(0)
	v_add_f32_e32 v1, v1, v2
	ds_bpermute_b32 v2, v3, v1
	v_cndmask_b32_e32 v3, v49, v51, vcc
	v_lshlrev_b32_e32 v3, 2, v3
	s_cmp_eq_u32 s7, 0
	s_cselect_b64 s[2:3], -1, 0
	s_waitcnt lgkmcnt(0)
	v_add_f32_e32 v1, v1, v2
	ds_bpermute_b32 v2, v3, v1
	s_and_b64 s[0:1], s[2:3], s[0:1]
	s_and_b64 vcc, exec, s[0:1]
	s_waitcnt lgkmcnt(0)
	v_add_f32_e32 v31, v1, v2
	s_cbranch_vccz .LBB33_13
; %bb.12:
	v_add_u32_e32 v1, s29, v44
	v_ashrrev_i32_e32 v2, 31, v1
	v_lshlrev_b64 v[1:2], 2, v[1:2]
	v_mov_b32_e32 v3, s17
	v_add_co_u32_e32 v1, vcc, s16, v1
	v_addc_co_u32_e32 v2, vcc, v3, v2, vcc
	global_load_dword v1, v[1:2], off
	v_max_f32_e32 v2, v30, v30
	s_mov_b32 s0, 0x3fb8aa3b
	s_mov_b32 s1, 0xc2ce8ed0
	s_waitcnt vmcnt(0)
	v_max_f32_e32 v3, v1, v1
	v_max_f32_e32 v2, v2, v3
	v_sub_f32_e32 v3, v30, v2
	v_sub_f32_e32 v1, v1, v2
	v_mul_f32_e32 v4, 0x3fb8aa3b, v3
	v_mul_f32_e32 v5, 0x3fb8aa3b, v1
	v_fma_f32 v6, v3, s0, -v4
	v_rndne_f32_e32 v7, v4
	v_fma_f32 v8, v1, s0, -v5
	v_rndne_f32_e32 v9, v5
	v_fmac_f32_e32 v6, 0x32a5705f, v3
	v_sub_f32_e32 v4, v4, v7
	v_fmac_f32_e32 v8, 0x32a5705f, v1
	v_sub_f32_e32 v5, v5, v9
	v_add_f32_e32 v4, v4, v6
	v_cvt_i32_f32_e32 v7, v7
	v_add_f32_e32 v5, v5, v8
	v_exp_f32_e32 v4, v4
	v_cvt_i32_f32_e32 v9, v9
	v_exp_f32_e32 v5, v5
	v_cmp_ngt_f32_e32 vcc, s1, v3
	v_ldexp_f32 v4, v4, v7
	s_mov_b32 s0, 0x42b17218
	v_ldexp_f32 v5, v5, v9
	v_cndmask_b32_e32 v4, 0, v4, vcc
	v_cmp_ngt_f32_e32 vcc, s1, v1
	v_mov_b32_e32 v6, 0x7f800000
	v_cndmask_b32_e32 v5, 0, v5, vcc
	v_cmp_nlt_f32_e32 vcc, s0, v3
	v_cndmask_b32_e32 v3, v6, v4, vcc
	v_cvt_f16_f32_e32 v4, v3
	v_cmp_nlt_f32_e32 vcc, s0, v1
	v_cndmask_b32_e32 v1, v6, v5, vcc
	v_fmac_f32_e32 v1, v31, v3
	v_mov_b32_e32 v31, v1
	v_mul_u32_u24_e32 v1, 0x10001, v4
	v_pk_mul_f16 v80, v80, v1
	v_pk_mul_f16 v81, v81, v1
	;; [unrolled: 1-line block ×4, first 2 shown]
	v_mov_b32_e32 v30, v2
.LBB33_13:
	v_cmp_gt_i32_e32 vcc, s26, v45
	s_and_saveexec_b64 s[0:1], vcc
	s_cbranch_execz .LBB33_16
; %bb.14:
	v_div_scale_f32 v1, s[0:1], v31, v31, 1.0
	v_div_scale_f32 v2, vcc, 1.0, v31, 1.0
	v_cmp_eq_u32_e64 s[0:1], 0, v0
	s_mul_i32 s33, s33, s26
	v_add_u32_e32 v4, s33, v45
	s_load_dword s2, s[4:5], 0xd4
	v_mul_lo_u32 v4, v4, s27
	v_cvt_f32_f16_sdwa v3, v81 dst_sel:DWORD dst_unused:UNUSED_PAD src0_sel:WORD_1
	v_cvt_f32_f16_e32 v9, v81
	v_cvt_f32_f16_sdwa v10, v80 dst_sel:DWORD dst_unused:UNUSED_PAD src0_sel:WORD_1
	v_cvt_f32_f16_e32 v11, v80
	s_waitcnt lgkmcnt(0)
	s_cmp_lg_u32 s2, 1
	v_mov_b32_e32 v8, s21
	v_cvt_f32_f16_sdwa v13, v78 dst_sel:DWORD dst_unused:UNUSED_PAD src0_sel:WORD_1
	v_rcp_f32_e32 v0, v1
	v_cvt_f32_f16_e32 v14, v78
	v_cvt_f32_f16_sdwa v15, v79 dst_sel:DWORD dst_unused:UNUSED_PAD src0_sel:WORD_1
	v_fma_f32 v5, -v1, v0, 1.0
	v_fmac_f32_e32 v0, v5, v0
	v_mul_f32_e32 v5, v2, v0
	v_fma_f32 v6, -v1, v5, v2
	v_fmac_f32_e32 v5, v6, v0
	v_fma_f32 v1, -v1, v5, v2
	v_div_fmas_f32 v12, v1, v0, v5
	v_add3_u32 v0, s29, v44, v4
	v_mul_lo_u32 v0, s2, v0
	v_mov_b32_e32 v6, 0
	s_cselect_b64 s[2:3], -1, 0
	s_and_b64 s[0:1], s[0:1], s[2:3]
	v_add_u32_e32 v0, s7, v0
	v_lshl_add_u32 v5, v0, 8, v17
	v_lshlrev_b64 v[1:2], 2, v[5:6]
	v_add_u32_e32 v5, 0x80, v5
	v_add_co_u32_e32 v7, vcc, s20, v1
	v_addc_co_u32_e32 v8, vcc, v8, v2, vcc
	v_lshlrev_b64 v[5:6], 2, v[5:6]
	v_add_co_u32_e32 v5, vcc, s20, v5
	v_div_fixup_f32 v1, v12, v31, 1.0
	v_cndmask_b32_e64 v12, v1, 1.0, s[2:3]
	v_mul_f32_e32 v4, v12, v3
	v_mul_f32_e32 v3, v12, v9
	;; [unrolled: 1-line block ×4, first 2 shown]
	global_store_dwordx4 v[7:8], v[1:4], off
	v_mov_b32_e32 v7, s21
	v_cvt_f32_f16_e32 v1, v79
	v_mul_f32_e32 v4, v12, v13
	v_mul_f32_e32 v3, v12, v14
	;; [unrolled: 1-line block ×4, first 2 shown]
	v_addc_co_u32_e32 v6, vcc, v7, v6, vcc
	global_store_dwordx4 v[5:6], v[1:4], off
	s_and_b64 exec, exec, s[0:1]
	s_cbranch_execz .LBB33_16
; %bb.15:
	v_ashrrev_i32_e32 v1, 31, v0
	v_lshlrev_b64 v[0:1], 3, v[0:1]
	v_mov_b32_e32 v2, s23
	v_add_co_u32_e32 v0, vcc, s22, v0
	v_addc_co_u32_e32 v1, vcc, v2, v1, vcc
	global_store_dwordx2 v[0:1], v[30:31], off
.LBB33_16:
	s_endpgm
	.section	.rodata,"a",@progbits
	.p2align	6, 0x0
	.amdhsa_kernel _ZL15flash_attn_tileILi256ELi256ELi4ELi2ELb0EEvPKcS1_S1_S1_S1_PKiPfP15HIP_vector_typeIfLj2EEffffjfiS5_IjLj3EEiiiiiiiiiiiliiliiiiil
		.amdhsa_group_segment_fixed_size 22528
		.amdhsa_private_segment_fixed_size 0
		.amdhsa_kernarg_size 464
		.amdhsa_user_sgpr_count 6
		.amdhsa_user_sgpr_private_segment_buffer 1
		.amdhsa_user_sgpr_dispatch_ptr 0
		.amdhsa_user_sgpr_queue_ptr 0
		.amdhsa_user_sgpr_kernarg_segment_ptr 1
		.amdhsa_user_sgpr_dispatch_id 0
		.amdhsa_user_sgpr_flat_scratch_init 0
		.amdhsa_user_sgpr_private_segment_size 0
		.amdhsa_uses_dynamic_stack 0
		.amdhsa_system_sgpr_private_segment_wavefront_offset 0
		.amdhsa_system_sgpr_workgroup_id_x 1
		.amdhsa_system_sgpr_workgroup_id_y 1
		.amdhsa_system_sgpr_workgroup_id_z 1
		.amdhsa_system_sgpr_workgroup_info 0
		.amdhsa_system_vgpr_workitem_id 1
		.amdhsa_next_free_vgpr 128
		.amdhsa_next_free_sgpr 98
		.amdhsa_reserve_vcc 1
		.amdhsa_reserve_flat_scratch 0
		.amdhsa_float_round_mode_32 0
		.amdhsa_float_round_mode_16_64 0
		.amdhsa_float_denorm_mode_32 3
		.amdhsa_float_denorm_mode_16_64 3
		.amdhsa_dx10_clamp 1
		.amdhsa_ieee_mode 1
		.amdhsa_fp16_overflow 0
		.amdhsa_exception_fp_ieee_invalid_op 0
		.amdhsa_exception_fp_denorm_src 0
		.amdhsa_exception_fp_ieee_div_zero 0
		.amdhsa_exception_fp_ieee_overflow 0
		.amdhsa_exception_fp_ieee_underflow 0
		.amdhsa_exception_fp_ieee_inexact 0
		.amdhsa_exception_int_div_zero 0
	.end_amdhsa_kernel
	.section	.text._ZL15flash_attn_tileILi256ELi256ELi4ELi2ELb0EEvPKcS1_S1_S1_S1_PKiPfP15HIP_vector_typeIfLj2EEffffjfiS5_IjLj3EEiiiiiiiiiiiliiliiiiil,"axG",@progbits,_ZL15flash_attn_tileILi256ELi256ELi4ELi2ELb0EEvPKcS1_S1_S1_S1_PKiPfP15HIP_vector_typeIfLj2EEffffjfiS5_IjLj3EEiiiiiiiiiiiliiliiiiil,comdat
.Lfunc_end33:
	.size	_ZL15flash_attn_tileILi256ELi256ELi4ELi2ELb0EEvPKcS1_S1_S1_S1_PKiPfP15HIP_vector_typeIfLj2EEffffjfiS5_IjLj3EEiiiiiiiiiiiliiliiiiil, .Lfunc_end33-_ZL15flash_attn_tileILi256ELi256ELi4ELi2ELb0EEvPKcS1_S1_S1_S1_PKiPfP15HIP_vector_typeIfLj2EEffffjfiS5_IjLj3EEiiiiiiiiiiiliiliiiiil
                                        ; -- End function
	.set _ZL15flash_attn_tileILi256ELi256ELi4ELi2ELb0EEvPKcS1_S1_S1_S1_PKiPfP15HIP_vector_typeIfLj2EEffffjfiS5_IjLj3EEiiiiiiiiiiiliiliiiiil.num_vgpr, 128
	.set _ZL15flash_attn_tileILi256ELi256ELi4ELi2ELb0EEvPKcS1_S1_S1_S1_PKiPfP15HIP_vector_typeIfLj2EEffffjfiS5_IjLj3EEiiiiiiiiiiiliiliiiiil.num_agpr, 0
	.set _ZL15flash_attn_tileILi256ELi256ELi4ELi2ELb0EEvPKcS1_S1_S1_S1_PKiPfP15HIP_vector_typeIfLj2EEffffjfiS5_IjLj3EEiiiiiiiiiiiliiliiiiil.numbered_sgpr, 39
	.set _ZL15flash_attn_tileILi256ELi256ELi4ELi2ELb0EEvPKcS1_S1_S1_S1_PKiPfP15HIP_vector_typeIfLj2EEffffjfiS5_IjLj3EEiiiiiiiiiiiliiliiiiil.num_named_barrier, 0
	.set _ZL15flash_attn_tileILi256ELi256ELi4ELi2ELb0EEvPKcS1_S1_S1_S1_PKiPfP15HIP_vector_typeIfLj2EEffffjfiS5_IjLj3EEiiiiiiiiiiiliiliiiiil.private_seg_size, 0
	.set _ZL15flash_attn_tileILi256ELi256ELi4ELi2ELb0EEvPKcS1_S1_S1_S1_PKiPfP15HIP_vector_typeIfLj2EEffffjfiS5_IjLj3EEiiiiiiiiiiiliiliiiiil.uses_vcc, 1
	.set _ZL15flash_attn_tileILi256ELi256ELi4ELi2ELb0EEvPKcS1_S1_S1_S1_PKiPfP15HIP_vector_typeIfLj2EEffffjfiS5_IjLj3EEiiiiiiiiiiiliiliiiiil.uses_flat_scratch, 0
	.set _ZL15flash_attn_tileILi256ELi256ELi4ELi2ELb0EEvPKcS1_S1_S1_S1_PKiPfP15HIP_vector_typeIfLj2EEffffjfiS5_IjLj3EEiiiiiiiiiiiliiliiiiil.has_dyn_sized_stack, 0
	.set _ZL15flash_attn_tileILi256ELi256ELi4ELi2ELb0EEvPKcS1_S1_S1_S1_PKiPfP15HIP_vector_typeIfLj2EEffffjfiS5_IjLj3EEiiiiiiiiiiiliiliiiiil.has_recursion, 0
	.set _ZL15flash_attn_tileILi256ELi256ELi4ELi2ELb0EEvPKcS1_S1_S1_S1_PKiPfP15HIP_vector_typeIfLj2EEffffjfiS5_IjLj3EEiiiiiiiiiiiliiliiiiil.has_indirect_call, 0
	.section	.AMDGPU.csdata,"",@progbits
; Kernel info:
; codeLenInByte = 10372
; TotalNumSgprs: 43
; NumVgprs: 128
; ScratchSize: 0
; MemoryBound: 0
; FloatMode: 240
; IeeeMode: 1
; LDSByteSize: 22528 bytes/workgroup (compile time only)
; SGPRBlocks: 12
; VGPRBlocks: 31
; NumSGPRsForWavesPerEU: 102
; NumVGPRsForWavesPerEU: 128
; Occupancy: 2
; WaveLimiterHint : 1
; COMPUTE_PGM_RSRC2:SCRATCH_EN: 0
; COMPUTE_PGM_RSRC2:USER_SGPR: 6
; COMPUTE_PGM_RSRC2:TRAP_HANDLER: 0
; COMPUTE_PGM_RSRC2:TGID_X_EN: 1
; COMPUTE_PGM_RSRC2:TGID_Y_EN: 1
; COMPUTE_PGM_RSRC2:TGID_Z_EN: 1
; COMPUTE_PGM_RSRC2:TIDIG_COMP_CNT: 1
	.section	.text._ZL33flash_attn_stream_k_fixup_uniformILi256ELi4ELi2EEvPfPK15HIP_vector_typeIfLj2EEiiiiiiS1_IjLj3EES5_S5_,"axG",@progbits,_ZL33flash_attn_stream_k_fixup_uniformILi256ELi4ELi2EEvPfPK15HIP_vector_typeIfLj2EEiiiiiiS1_IjLj3EES5_S5_,comdat
	.globl	_ZL33flash_attn_stream_k_fixup_uniformILi256ELi4ELi2EEvPfPK15HIP_vector_typeIfLj2EEiiiiiiS1_IjLj3EES5_S5_ ; -- Begin function _ZL33flash_attn_stream_k_fixup_uniformILi256ELi4ELi2EEvPfPK15HIP_vector_typeIfLj2EEiiiiiiS1_IjLj3EES5_S5_
	.p2align	8
	.type	_ZL33flash_attn_stream_k_fixup_uniformILi256ELi4ELi2EEvPfPK15HIP_vector_typeIfLj2EEiiiiiiS1_IjLj3EES5_S5_,@function
_ZL33flash_attn_stream_k_fixup_uniformILi256ELi4ELi2EEvPfPK15HIP_vector_typeIfLj2EEiiiiiiS1_IjLj3EES5_S5_: ; @_ZL33flash_attn_stream_k_fixup_uniformILi256ELi4ELi2EEvPfPK15HIP_vector_typeIfLj2EEiiiiiiS1_IjLj3EES5_S5_
; %bb.0:
	s_load_dwordx8 s[12:19], s[4:5], 0x1c
	s_load_dwordx2 s[10:11], s[4:5], 0x10
	s_load_dwordx4 s[0:3], s[4:5], 0x3c
	s_waitcnt lgkmcnt(0)
	s_mul_hi_u32 s9, s15, s6
	s_add_i32 s9, s6, s9
	s_lshr_b32 s9, s9, s16
	s_mul_i32 s15, s9, s17
	s_sub_i32 s15, s6, s15
	s_mul_hi_u32 s16, s15, s18
	s_add_i32 s16, s15, s16
	s_lshr_b32 s16, s16, s19
	s_mul_i32 s0, s16, s0
	s_sub_i32 s0, s15, s0
	;; [unrolled: 5-line block ×3, first 2 shown]
	s_lshl_b32 s0, s17, 2
	s_lshl_b32 s15, s1, 1
	s_add_i32 s0, s0, s7
	s_cmp_lt_i32 s0, s10
	s_cselect_b64 s[0:1], -1, 0
	s_add_i32 s2, s15, s8
	s_cmp_lt_i32 s2, s13
	s_cselect_b64 s[2:3], -1, 0
	s_and_b64 s[0:1], s[0:1], s[2:3]
	s_andn2_b64 vcc, exec, s[0:1]
	s_cbranch_vccnz .LBB34_6
; %bb.1:
	s_load_dwordx4 s[0:3], s[4:5], 0x0
	s_mul_i32 s4, s9, s10
	s_add_i32 s4, s4, s7
	s_mul_i32 s4, s4, s11
	s_mul_i32 s16, s16, s13
	s_add_i32 s4, s4, s8
	s_add_i32 s4, s4, s16
	s_mul_i32 s5, s11, s17
	s_add_i32 s4, s4, s15
	s_lshl_b32 s5, s5, 10
	s_lshl_b32 s4, s4, 8
	s_add_i32 s5, s5, s4
	v_or_b32_e32 v1, s5, v0
	v_ashrrev_i32_e32 v2, 31, v1
	v_lshlrev_b64 v[1:2], 2, v[1:2]
	s_waitcnt lgkmcnt(0)
	v_mov_b32_e32 v3, s1
	v_add_co_u32_e32 v1, vcc, s0, v1
	v_addc_co_u32_e32 v2, vcc, v3, v2, vcc
	global_load_dword v8, v[1:2], off
	s_mul_i32 s9, s14, s6
	s_lshl_b32 s4, s7, 1
	s_add_i32 s11, s9, s14
	s_add_i32 s0, s4, s8
	s_lshl_b32 s1, s11, 3
	s_add_i32 s0, s0, s1
	s_add_i32 s0, s0, -8
	s_ashr_i32 s1, s0, 31
	s_lshl_b64 s[0:1], s[0:1], 3
	s_add_u32 s0, s2, s0
	s_addc_u32 s1, s3, s1
	s_load_dword s5, s[0:1], 0x4
	s_add_i32 s10, s11, -2
	s_cmp_lt_i32 s10, s9
	s_cbranch_scc1 .LBB34_4
; %bb.2:
	s_lshl_b32 s16, s12, 5
	s_ashr_i32 s17, s16, 31
	s_lshl_b64 s[16:17], s[16:17], 2
	s_add_u32 s10, s2, s16
	s_addc_u32 s13, s3, s17
	s_add_i32 s6, s6, 1
	s_load_dword s0, s[0:1], 0x0
	s_mul_i32 s1, s14, s6
	s_lshl_b32 s7, s7, 9
	s_lshl_b32 s14, s8, 8
	;; [unrolled: 1-line block ×3, first 2 shown]
	s_add_i32 s7, s14, s7
	s_lshl_b32 s1, s1, 3
	s_add_i32 s7, s7, s6
	s_add_i32 s1, s8, s1
	s_lshl_b32 s6, s12, 3
	s_add_i32 s1, s1, s6
	v_or_b32_e32 v0, s7, v0
	s_add_i32 s1, s1, s4
	s_add_i32 s11, s11, -1
	v_add_u32_e32 v3, 0xfffff000, v0
	s_add_i32 s4, s1, -16
	s_waitcnt lgkmcnt(0)
	v_mov_b32_e32 v7, s5
	v_mov_b32_e32 v6, s0
	;; [unrolled: 1-line block ×3, first 2 shown]
	s_mov_b32 s6, 0x3fb8aa3b
	s_mov_b32 s7, 0xc2ce8ed0
	;; [unrolled: 1-line block ×3, first 2 shown]
	v_mov_b32_e32 v5, 0x7f800000
	s_mov_b32 s12, 0xc1a00000
.LBB34_3:                               ; =>This Inner Loop Header: Depth=1
	v_ashrrev_i32_e32 v4, 31, v3
	v_lshlrev_b64 v[9:10], 2, v[3:4]
	s_ashr_i32 s5, s4, 31
	v_add_co_u32_e32 v9, vcc, s10, v9
	v_addc_co_u32_e32 v10, vcc, v0, v10, vcc
	global_load_dword v4, v[9:10], off
	s_lshl_b64 s[0:1], s[4:5], 3
	s_add_u32 s0, s2, s0
	s_addc_u32 s1, s3, s1
	s_load_dwordx2 s[14:15], s[0:1], 0x0
	s_waitcnt vmcnt(1)
	v_mov_b32_e32 v9, v8
	v_max_f32_e32 v8, v6, v6
	v_mov_b32_e32 v10, v7
	s_add_i32 s11, s11, -1
	s_waitcnt lgkmcnt(0)
	v_max_f32_e64 v7, s14, s14
	v_max_f32_e32 v7, v8, v7
	v_sub_f32_e32 v11, s14, v7
	v_sub_f32_e32 v8, v6, v7
	v_mul_f32_e32 v12, 0x3fb8aa3b, v11
	v_mov_b32_e32 v6, v7
	v_mul_f32_e32 v7, 0x3fb8aa3b, v8
	v_fma_f32 v15, v11, s6, -v12
	v_rndne_f32_e32 v16, v12
	v_fma_f32 v13, v8, s6, -v7
	v_rndne_f32_e32 v14, v7
	v_fmac_f32_e32 v15, 0x32a5705f, v11
	v_sub_f32_e32 v12, v12, v16
	v_fmac_f32_e32 v13, 0x32a5705f, v8
	v_sub_f32_e32 v7, v7, v14
	v_add_f32_e32 v12, v12, v15
	v_cvt_i32_f32_e32 v16, v16
	v_add_f32_e32 v7, v7, v13
	v_exp_f32_e32 v12, v12
	v_cvt_i32_f32_e32 v14, v14
	v_exp_f32_e32 v7, v7
	v_cmp_ngt_f32_e32 vcc, s7, v11
	v_ldexp_f32 v12, v12, v16
	v_cmp_ngt_f32_e64 s[0:1], s7, v8
	v_ldexp_f32 v7, v7, v14
	v_cndmask_b32_e32 v12, 0, v12, vcc
	v_cmp_nlt_f32_e32 vcc, s8, v11
	v_cndmask_b32_e64 v7, 0, v7, s[0:1]
	v_cmp_nlt_f32_e64 s[0:1], s8, v8
	v_cndmask_b32_e32 v12, v5, v12, vcc
	v_cmp_le_f32_e32 vcc, s12, v11
	v_cndmask_b32_e64 v7, v5, v7, s[0:1]
	v_cmp_le_f32_e64 s[0:1], s12, v8
	v_cndmask_b32_e32 v8, 0, v12, vcc
	s_add_i32 s4, s4, -8
	v_cndmask_b32_e64 v11, 0, v7, s[0:1]
	v_mul_f32_e32 v7, s15, v8
	v_add_u32_e32 v3, 0xfffff800, v3
	s_cmp_le_i32 s11, s9
	v_fmac_f32_e32 v7, v10, v11
	s_waitcnt vmcnt(0)
	v_mul_f32_e32 v8, v4, v8
	v_fmac_f32_e32 v8, v9, v11
	s_cbranch_scc0 .LBB34_3
	s_branch .LBB34_5
.LBB34_4:
	s_waitcnt lgkmcnt(0)
	v_mov_b32_e32 v7, s5
.LBB34_5:
	s_waitcnt vmcnt(0)
	v_div_scale_f32 v0, s[0:1], v7, v7, v8
	v_div_scale_f32 v3, vcc, v8, v7, v8
	v_rcp_f32_e32 v4, v0
	v_fma_f32 v5, -v0, v4, 1.0
	v_fmac_f32_e32 v4, v5, v4
	v_mul_f32_e32 v5, v3, v4
	v_fma_f32 v6, -v0, v5, v3
	v_fmac_f32_e32 v5, v6, v4
	v_fma_f32 v0, -v0, v5, v3
	v_div_fmas_f32 v0, v0, v4, v5
	v_div_fixup_f32 v0, v0, v7, v8
	global_store_dword v[1:2], v0, off
.LBB34_6:
	s_endpgm
	.section	.rodata,"a",@progbits
	.p2align	6, 0x0
	.amdhsa_kernel _ZL33flash_attn_stream_k_fixup_uniformILi256ELi4ELi2EEvPfPK15HIP_vector_typeIfLj2EEiiiiiiS1_IjLj3EES5_S5_
		.amdhsa_group_segment_fixed_size 0
		.amdhsa_private_segment_fixed_size 0
		.amdhsa_kernarg_size 76
		.amdhsa_user_sgpr_count 6
		.amdhsa_user_sgpr_private_segment_buffer 1
		.amdhsa_user_sgpr_dispatch_ptr 0
		.amdhsa_user_sgpr_queue_ptr 0
		.amdhsa_user_sgpr_kernarg_segment_ptr 1
		.amdhsa_user_sgpr_dispatch_id 0
		.amdhsa_user_sgpr_flat_scratch_init 0
		.amdhsa_user_sgpr_private_segment_size 0
		.amdhsa_uses_dynamic_stack 0
		.amdhsa_system_sgpr_private_segment_wavefront_offset 0
		.amdhsa_system_sgpr_workgroup_id_x 1
		.amdhsa_system_sgpr_workgroup_id_y 1
		.amdhsa_system_sgpr_workgroup_id_z 1
		.amdhsa_system_sgpr_workgroup_info 0
		.amdhsa_system_vgpr_workitem_id 0
		.amdhsa_next_free_vgpr 17
		.amdhsa_next_free_sgpr 20
		.amdhsa_reserve_vcc 1
		.amdhsa_reserve_flat_scratch 0
		.amdhsa_float_round_mode_32 0
		.amdhsa_float_round_mode_16_64 0
		.amdhsa_float_denorm_mode_32 3
		.amdhsa_float_denorm_mode_16_64 3
		.amdhsa_dx10_clamp 1
		.amdhsa_ieee_mode 1
		.amdhsa_fp16_overflow 0
		.amdhsa_exception_fp_ieee_invalid_op 0
		.amdhsa_exception_fp_denorm_src 0
		.amdhsa_exception_fp_ieee_div_zero 0
		.amdhsa_exception_fp_ieee_overflow 0
		.amdhsa_exception_fp_ieee_underflow 0
		.amdhsa_exception_fp_ieee_inexact 0
		.amdhsa_exception_int_div_zero 0
	.end_amdhsa_kernel
	.section	.text._ZL33flash_attn_stream_k_fixup_uniformILi256ELi4ELi2EEvPfPK15HIP_vector_typeIfLj2EEiiiiiiS1_IjLj3EES5_S5_,"axG",@progbits,_ZL33flash_attn_stream_k_fixup_uniformILi256ELi4ELi2EEvPfPK15HIP_vector_typeIfLj2EEiiiiiiS1_IjLj3EES5_S5_,comdat
.Lfunc_end34:
	.size	_ZL33flash_attn_stream_k_fixup_uniformILi256ELi4ELi2EEvPfPK15HIP_vector_typeIfLj2EEiiiiiiS1_IjLj3EES5_S5_, .Lfunc_end34-_ZL33flash_attn_stream_k_fixup_uniformILi256ELi4ELi2EEvPfPK15HIP_vector_typeIfLj2EEiiiiiiS1_IjLj3EES5_S5_
                                        ; -- End function
	.set _ZL33flash_attn_stream_k_fixup_uniformILi256ELi4ELi2EEvPfPK15HIP_vector_typeIfLj2EEiiiiiiS1_IjLj3EES5_S5_.num_vgpr, 17
	.set _ZL33flash_attn_stream_k_fixup_uniformILi256ELi4ELi2EEvPfPK15HIP_vector_typeIfLj2EEiiiiiiS1_IjLj3EES5_S5_.num_agpr, 0
	.set _ZL33flash_attn_stream_k_fixup_uniformILi256ELi4ELi2EEvPfPK15HIP_vector_typeIfLj2EEiiiiiiS1_IjLj3EES5_S5_.numbered_sgpr, 20
	.set _ZL33flash_attn_stream_k_fixup_uniformILi256ELi4ELi2EEvPfPK15HIP_vector_typeIfLj2EEiiiiiiS1_IjLj3EES5_S5_.num_named_barrier, 0
	.set _ZL33flash_attn_stream_k_fixup_uniformILi256ELi4ELi2EEvPfPK15HIP_vector_typeIfLj2EEiiiiiiS1_IjLj3EES5_S5_.private_seg_size, 0
	.set _ZL33flash_attn_stream_k_fixup_uniformILi256ELi4ELi2EEvPfPK15HIP_vector_typeIfLj2EEiiiiiiS1_IjLj3EES5_S5_.uses_vcc, 1
	.set _ZL33flash_attn_stream_k_fixup_uniformILi256ELi4ELi2EEvPfPK15HIP_vector_typeIfLj2EEiiiiiiS1_IjLj3EES5_S5_.uses_flat_scratch, 0
	.set _ZL33flash_attn_stream_k_fixup_uniformILi256ELi4ELi2EEvPfPK15HIP_vector_typeIfLj2EEiiiiiiS1_IjLj3EES5_S5_.has_dyn_sized_stack, 0
	.set _ZL33flash_attn_stream_k_fixup_uniformILi256ELi4ELi2EEvPfPK15HIP_vector_typeIfLj2EEiiiiiiS1_IjLj3EES5_S5_.has_recursion, 0
	.set _ZL33flash_attn_stream_k_fixup_uniformILi256ELi4ELi2EEvPfPK15HIP_vector_typeIfLj2EEiiiiiiS1_IjLj3EES5_S5_.has_indirect_call, 0
	.section	.AMDGPU.csdata,"",@progbits
; Kernel info:
; codeLenInByte = 856
; TotalNumSgprs: 24
; NumVgprs: 17
; ScratchSize: 0
; MemoryBound: 0
; FloatMode: 240
; IeeeMode: 1
; LDSByteSize: 0 bytes/workgroup (compile time only)
; SGPRBlocks: 2
; VGPRBlocks: 4
; NumSGPRsForWavesPerEU: 24
; NumVGPRsForWavesPerEU: 17
; Occupancy: 10
; WaveLimiterHint : 0
; COMPUTE_PGM_RSRC2:SCRATCH_EN: 0
; COMPUTE_PGM_RSRC2:USER_SGPR: 6
; COMPUTE_PGM_RSRC2:TRAP_HANDLER: 0
; COMPUTE_PGM_RSRC2:TGID_X_EN: 1
; COMPUTE_PGM_RSRC2:TGID_Y_EN: 1
; COMPUTE_PGM_RSRC2:TGID_Z_EN: 1
; COMPUTE_PGM_RSRC2:TIDIG_COMP_CNT: 0
	.section	.text._ZL33flash_attn_stream_k_fixup_generalILi256ELi4ELi2EEvPfPK15HIP_vector_typeIfLj2EEiiiiS1_IjLj3EES5_S5_S5_,"axG",@progbits,_ZL33flash_attn_stream_k_fixup_generalILi256ELi4ELi2EEvPfPK15HIP_vector_typeIfLj2EEiiiiS1_IjLj3EES5_S5_S5_,comdat
	.globl	_ZL33flash_attn_stream_k_fixup_generalILi256ELi4ELi2EEvPfPK15HIP_vector_typeIfLj2EEiiiiS1_IjLj3EES5_S5_S5_ ; -- Begin function _ZL33flash_attn_stream_k_fixup_generalILi256ELi4ELi2EEvPfPK15HIP_vector_typeIfLj2EEiiiiS1_IjLj3EES5_S5_S5_
	.p2align	8
	.type	_ZL33flash_attn_stream_k_fixup_generalILi256ELi4ELi2EEvPfPK15HIP_vector_typeIfLj2EEiiiiS1_IjLj3EES5_S5_S5_,@function
_ZL33flash_attn_stream_k_fixup_generalILi256ELi4ELi2EEvPfPK15HIP_vector_typeIfLj2EEiiiiS1_IjLj3EES5_S5_S5_: ; @_ZL33flash_attn_stream_k_fixup_generalILi256ELi4ELi2EEvPfPK15HIP_vector_typeIfLj2EEiiiiS1_IjLj3EES5_S5_S5_
; %bb.0:
	s_load_dwordx4 s[0:3], s[4:5], 0x10
	s_load_dword s22, s[4:5], 0x50
	s_mov_b32 s12, 0
	s_waitcnt lgkmcnt(0)
	s_mul_hi_i32 s13, s3, s6
	s_cmp_lg_u64 s[12:13], 0
	s_mul_i32 s9, s3, s6
	s_cbranch_scc0 .LBB35_20
; %bb.1:
	s_add_u32 s10, s22, 0
	s_addc_u32 s11, 0, 0
	s_xor_b64 s[10:11], s[10:11], 0
	v_cvt_f32_u32_e32 v1, s10
	v_cvt_f32_u32_e32 v2, s11
	s_sub_u32 s12, 0, s10
	s_subb_u32 s18, 0, s11
	v_madmk_f32 v1, v2, 0x4f800000, v1
	v_rcp_f32_e32 v1, v1
	v_mul_f32_e32 v1, 0x5f7ffffc, v1
	v_mul_f32_e32 v2, 0x2f800000, v1
	v_trunc_f32_e32 v2, v2
	v_madmk_f32 v1, v2, 0xcf800000, v1
	v_cvt_u32_f32_e32 v2, v2
	v_cvt_u32_f32_e32 v1, v1
	v_readfirstlane_b32 s19, v2
	v_readfirstlane_b32 s14, v1
	s_mul_i32 s15, s12, s19
	s_mul_hi_u32 s21, s12, s14
	s_mul_i32 s20, s18, s14
	s_add_i32 s15, s21, s15
	s_add_i32 s15, s15, s20
	s_mul_i32 s23, s12, s14
	s_mul_i32 s21, s14, s15
	s_mul_hi_u32 s24, s14, s23
	s_mul_hi_u32 s20, s14, s15
	s_add_u32 s21, s24, s21
	s_addc_u32 s20, 0, s20
	s_mul_hi_u32 s25, s19, s23
	s_mul_i32 s23, s19, s23
	s_add_u32 s21, s21, s23
	s_mul_hi_u32 s24, s19, s15
	s_addc_u32 s20, s20, s25
	s_addc_u32 s21, s24, 0
	s_mul_i32 s15, s19, s15
	s_add_u32 s15, s20, s15
	s_addc_u32 s20, 0, s21
	s_add_u32 s21, s14, s15
	s_cselect_b64 s[14:15], -1, 0
	s_cmp_lg_u64 s[14:15], 0
	s_addc_u32 s19, s19, s20
	s_mul_i32 s14, s12, s19
	s_mul_hi_u32 s15, s12, s21
	s_add_i32 s14, s15, s14
	s_mul_i32 s18, s18, s21
	s_add_i32 s14, s14, s18
	s_mul_i32 s12, s12, s21
	s_mul_hi_u32 s18, s19, s12
	s_mul_i32 s20, s19, s12
	s_mul_i32 s24, s21, s14
	s_mul_hi_u32 s12, s21, s12
	s_mul_hi_u32 s23, s21, s14
	s_add_u32 s12, s12, s24
	s_addc_u32 s23, 0, s23
	s_add_u32 s12, s12, s20
	s_mul_hi_u32 s15, s19, s14
	s_addc_u32 s12, s23, s18
	s_addc_u32 s15, s15, 0
	s_mul_i32 s14, s19, s14
	s_add_u32 s12, s12, s14
	s_addc_u32 s18, 0, s15
	s_add_u32 s20, s21, s12
	s_cselect_b64 s[14:15], -1, 0
	s_cmp_lg_u64 s[14:15], 0
	s_addc_u32 s18, s19, s18
	s_ashr_i32 s14, s13, 31
	s_add_u32 s12, s9, s14
	s_mov_b32 s15, s14
	s_addc_u32 s13, s13, s14
	s_xor_b64 s[12:13], s[12:13], s[14:15]
	s_mul_i32 s21, s12, s18
	s_mul_hi_u32 s23, s12, s20
	s_mul_hi_u32 s19, s12, s18
	s_add_u32 s21, s23, s21
	s_addc_u32 s19, 0, s19
	s_mul_hi_u32 s24, s13, s20
	s_mul_i32 s20, s13, s20
	s_add_u32 s20, s21, s20
	s_mul_hi_u32 s23, s13, s18
	s_addc_u32 s19, s19, s24
	s_addc_u32 s20, s23, 0
	s_mul_i32 s18, s13, s18
	s_add_u32 s23, s19, s18
	s_addc_u32 s24, 0, s20
	s_mul_i32 s18, s10, s24
	s_mul_hi_u32 s19, s10, s23
	s_add_i32 s18, s19, s18
	s_mul_i32 s19, s11, s23
	s_add_i32 s25, s18, s19
	s_sub_i32 s20, s13, s25
	s_mul_i32 s18, s10, s23
	s_sub_u32 s12, s12, s18
	s_cselect_b64 s[18:19], -1, 0
	s_cmp_lg_u64 s[18:19], 0
	s_subb_u32 s26, s20, s11
	s_sub_u32 s27, s12, s10
	s_cselect_b64 s[20:21], -1, 0
	s_cmp_lg_u64 s[20:21], 0
	s_subb_u32 s20, s26, 0
	s_cmp_ge_u32 s20, s11
	s_cselect_b32 s21, -1, 0
	s_cmp_ge_u32 s27, s10
	s_cselect_b32 s26, -1, 0
	s_cmp_eq_u32 s20, s11
	s_cselect_b32 s20, s26, s21
	s_add_u32 s21, s23, 1
	s_addc_u32 s26, s24, 0
	s_add_u32 s27, s23, 2
	s_addc_u32 s28, s24, 0
	s_cmp_lg_u32 s20, 0
	s_cselect_b32 s20, s27, s21
	s_cselect_b32 s21, s28, s26
	s_cmp_lg_u64 s[18:19], 0
	s_subb_u32 s13, s13, s25
	s_cmp_ge_u32 s13, s11
	s_cselect_b32 s18, -1, 0
	s_cmp_ge_u32 s12, s10
	s_cselect_b32 s10, -1, 0
	s_cmp_eq_u32 s13, s11
	s_cselect_b32 s10, s10, s18
	s_cmp_lg_u32 s10, 0
	s_cselect_b32 s11, s21, s24
	s_cselect_b32 s10, s20, s23
	s_xor_b64 s[12:13], s[14:15], 0
	s_xor_b64 s[10:11], s[10:11], s[12:13]
	s_sub_u32 s10, s10, s12
	s_load_dwordx4 s[12:15], s[4:5], 0x44
	s_cbranch_execnz .LBB35_3
.LBB35_2:
	v_cvt_f32_u32_e32 v1, s22
	s_sub_i32 s10, 0, s22
	v_rcp_iflag_f32_e32 v1, v1
	v_mul_f32_e32 v1, 0x4f7ffffe, v1
	v_cvt_u32_f32_e32 v1, v1
	v_readfirstlane_b32 s11, v1
	s_mul_i32 s10, s10, s11
	s_mul_hi_u32 s10, s11, s10
	s_add_i32 s11, s11, s10
	s_mul_hi_u32 s10, s9, s11
	s_waitcnt lgkmcnt(0)
	s_mul_i32 s15, s10, s22
	s_sub_i32 s9, s9, s15
	s_add_i32 s11, s10, 1
	s_sub_i32 s15, s9, s22
	s_cmp_ge_u32 s9, s22
	s_cselect_b32 s10, s11, s10
	s_cselect_b32 s9, s15, s9
	s_add_i32 s11, s10, 1
	s_cmp_ge_u32 s9, s22
	s_cselect_b32 s10, s11, s10
.LBB35_3:
	s_add_i32 s9, s6, 1
	s_mul_hi_i32 s21, s3, s9
	s_mov_b32 s20, 0
	s_cmp_lg_u64 s[20:21], 0
	s_mul_i32 s9, s3, s9
	s_cbranch_scc0 .LBB35_21
; %bb.4:
	s_add_u32 s16, s22, 0
	s_addc_u32 s17, 0, 0
	s_xor_b64 s[18:19], s[16:17], 0
	v_cvt_f32_u32_e32 v1, s18
	v_cvt_f32_u32_e32 v2, s19
	s_sub_u32 s11, 0, s18
	s_waitcnt lgkmcnt(0)
	s_subb_u32 s15, 0, s19
	v_madmk_f32 v1, v2, 0x4f800000, v1
	v_rcp_f32_e32 v1, v1
	v_mul_f32_e32 v1, 0x5f7ffffc, v1
	v_mul_f32_e32 v2, 0x2f800000, v1
	v_trunc_f32_e32 v2, v2
	v_madmk_f32 v1, v2, 0xcf800000, v1
	v_cvt_u32_f32_e32 v2, v2
	v_cvt_u32_f32_e32 v1, v1
	v_readfirstlane_b32 s20, v2
	v_readfirstlane_b32 s23, v1
	s_mul_i32 s24, s11, s20
	s_mul_hi_u32 s26, s11, s23
	s_mul_i32 s25, s15, s23
	s_add_i32 s24, s26, s24
	s_add_i32 s24, s24, s25
	s_mul_i32 s27, s11, s23
	s_mul_i32 s26, s23, s24
	s_mul_hi_u32 s28, s23, s27
	s_mul_hi_u32 s25, s23, s24
	s_add_u32 s26, s28, s26
	s_addc_u32 s25, 0, s25
	s_mul_hi_u32 s29, s20, s27
	s_mul_i32 s27, s20, s27
	s_add_u32 s26, s26, s27
	s_mul_hi_u32 s28, s20, s24
	s_addc_u32 s25, s25, s29
	s_addc_u32 s26, s28, 0
	s_mul_i32 s24, s20, s24
	s_add_u32 s24, s25, s24
	s_addc_u32 s26, 0, s26
	s_add_u32 s23, s23, s24
	s_cselect_b64 s[24:25], -1, 0
	s_cmp_lg_u64 s[24:25], 0
	s_addc_u32 s20, s20, s26
	s_mul_i32 s24, s11, s20
	s_mul_hi_u32 s25, s11, s23
	s_add_i32 s24, s25, s24
	s_mul_i32 s15, s15, s23
	s_add_i32 s24, s24, s15
	s_mul_i32 s11, s11, s23
	s_mul_hi_u32 s25, s20, s11
	s_mul_i32 s26, s20, s11
	s_mul_i32 s28, s23, s24
	s_mul_hi_u32 s11, s23, s11
	s_mul_hi_u32 s27, s23, s24
	s_add_u32 s11, s11, s28
	s_addc_u32 s27, 0, s27
	s_add_u32 s11, s11, s26
	s_mul_hi_u32 s15, s20, s24
	s_addc_u32 s11, s27, s25
	s_addc_u32 s15, s15, 0
	s_mul_i32 s24, s20, s24
	s_add_u32 s11, s11, s24
	s_addc_u32 s15, 0, s15
	s_add_u32 s11, s23, s11
	s_cselect_b64 s[24:25], -1, 0
	s_cmp_lg_u64 s[24:25], 0
	s_addc_u32 s15, s20, s15
	s_ashr_i32 s24, s21, 31
	s_add_u32 s20, s9, s24
	s_mov_b32 s25, s24
	s_addc_u32 s21, s21, s24
	s_xor_b64 s[20:21], s[20:21], s[24:25]
	s_mul_i32 s26, s20, s15
	s_mul_hi_u32 s27, s20, s11
	s_mul_hi_u32 s23, s20, s15
	s_add_u32 s26, s27, s26
	s_addc_u32 s23, 0, s23
	s_mul_hi_u32 s28, s21, s11
	s_mul_i32 s11, s21, s11
	s_add_u32 s11, s26, s11
	s_mul_hi_u32 s27, s21, s15
	s_addc_u32 s11, s23, s28
	s_addc_u32 s23, s27, 0
	s_mul_i32 s15, s21, s15
	s_add_u32 s11, s11, s15
	s_addc_u32 s15, 0, s23
	s_mul_i32 s23, s18, s15
	s_mul_hi_u32 s26, s18, s11
	s_add_i32 s23, s26, s23
	s_mul_i32 s26, s19, s11
	s_add_i32 s23, s23, s26
	s_sub_i32 s28, s21, s23
	s_mul_i32 s26, s18, s11
	s_sub_u32 s20, s20, s26
	s_cselect_b64 s[26:27], -1, 0
	s_cmp_lg_u64 s[26:27], 0
	s_subb_u32 s30, s28, s19
	s_sub_u32 s31, s20, s18
	s_cselect_b64 s[28:29], -1, 0
	s_cmp_lg_u64 s[28:29], 0
	s_subb_u32 s28, s30, 0
	s_cmp_ge_u32 s28, s19
	s_cselect_b32 s29, -1, 0
	s_cmp_ge_u32 s31, s18
	s_cselect_b32 s30, -1, 0
	s_cmp_eq_u32 s28, s19
	s_cselect_b32 s28, s30, s29
	s_add_u32 s29, s11, 1
	s_addc_u32 s30, s15, 0
	s_add_u32 s31, s11, 2
	s_addc_u32 s33, s15, 0
	s_cmp_lg_u32 s28, 0
	s_cselect_b32 s28, s31, s29
	s_cselect_b32 s29, s33, s30
	s_cmp_lg_u64 s[26:27], 0
	s_subb_u32 s21, s21, s23
	s_cmp_ge_u32 s21, s19
	s_cselect_b32 s23, -1, 0
	s_cmp_ge_u32 s20, s18
	s_cselect_b32 s18, -1, 0
	s_cmp_eq_u32 s21, s19
	s_cselect_b32 s18, s18, s23
	s_cmp_lg_u32 s18, 0
	s_cselect_b32 s19, s29, s15
	s_cselect_b32 s18, s28, s11
	s_xor_b64 s[20:21], s[24:25], 0
	s_xor_b64 s[18:19], s[18:19], s[20:21]
	s_sub_u32 s18, s18, s20
	s_cbranch_execnz .LBB35_6
.LBB35_5:
	v_cvt_f32_u32_e32 v1, s22
	s_sub_i32 s11, 0, s22
	v_rcp_iflag_f32_e32 v1, v1
	v_mul_f32_e32 v1, 0x4f7ffffe, v1
	v_cvt_u32_f32_e32 v1, v1
	s_waitcnt lgkmcnt(0)
	v_readfirstlane_b32 s15, v1
	s_mul_i32 s11, s11, s15
	s_mul_hi_u32 s11, s15, s11
	s_add_i32 s15, s15, s11
	s_mul_hi_u32 s11, s9, s15
	s_mul_i32 s16, s11, s22
	s_sub_i32 s9, s9, s16
	s_add_i32 s15, s11, 1
	s_sub_i32 s16, s9, s22
	s_cmp_ge_u32 s9, s22
	s_cselect_b32 s11, s15, s11
	s_cselect_b32 s9, s16, s9
	s_add_i32 s15, s11, 1
	s_cmp_ge_u32 s9, s22
	s_cselect_b32 s18, s15, s11
.LBB35_6:
	s_cmp_eq_u32 s10, s18
	s_waitcnt lgkmcnt(0)
	s_mul_hi_u32 s9, s10, s12
	s_cselect_b64 s[16:17], -1, 0
	s_add_i32 s9, s9, s10
	s_lshr_b32 s11, s9, s13
	s_mul_i32 s9, s11, s14
	s_cmp_eq_u32 s9, s10
	s_mul_hi_u32 s9, s18, s12
	s_cselect_b64 s[20:21], -1, 0
	s_add_i32 s9, s9, s18
	s_lshr_b32 s9, s9, s13
	s_cmp_eq_u32 s11, s9
	s_mul_i32 s9, s9, s14
	s_cselect_b64 s[24:25], -1, 0
	s_cmp_lg_u32 s9, s18
	s_cselect_b64 s[18:19], -1, 0
	s_and_b64 s[18:19], s[24:25], s[18:19]
	s_or_b64 s[16:17], s[16:17], s[20:21]
	s_or_b64 s[16:17], s[16:17], s[18:19]
	s_and_b64 vcc, exec, s[16:17]
	s_cbranch_vccnz .LBB35_23
; %bb.7:
	s_load_dwordx8 s[24:31], s[4:5], 0x20
	s_load_dword s15, s[4:5], 0x40
	s_waitcnt lgkmcnt(0)
	s_mul_hi_u32 s9, s10, s24
	s_add_i32 s9, s9, s10
	s_lshr_b32 s9, s9, s25
	s_mul_i32 s16, s9, s26
	s_sub_i32 s16, s10, s16
	s_mul_hi_u32 s17, s16, s27
	s_add_i32 s17, s16, s17
	s_lshr_b32 s23, s17, s28
	s_mul_i32 s17, s23, s29
	s_sub_i32 s16, s16, s17
	;; [unrolled: 5-line block ×3, first 2 shown]
	s_mul_hi_u32 s16, s15, s12
	s_add_i32 s15, s15, s16
	s_lshr_b32 s25, s15, s13
	s_lshl_b32 s15, s25, 2
	s_lshl_b32 s24, s17, 1
	s_add_i32 s15, s15, s7
	s_cmp_lt_i32 s15, s0
	s_cselect_b64 s[16:17], -1, 0
	s_add_i32 s15, s24, s8
	s_cmp_lt_i32 s15, s2
	s_cselect_b64 s[18:19], -1, 0
	s_and_b64 s[16:17], s[16:17], s[18:19]
	s_andn2_b64 vcc, exec, s[16:17]
	s_cbranch_vccnz .LBB35_23
; %bb.8:
	s_load_dwordx4 s[16:19], s[4:5], 0x0
	s_mov_b32 s4, 0
	s_lshl_b32 s15, s7, 1
	s_lshl_b32 s20, s22, 5
	s_mov_b32 s21, s4
	s_add_i32 s15, s15, s8
	s_lshl_b64 s[20:21], s[20:21], 2
	s_waitcnt lgkmcnt(0)
	s_add_u32 s20, s18, s20
	s_mul_i32 s0, s9, s0
	s_addc_u32 s21, s19, s21
	s_add_i32 s0, s0, s7
	s_mul_i32 s0, s0, s1
	s_mul_i32 s23, s23, s2
	s_add_i32 s0, s0, s8
	s_add_i32 s0, s0, s23
	s_mul_i32 s2, s1, s25
	s_add_i32 s0, s0, s24
	s_lshl_b32 s2, s2, 10
	s_lshl_b32 s0, s0, 8
	s_add_i32 s2, s2, s0
	v_or_b32_e32 v1, s2, v0
	v_ashrrev_i32_e32 v2, 31, v1
	v_lshlrev_b64 v[1:2], 2, v[1:2]
	v_mov_b32_e32 v3, s17
	v_add_co_u32_e32 v1, vcc, s16, v1
	v_addc_co_u32_e32 v2, vcc, v3, v2, vcc
	global_load_dword v3, v[1:2], off
	v_cvt_f32_u32_e32 v4, s22
	s_lshl_b32 s0, s6, 3
	s_add_i32 s0, s15, s0
	s_ashr_i32 s1, s0, 31
	s_lshl_b64 s[0:1], s[0:1], 3
	v_rcp_iflag_f32_e32 v4, v4
	s_add_u32 s0, s18, s0
	s_addc_u32 s1, s19, s1
	s_load_dwordx2 s[0:1], s[0:1], 0x0
	v_mul_f32_e32 v4, 0x4f7ffffe, v4
	v_cvt_u32_f32_e32 v4, v4
	s_add_i32 s24, s6, -1
	v_lshl_or_b32 v0, s15, 8, v0
	s_waitcnt lgkmcnt(0)
	v_mov_b32_e32 v6, s1
	v_mov_b32_e32 v7, s0
	s_mov_b32 s2, 0x3fb8aa3b
	s_mov_b32 s16, 0xc2ce8ed0
	;; [unrolled: 1-line block ×4, first 2 shown]
	v_mov_b32_e32 v5, 0x7f800000
	s_mul_hi_i32 s5, s24, s3
	s_cmp_lg_u64 s[4:5], 0
	s_mul_i32 s8, s24, s3
	s_cbranch_scc0 .LBB35_19
.LBB35_9:
	s_add_u32 s0, s22, 0
	s_addc_u32 s1, 0, 0
	s_xor_b64 s[0:1], s[0:1], 0
	v_cvt_f32_u32_e32 v8, s0
	v_cvt_f32_u32_e32 v9, s1
	s_sub_u32 s9, 0, s0
	s_subb_u32 s25, 0, s1
	v_mac_f32_e32 v8, 0x4f800000, v9
	v_rcp_f32_e32 v8, v8
	v_mul_f32_e32 v8, 0x5f7ffffc, v8
	v_mul_f32_e32 v9, 0x2f800000, v8
	v_trunc_f32_e32 v9, v9
	v_mac_f32_e32 v8, 0xcf800000, v9
	v_cvt_u32_f32_e32 v9, v9
	v_cvt_u32_f32_e32 v8, v8
	v_readfirstlane_b32 s26, v9
	v_readfirstlane_b32 s6, v8
	s_mul_i32 s7, s9, s26
	s_mul_hi_u32 s28, s9, s6
	s_mul_i32 s27, s25, s6
	s_add_i32 s7, s28, s7
	s_mul_i32 s29, s9, s6
	s_add_i32 s7, s7, s27
	s_mul_i32 s28, s6, s7
	s_mul_hi_u32 s30, s6, s29
	s_mul_hi_u32 s27, s6, s7
	s_add_u32 s28, s30, s28
	s_addc_u32 s27, 0, s27
	s_mul_hi_u32 s31, s26, s29
	s_mul_i32 s29, s26, s29
	s_add_u32 s28, s28, s29
	s_mul_hi_u32 s30, s26, s7
	s_addc_u32 s27, s27, s31
	s_addc_u32 s28, s30, 0
	s_mul_i32 s7, s26, s7
	s_add_u32 s7, s27, s7
	s_addc_u32 s27, 0, s28
	s_add_u32 s28, s6, s7
	s_cselect_b64 s[6:7], -1, 0
	s_cmp_lg_u64 s[6:7], 0
	s_addc_u32 s26, s26, s27
	s_mul_i32 s6, s9, s26
	s_mul_hi_u32 s7, s9, s28
	s_add_i32 s6, s7, s6
	s_mul_i32 s25, s25, s28
	s_add_i32 s6, s6, s25
	s_mul_i32 s9, s9, s28
	s_mul_hi_u32 s25, s26, s9
	s_mul_i32 s27, s26, s9
	s_mul_i32 s30, s28, s6
	s_mul_hi_u32 s9, s28, s9
	s_mul_hi_u32 s29, s28, s6
	s_add_u32 s9, s9, s30
	s_addc_u32 s29, 0, s29
	s_add_u32 s9, s9, s27
	s_mul_hi_u32 s7, s26, s6
	s_addc_u32 s9, s29, s25
	s_addc_u32 s7, s7, 0
	s_mul_i32 s6, s26, s6
	s_add_u32 s6, s9, s6
	s_addc_u32 s9, 0, s7
	s_add_u32 s25, s28, s6
	s_cselect_b64 s[6:7], -1, 0
	s_cmp_lg_u64 s[6:7], 0
	s_addc_u32 s9, s26, s9
	s_ashr_i32 s6, s5, 31
	s_add_u32 s26, s8, s6
	s_mov_b32 s7, s6
	s_addc_u32 s27, s5, s6
	s_xor_b64 s[26:27], s[26:27], s[6:7]
	s_mul_i32 s28, s26, s9
	s_mul_hi_u32 s29, s26, s25
	s_mul_hi_u32 s5, s26, s9
	s_add_u32 s28, s29, s28
	s_addc_u32 s5, 0, s5
	s_mul_hi_u32 s30, s27, s25
	s_mul_i32 s25, s27, s25
	s_add_u32 s25, s28, s25
	s_mul_hi_u32 s29, s27, s9
	s_addc_u32 s5, s5, s30
	s_addc_u32 s25, s29, 0
	s_mul_i32 s9, s27, s9
	s_add_u32 s5, s5, s9
	s_addc_u32 s9, 0, s25
	s_mul_i32 s25, s0, s9
	s_mul_hi_u32 s28, s0, s5
	s_add_i32 s25, s28, s25
	s_mul_i32 s28, s1, s5
	s_add_i32 s25, s25, s28
	s_sub_i32 s30, s27, s25
	s_mul_i32 s28, s0, s5
	s_sub_u32 s26, s26, s28
	s_cselect_b64 s[28:29], -1, 0
	s_cmp_lg_u64 s[28:29], 0
	s_subb_u32 s33, s30, s1
	s_sub_u32 s34, s26, s0
	s_cselect_b64 s[30:31], -1, 0
	s_cmp_lg_u64 s[30:31], 0
	s_subb_u32 s30, s33, 0
	s_cmp_ge_u32 s30, s1
	s_cselect_b32 s31, -1, 0
	s_cmp_ge_u32 s34, s0
	s_cselect_b32 s33, -1, 0
	s_cmp_eq_u32 s30, s1
	s_cselect_b32 s30, s33, s31
	s_add_u32 s31, s5, 1
	s_addc_u32 s33, s9, 0
	s_add_u32 s34, s5, 2
	s_addc_u32 s35, s9, 0
	s_cmp_lg_u32 s30, 0
	s_cselect_b32 s30, s34, s31
	s_cselect_b32 s31, s35, s33
	s_cmp_lg_u64 s[28:29], 0
	s_subb_u32 s25, s27, s25
	s_cmp_ge_u32 s25, s1
	s_cselect_b32 s27, -1, 0
	s_cmp_ge_u32 s26, s0
	s_cselect_b32 s0, -1, 0
	s_cmp_eq_u32 s25, s1
	s_cselect_b32 s0, s0, s27
	s_cmp_lg_u32 s0, 0
	s_cselect_b32 s1, s31, s9
	s_cselect_b32 s0, s30, s5
	s_xor_b64 s[6:7], s[6:7], 0
	s_xor_b64 s[0:1], s[0:1], s[6:7]
	s_sub_u32 s6, s0, s6
	s_cbranch_execnz .LBB35_11
.LBB35_10:
	s_sub_i32 s0, 0, s22
	v_readfirstlane_b32 s1, v4
	s_mul_i32 s0, s0, s1
	s_mul_hi_u32 s0, s1, s0
	s_add_i32 s1, s1, s0
	s_mul_hi_u32 s0, s8, s1
	s_mul_i32 s5, s0, s22
	s_sub_i32 s5, s8, s5
	s_add_i32 s1, s0, 1
	s_sub_i32 s6, s5, s22
	s_cmp_ge_u32 s5, s22
	s_cselect_b32 s0, s1, s0
	s_cselect_b32 s5, s6, s5
	s_add_i32 s1, s0, 1
	s_cmp_ge_u32 s5, s22
	s_cselect_b32 s6, s1, s0
.LBB35_11:
	s_cmp_lg_u32 s10, s6
	s_mov_b64 s[8:9], -1
                                        ; implicit-def: $sgpr0_sgpr1
                                        ; implicit-def: $vgpr10
                                        ; implicit-def: $vgpr8
                                        ; implicit-def: $vgpr9
                                        ; implicit-def: $sgpr5
                                        ; implicit-def: $sgpr7
	s_cbranch_scc1 .LBB35_14
; %bb.12:
	s_andn2_b64 vcc, exec, s[8:9]
	s_cbranch_vccz .LBB35_17
.LBB35_13:
	s_andn2_b64 vcc, exec, s[0:1]
	s_cbranch_vccnz .LBB35_18
	s_branch .LBB35_22
.LBB35_14:
	s_add_i32 s0, s24, s22
	s_lshl_b32 s0, s0, 3
	s_add_i32 s0, s0, s15
	s_mov_b32 s1, s4
	s_lshl_b64 s[0:1], s[0:1], 3
	s_add_u32 s8, s18, s0
	s_mul_hi_u32 s0, s6, s12
	s_addc_u32 s9, s19, s1
	s_add_i32 s0, s0, s6
	s_lshr_b32 s5, s0, s13
	s_mul_i32 s0, s5, s14
	s_cmp_eq_u32 s0, s6
	s_cselect_b64 s[0:1], -1, 0
	s_cmp_lt_u32 s5, s11
	s_cselect_b64 s[26:27], -1, 0
	s_or_b64 s[26:27], s[26:27], s[0:1]
	s_mov_b64 s[0:1], -1
	s_and_b64 vcc, exec, s[26:27]
	s_mov_b32 s5, s24
	s_mov_b32 s7, s10
	s_cbranch_vccnz .LBB35_16
; %bb.15:
	s_add_i32 s5, s24, -1
	s_mov_b64 s[0:1], 0
	s_mov_b32 s7, s6
.LBB35_16:
	v_lshl_add_u32 v8, s24, 11, v0
	v_ashrrev_i32_e32 v9, 31, v8
	v_lshlrev_b64 v[8:9], 2, v[8:9]
	v_mov_b32_e32 v10, s21
	v_add_co_u32_e32 v8, vcc, s20, v8
	v_addc_co_u32_e32 v9, vcc, v10, v9, vcc
	global_load_dword v10, v[8:9], off
	s_load_dwordx2 s[8:9], s[8:9], 0x0
	v_max_f32_e32 v8, v7, v7
	s_waitcnt lgkmcnt(0)
	v_max_f32_e64 v9, s8, s8
	v_max_f32_e32 v8, v8, v9
	v_sub_f32_e32 v9, v7, v8
	v_sub_f32_e32 v11, s8, v8
	v_mul_f32_e32 v12, 0x3fb8aa3b, v9
	v_mul_f32_e32 v13, 0x3fb8aa3b, v11
	v_fma_f32 v14, v9, s2, -v12
	v_rndne_f32_e32 v15, v12
	v_fma_f32 v16, v11, s2, -v13
	v_rndne_f32_e32 v17, v13
	v_fmac_f32_e32 v14, 0x32a5705f, v9
	v_sub_f32_e32 v12, v12, v15
	v_fmac_f32_e32 v16, 0x32a5705f, v11
	v_sub_f32_e32 v13, v13, v17
	v_add_f32_e32 v12, v12, v14
	v_cvt_i32_f32_e32 v15, v15
	v_add_f32_e32 v13, v13, v16
	v_exp_f32_e32 v12, v12
	v_cvt_i32_f32_e32 v17, v17
	v_exp_f32_e32 v13, v13
	v_cmp_ngt_f32_e32 vcc, s16, v9
	v_ldexp_f32 v12, v12, v15
	v_cndmask_b32_e32 v12, 0, v12, vcc
	v_ldexp_f32 v13, v13, v17
	v_cmp_ngt_f32_e32 vcc, s16, v11
	v_cndmask_b32_e32 v13, 0, v13, vcc
	v_cmp_nlt_f32_e32 vcc, s17, v9
	v_cndmask_b32_e32 v12, v5, v12, vcc
	v_cmp_nlt_f32_e32 vcc, s17, v11
	v_cndmask_b32_e32 v13, v5, v13, vcc
	v_cmp_le_f32_e32 vcc, s23, v9
	v_cndmask_b32_e32 v12, 0, v12, vcc
	v_cmp_le_f32_e32 vcc, s23, v11
	v_cndmask_b32_e32 v11, 0, v13, vcc
	v_mul_f32_e32 v9, s9, v11
	v_fmac_f32_e32 v9, v6, v12
	s_waitcnt vmcnt(0)
	v_mul_f32_e32 v10, v10, v11
	v_fmac_f32_e32 v10, v3, v12
	s_cbranch_execnz .LBB35_13
.LBB35_17:
	s_add_i32 s5, s24, -1
	s_mov_b32 s7, s10
	v_mov_b32_e32 v9, v6
	v_mov_b32_e32 v8, v7
	s_waitcnt vmcnt(0)
	v_mov_b32_e32 v10, v3
	s_cbranch_execz .LBB35_22
.LBB35_18:
	s_mov_b32 s10, s7
	s_mov_b32 s24, s5
	v_mov_b32_e32 v6, v9
	v_mov_b32_e32 v7, v8
	s_waitcnt vmcnt(0)
	v_mov_b32_e32 v3, v10
	s_mul_hi_i32 s5, s24, s3
	s_cmp_lg_u64 s[4:5], 0
	s_mul_i32 s8, s24, s3
	s_cbranch_scc1 .LBB35_9
.LBB35_19:
                                        ; implicit-def: $sgpr6_sgpr7
	s_branch .LBB35_10
.LBB35_20:
                                        ; implicit-def: $sgpr10_sgpr11
	s_load_dwordx4 s[12:15], s[4:5], 0x44
	s_branch .LBB35_2
.LBB35_21:
                                        ; implicit-def: $sgpr18_sgpr19
	s_branch .LBB35_5
.LBB35_22:
	v_div_scale_f32 v0, s[0:1], v9, v9, v10
	s_waitcnt vmcnt(0)
	v_div_scale_f32 v3, vcc, v10, v9, v10
	v_rcp_f32_e32 v4, v0
	v_fma_f32 v5, -v0, v4, 1.0
	v_fmac_f32_e32 v4, v5, v4
	v_mul_f32_e32 v5, v3, v4
	v_fma_f32 v6, -v0, v5, v3
	v_fmac_f32_e32 v5, v6, v4
	v_fma_f32 v0, -v0, v5, v3
	v_div_fmas_f32 v0, v0, v4, v5
	v_div_fixup_f32 v0, v0, v9, v10
	global_store_dword v[1:2], v0, off
.LBB35_23:
	s_endpgm
	.section	.rodata,"a",@progbits
	.p2align	6, 0x0
	.amdhsa_kernel _ZL33flash_attn_stream_k_fixup_generalILi256ELi4ELi2EEvPfPK15HIP_vector_typeIfLj2EEiiiiS1_IjLj3EES5_S5_S5_
		.amdhsa_group_segment_fixed_size 0
		.amdhsa_private_segment_fixed_size 0
		.amdhsa_kernarg_size 336
		.amdhsa_user_sgpr_count 6
		.amdhsa_user_sgpr_private_segment_buffer 1
		.amdhsa_user_sgpr_dispatch_ptr 0
		.amdhsa_user_sgpr_queue_ptr 0
		.amdhsa_user_sgpr_kernarg_segment_ptr 1
		.amdhsa_user_sgpr_dispatch_id 0
		.amdhsa_user_sgpr_flat_scratch_init 0
		.amdhsa_user_sgpr_private_segment_size 0
		.amdhsa_uses_dynamic_stack 0
		.amdhsa_system_sgpr_private_segment_wavefront_offset 0
		.amdhsa_system_sgpr_workgroup_id_x 1
		.amdhsa_system_sgpr_workgroup_id_y 1
		.amdhsa_system_sgpr_workgroup_id_z 1
		.amdhsa_system_sgpr_workgroup_info 0
		.amdhsa_system_vgpr_workitem_id 0
		.amdhsa_next_free_vgpr 18
		.amdhsa_next_free_sgpr 36
		.amdhsa_reserve_vcc 1
		.amdhsa_reserve_flat_scratch 0
		.amdhsa_float_round_mode_32 0
		.amdhsa_float_round_mode_16_64 0
		.amdhsa_float_denorm_mode_32 3
		.amdhsa_float_denorm_mode_16_64 3
		.amdhsa_dx10_clamp 1
		.amdhsa_ieee_mode 1
		.amdhsa_fp16_overflow 0
		.amdhsa_exception_fp_ieee_invalid_op 0
		.amdhsa_exception_fp_denorm_src 0
		.amdhsa_exception_fp_ieee_div_zero 0
		.amdhsa_exception_fp_ieee_overflow 0
		.amdhsa_exception_fp_ieee_underflow 0
		.amdhsa_exception_fp_ieee_inexact 0
		.amdhsa_exception_int_div_zero 0
	.end_amdhsa_kernel
	.section	.text._ZL33flash_attn_stream_k_fixup_generalILi256ELi4ELi2EEvPfPK15HIP_vector_typeIfLj2EEiiiiS1_IjLj3EES5_S5_S5_,"axG",@progbits,_ZL33flash_attn_stream_k_fixup_generalILi256ELi4ELi2EEvPfPK15HIP_vector_typeIfLj2EEiiiiS1_IjLj3EES5_S5_S5_,comdat
.Lfunc_end35:
	.size	_ZL33flash_attn_stream_k_fixup_generalILi256ELi4ELi2EEvPfPK15HIP_vector_typeIfLj2EEiiiiS1_IjLj3EES5_S5_S5_, .Lfunc_end35-_ZL33flash_attn_stream_k_fixup_generalILi256ELi4ELi2EEvPfPK15HIP_vector_typeIfLj2EEiiiiS1_IjLj3EES5_S5_S5_
                                        ; -- End function
	.set _ZL33flash_attn_stream_k_fixup_generalILi256ELi4ELi2EEvPfPK15HIP_vector_typeIfLj2EEiiiiS1_IjLj3EES5_S5_S5_.num_vgpr, 18
	.set _ZL33flash_attn_stream_k_fixup_generalILi256ELi4ELi2EEvPfPK15HIP_vector_typeIfLj2EEiiiiS1_IjLj3EES5_S5_S5_.num_agpr, 0
	.set _ZL33flash_attn_stream_k_fixup_generalILi256ELi4ELi2EEvPfPK15HIP_vector_typeIfLj2EEiiiiS1_IjLj3EES5_S5_S5_.numbered_sgpr, 36
	.set _ZL33flash_attn_stream_k_fixup_generalILi256ELi4ELi2EEvPfPK15HIP_vector_typeIfLj2EEiiiiS1_IjLj3EES5_S5_S5_.num_named_barrier, 0
	.set _ZL33flash_attn_stream_k_fixup_generalILi256ELi4ELi2EEvPfPK15HIP_vector_typeIfLj2EEiiiiS1_IjLj3EES5_S5_S5_.private_seg_size, 0
	.set _ZL33flash_attn_stream_k_fixup_generalILi256ELi4ELi2EEvPfPK15HIP_vector_typeIfLj2EEiiiiS1_IjLj3EES5_S5_S5_.uses_vcc, 1
	.set _ZL33flash_attn_stream_k_fixup_generalILi256ELi4ELi2EEvPfPK15HIP_vector_typeIfLj2EEiiiiS1_IjLj3EES5_S5_S5_.uses_flat_scratch, 0
	.set _ZL33flash_attn_stream_k_fixup_generalILi256ELi4ELi2EEvPfPK15HIP_vector_typeIfLj2EEiiiiS1_IjLj3EES5_S5_S5_.has_dyn_sized_stack, 0
	.set _ZL33flash_attn_stream_k_fixup_generalILi256ELi4ELi2EEvPfPK15HIP_vector_typeIfLj2EEiiiiS1_IjLj3EES5_S5_S5_.has_recursion, 0
	.set _ZL33flash_attn_stream_k_fixup_generalILi256ELi4ELi2EEvPfPK15HIP_vector_typeIfLj2EEiiiiS1_IjLj3EES5_S5_S5_.has_indirect_call, 0
	.section	.AMDGPU.csdata,"",@progbits
; Kernel info:
; codeLenInByte = 2940
; TotalNumSgprs: 40
; NumVgprs: 18
; ScratchSize: 0
; MemoryBound: 0
; FloatMode: 240
; IeeeMode: 1
; LDSByteSize: 0 bytes/workgroup (compile time only)
; SGPRBlocks: 4
; VGPRBlocks: 4
; NumSGPRsForWavesPerEU: 40
; NumVGPRsForWavesPerEU: 18
; Occupancy: 10
; WaveLimiterHint : 0
; COMPUTE_PGM_RSRC2:SCRATCH_EN: 0
; COMPUTE_PGM_RSRC2:USER_SGPR: 6
; COMPUTE_PGM_RSRC2:TRAP_HANDLER: 0
; COMPUTE_PGM_RSRC2:TGID_X_EN: 1
; COMPUTE_PGM_RSRC2:TGID_Y_EN: 1
; COMPUTE_PGM_RSRC2:TGID_Z_EN: 1
; COMPUTE_PGM_RSRC2:TIDIG_COMP_CNT: 0
	.section	.text._ZL15flash_attn_tileILi256ELi256ELi2ELi2ELb0EEvPKcS1_S1_S1_S1_PKiPfP15HIP_vector_typeIfLj2EEffffjfiS5_IjLj3EEiiiiiiiiiiiliiliiiiil,"axG",@progbits,_ZL15flash_attn_tileILi256ELi256ELi2ELi2ELb0EEvPKcS1_S1_S1_S1_PKiPfP15HIP_vector_typeIfLj2EEffffjfiS5_IjLj3EEiiiiiiiiiiiliiliiiiil,comdat
	.globl	_ZL15flash_attn_tileILi256ELi256ELi2ELi2ELb0EEvPKcS1_S1_S1_S1_PKiPfP15HIP_vector_typeIfLj2EEffffjfiS5_IjLj3EEiiiiiiiiiiiliiliiiiil ; -- Begin function _ZL15flash_attn_tileILi256ELi256ELi2ELi2ELb0EEvPKcS1_S1_S1_S1_PKiPfP15HIP_vector_typeIfLj2EEffffjfiS5_IjLj3EEiiiiiiiiiiiliiliiiiil
	.p2align	8
	.type	_ZL15flash_attn_tileILi256ELi256ELi2ELi2ELb0EEvPKcS1_S1_S1_S1_PKiPfP15HIP_vector_typeIfLj2EEffffjfiS5_IjLj3EEiiiiiiiiiiiliiliiiiil,@function
_ZL15flash_attn_tileILi256ELi256ELi2ELi2ELb0EEvPKcS1_S1_S1_S1_PKiPfP15HIP_vector_typeIfLj2EEffffjfiS5_IjLj3EEiiiiiiiiiiiliiliiiiil: ; @_ZL15flash_attn_tileILi256ELi256ELi2ELi2ELb0EEvPKcS1_S1_S1_S1_PKiPfP15HIP_vector_typeIfLj2EEffffjfiS5_IjLj3EEiiiiiiiiiiiliiliiiiil
; %bb.0:
	s_load_dwordx4 s[0:3], s[4:5], 0x5c
	s_load_dwordx2 s[28:29], s[4:5], 0x80
	s_load_dwordx2 s[34:35], s[4:5], 0xb8
	s_mov_b64 s[30:31], 0
	s_waitcnt lgkmcnt(0)
	s_lshr_b32 s9, s3, 31
	s_add_i32 s9, s3, s9
	s_ashr_i32 s9, s9, 1
	v_cvt_f32_u32_e32 v2, s9
	s_sub_i32 s10, 0, s9
	v_rcp_iflag_f32_e32 v2, v2
	v_mul_f32_e32 v2, 0x4f7ffffe, v2
	v_cvt_u32_f32_e32 v2, v2
	v_readfirstlane_b32 s11, v2
	s_mul_i32 s10, s10, s11
	s_mul_hi_u32 s10, s11, s10
	s_add_i32 s11, s11, s10
	s_mul_hi_u32 s10, s8, s11
	s_mul_i32 s11, s10, s9
	s_sub_i32 s11, s8, s11
	s_add_i32 s12, s10, 1
	s_sub_i32 s13, s11, s9
	s_cmp_ge_u32 s11, s9
	s_cselect_b32 s10, s12, s10
	s_cselect_b32 s11, s13, s11
	s_add_i32 s12, s10, 1
	s_cmp_ge_u32 s11, s9
	s_cselect_b32 s33, s12, s10
	s_abs_i32 s9, s29
	v_cvt_f32_u32_e32 v2, s9
	s_lshl_b32 s8, s8, 1
	s_mul_i32 s12, s33, s3
	s_xor_b32 s10, s3, s29
	v_rcp_iflag_f32_e32 v2, v2
	s_sub_i32 s13, 0, s9
	s_sub_i32 s29, s8, s12
	s_abs_i32 s11, s3
	v_mul_f32_e32 v2, 0x4f7ffffe, v2
	v_cvt_u32_f32_e32 v2, v2
	s_ashr_i32 s10, s10, 31
	v_readfirstlane_b32 s8, v2
	s_mul_i32 s13, s13, s8
	s_mul_hi_u32 s12, s8, s13
	s_add_i32 s8, s8, s12
	s_mul_hi_u32 s8, s11, s8
	s_mul_i32 s12, s8, s9
	s_sub_i32 s11, s11, s12
	s_add_i32 s13, s8, 1
	s_sub_i32 s12, s11, s9
	s_cmp_ge_u32 s11, s9
	s_cselect_b32 s8, s13, s8
	s_cselect_b32 s11, s12, s11
	s_add_i32 s12, s8, 1
	s_cmp_ge_u32 s11, s9
	s_cselect_b32 s8, s12, s8
	s_xor_b32 s8, s8, s10
	s_sub_i32 s37, s8, s10
	s_abs_i32 s36, s37
	v_cvt_f32_u32_e32 v2, s36
	s_load_dwordx16 s[8:23], s[4:5], 0x0
	v_rcp_iflag_f32_e32 v2, v2
	s_waitcnt lgkmcnt(0)
	s_cmp_eq_u64 s[14:15], 0
	v_mul_f32_e32 v2, 0x4f7ffffe, v2
	v_cvt_u32_f32_e32 v2, v2
	v_readfirstlane_b32 s38, v2
	s_cbranch_scc1 .LBB36_2
; %bb.1:
	s_abs_i32 s26, s34
	v_cvt_f32_u32_e32 v2, s26
	s_sub_i32 s31, 0, s26
	s_abs_i32 s30, s33
	s_ashr_i32 s27, s33, 31
	v_rcp_iflag_f32_e32 v2, v2
	s_load_dwordx2 s[24:25], s[4:5], 0xc8
	v_mul_f32_e32 v2, 0x4f7ffffe, v2
	v_cvt_u32_f32_e32 v2, v2
	v_readfirstlane_b32 s34, v2
	s_mul_i32 s31, s31, s34
	s_mul_hi_u32 s31, s34, s31
	s_add_i32 s34, s34, s31
	s_mul_hi_u32 s31, s30, s34
	s_mul_i32 s31, s31, s26
	s_sub_i32 s30, s30, s31
	s_sub_i32 s31, s30, s26
	s_cmp_ge_u32 s30, s26
	s_cselect_b32 s30, s31, s30
	s_sub_i32 s31, s30, s26
	s_cmp_ge_u32 s30, s26
	s_cselect_b32 s26, s31, s30
	s_xor_b32 s26, s26, s27
	s_sub_i32 s26, s26, s27
	s_ashr_i32 s27, s26, 31
	s_waitcnt lgkmcnt(0)
	s_mul_hi_u32 s30, s24, s26
	s_mul_i32 s27, s24, s27
	s_mul_i32 s25, s25, s26
	s_add_i32 s27, s30, s27
	s_add_i32 s27, s27, s25
	s_mul_i32 s24, s24, s26
	s_add_u32 s30, s14, s24
	s_addc_u32 s31, s15, s27
.LBB36_2:
	v_lshrrev_b32_e32 v2, 2, v1
	s_load_dwordx4 s[24:27], s[4:5], 0x70
	v_lshl_add_u32 v32, s6, 1, v2
	v_mul_hi_u32 v2, s0, v32
	v_bfe_u32 v31, v1, 1, 1
	v_lshlrev_b32_e32 v34, 4, v0
	s_waitcnt lgkmcnt(0)
	s_mul_i32 s0, s33, s26
	v_add_u32_e32 v2, v32, v2
	s_ashr_i32 s15, s0, 31
	v_lshrrev_b32_e32 v2, s1, v2
	s_mul_i32 s14, s29, s25
	s_add_u32 s0, s8, s0
	v_mul_lo_u32 v2, v2, s2
	s_addc_u32 s8, s9, s15
	s_ashr_i32 s9, s14, 31
	s_add_u32 s14, s0, s14
	s_addc_u32 s15, s8, s9
	s_ashr_i32 s1, s25, 31
	s_mov_b32 s0, s25
	s_ashr_i32 s25, s24, 31
	v_sub_u32_e32 v3, v32, v2
	s_lshr_b64 s[8:9], s[24:25], 2
	v_mad_u64_u32 v[4:5], s[8:9], s8, v3, 0
	s_lshr_b64 s[8:9], s[0:1], 2
	s_lshr_b32 s0, s1, 2
	v_mul_lo_u32 v7, s0, v31
	v_mov_b32_e32 v2, v5
	s_lshr_b32 s0, s25, 2
	v_mad_u64_u32 v[5:6], s[0:1], s0, v3, v[2:3]
	v_mul_lo_u32 v6, s8, v31
	v_mov_b32_e32 v2, s15
	v_lshlrev_b64 v[4:5], 2, v[4:5]
	s_load_dword s0, s[4:5], 0x40
	v_lshlrev_b64 v[6:7], 2, v[6:7]
	v_lshlrev_b32_e32 v9, 8, v1
	v_add_co_u32_e32 v6, vcc, s14, v6
	v_addc_co_u32_e32 v2, vcc, v2, v7, vcc
	v_add_co_u32_e32 v4, vcc, v6, v4
	v_addc_co_u32_e32 v2, vcc, v2, v5, vcc
	v_lshlrev_b32_e32 v5, 9, v1
	v_and_b32_e32 v5, 0x200, v5
	v_add_co_u32_e32 v4, vcc, v4, v5
	v_addc_co_u32_e32 v2, vcc, 0, v2, vcc
	v_add_co_u32_e32 v4, vcc, v4, v34
	v_addc_co_u32_e32 v5, vcc, 0, v2, vcc
	global_load_dwordx4 v[5:8], v[4:5], off
	v_lshrrev_b32_e32 v2, 1, v1
	v_and_b32_e32 v9, 0x100, v9
	v_lshlrev_b32_e32 v4, 3, v0
	v_lshl_or_b32 v2, v2, 9, v9
	v_add_u32_e32 v2, v2, v4
	s_cmp_eq_u64 s[18:19], 0
	s_waitcnt vmcnt(0) lgkmcnt(0)
	v_fma_mixlo_f16 v5, s0, v5, 0
	v_fma_mixlo_f16 v6, s0, v6, 0
	;; [unrolled: 1-line block ×4, first 2 shown]
	v_lshlrev_b32_e32 v6, 16, v6
	v_and_b32_e32 v5, 0xffff, v5
	v_lshlrev_b32_e32 v8, 16, v8
	v_and_b32_e32 v7, 0xffff, v7
	v_or_b32_e32 v5, v6, v5
	v_or3_b32 v6, v8, v7, 0
	v_or3_b32 v5, 0, 0, v5
	ds_write_b64 v2, v[5:6] offset:17408
	s_waitcnt lgkmcnt(0)
	s_barrier
	s_cbranch_scc1 .LBB36_4
; %bb.3:
	s_load_dword s0, s[4:5], 0xd0
	s_mov_b32 s1, 0
	s_waitcnt lgkmcnt(0)
	s_mul_i32 s0, s0, s33
	s_add_i32 s0, s0, s6
	s_lshl_b64 s[0:1], s[0:1], 2
	s_add_u32 s0, s18, s0
	s_addc_u32 s1, s19, s1
	s_load_dword s28, s[0:1], 0x0
.LBB36_4:
	s_lshl_b32 s6, s7, 6
	v_lshlrev_b32_e32 v33, 2, v0
	s_waitcnt lgkmcnt(0)
	s_cmp_lt_i32 s6, s28
	v_mbcnt_lo_u32_b32 v5, -1, 0
	v_and_b32_e32 v35, 1, v1
	s_cbranch_scc1 .LBB36_7
; %bb.5:
	v_mbcnt_hi_u32_b32 v36, -1, v5
	v_and_b32_e32 v2, 0x60, v36
	v_add_u32_e32 v37, 32, v2
	v_xor_b32_e32 v42, 16, v36
	v_xor_b32_e32 v41, 8, v36
	;; [unrolled: 1-line block ×5, first 2 shown]
	v_and_b32_e32 v6, 1, v1
	s_cbranch_execz .LBB36_8
; %bb.6:
	v_mov_b32_e32 v5, 0
	v_mov_b32_e32 v50, 0
	;; [unrolled: 1-line block ×6, first 2 shown]
	s_branch .LBB36_14
.LBB36_7:
                                        ; implicit-def: $vgpr36
                                        ; implicit-def: $vgpr37
                                        ; implicit-def: $vgpr42
                                        ; implicit-def: $vgpr41
                                        ; implicit-def: $vgpr40
                                        ; implicit-def: $vgpr39
                                        ; implicit-def: $vgpr38
                                        ; implicit-def: $vgpr6
.LBB36_8:
	s_sub_i32 s0, 0, s36
	s_mul_i32 s0, s0, s38
	s_mul_hi_u32 s0, s38, s0
	s_add_i32 s38, s38, s0
	s_load_dwordx2 s[0:1], s[4:5], 0x8c
	s_load_dwordx4 s[24:27], s[4:5], 0x98
	s_abs_i32 s18, s29
	s_mul_hi_u32 s19, s18, s38
	s_ashr_i32 s34, s29, 31
	s_waitcnt lgkmcnt(0)
	s_ashr_i32 s15, s0, 2
	s_ashr_i32 s0, s33, 31
	;; [unrolled: 1-line block ×4, first 2 shown]
	s_mul_hi_u32 s35, s24, s33
	s_mul_i32 s38, s24, s0
	s_add_i32 s35, s35, s38
	s_mul_i32 s25, s25, s33
	s_ashr_i32 s37, s37, 31
	s_add_i32 s35, s35, s25
	s_mul_i32 s24, s24, s33
	s_add_u32 s10, s10, s24
	s_mul_i32 s25, s19, s36
	s_addc_u32 s11, s11, s35
	s_sub_i32 s18, s18, s25
	s_xor_b32 s24, s34, s37
	s_add_i32 s25, s19, 1
	s_sub_i32 s34, s18, s36
	s_cmp_ge_u32 s18, s36
	s_cselect_b32 s19, s25, s19
	s_cselect_b32 s18, s34, s18
	s_add_i32 s25, s19, 1
	s_cmp_ge_u32 s18, s36
	s_load_dwordx2 s[8:9], s[4:5], 0xa8
	s_cselect_b32 s18, s25, s19
	s_xor_b32 s18, s18, s24
	s_sub_i32 s18, s18, s24
	s_mul_i32 s1, s18, s1
	s_ashr_i32 s19, s1, 31
	s_add_u32 s10, s10, s1
	s_waitcnt lgkmcnt(0)
	s_mul_hi_u32 s1, s8, s33
	s_mul_i32 s0, s8, s0
	s_addc_u32 s11, s11, s19
	s_add_i32 s0, s1, s0
	s_mul_i32 s1, s9, s33
	s_add_i32 s0, s0, s1
	s_mul_i32 s1, s8, s33
	v_lshrrev_b32_e32 v2, 4, v0
	s_add_u32 s1, s12, s1
	s_mul_i32 s18, s18, s27
	v_lshl_add_u32 v6, v1, 1, v2
	s_addc_u32 s0, s13, s0
	s_ashr_i32 s8, s18, 31
	v_mul_lo_u32 v8, s15, v6
	s_add_u32 s12, s1, s18
	v_and_b32_e32 v24, 60, v33
	s_addc_u32 s13, s0, s8
	v_lshlrev_b32_e32 v9, 2, v24
	s_movk_i32 s0, 0x110
	v_mad_u32_u24 v43, v6, s0, v9
	s_lshl_b32 s0, s15, 4
	v_lshlrev_b32_e32 v6, 5, v1
	v_lshlrev_b32_e32 v7, 6, v1
	v_add_u32_e32 v10, s0, v8
	v_and_b32_e32 v16, 32, v6
	v_add_u32_e32 v12, s0, v10
	v_add_u32_e32 v6, v16, v0
	v_and_b32_e32 v17, 0x3f80, v7
	v_mov_b32_e32 v7, 0x4400
	v_add_u32_e32 v14, s0, v12
	v_mul_u32_u24_e32 v47, 0x110, v6
	v_lshl_add_u32 v48, v17, 2, v7
	v_mad_u64_u32 v[6:7], s[0:1], v3, s26, v[6:7]
	v_and_b32_e32 v7, 1, v0
	s_movk_i32 s0, 0xfe
	v_mov_b32_e32 v3, 0x4e00
	v_and_or_b32 v7, v1, s0, v7
	v_lshl_add_u32 v49, v1, 2, v3
	v_lshl_add_u32 v51, v7, 2, v3
	v_add_u32_e32 v3, 0x4c00, v17
	v_lshl_or_b32 v7, v16, 1, v3
	v_mul_lo_u32 v16, s14, v1
	s_lshl_b32 s0, s14, 3
	v_ashrrev_i32_e32 v9, 31, v8
	v_ashrrev_i32_e32 v11, 31, v10
	v_add_u32_e32 v18, s0, v16
	v_add_u32_e32 v20, s0, v18
	;; [unrolled: 1-line block ×3, first 2 shown]
	v_ashrrev_i32_e32 v13, 31, v12
	v_ashrrev_i32_e32 v15, 31, v14
	v_lshlrev_b32_e32 v53, 2, v33
	v_ashrrev_i32_e32 v17, 31, v16
	v_ashrrev_i32_e32 v19, 31, v18
	;; [unrolled: 1-line block ×4, first 2 shown]
	v_mbcnt_hi_u32_b32 v36, -1, v5
	v_mov_b32_e32 v2, 0
	v_lshl_add_u32 v52, v0, 1, v7
	v_lshl_add_u32 v54, v1, 9, v53
	v_lshl_or_b32 v58, v35, 1, v3
	s_add_u32 s8, s4, 0xd0
	v_lshlrev_b64 v[7:8], 2, v[8:9]
	v_lshlrev_b64 v[9:10], 2, v[10:11]
	v_lshlrev_b64 v[11:12], 2, v[12:13]
	v_lshlrev_b64 v[13:14], 2, v[14:15]
	v_and_b32_e32 v3, 0x60, v36
	v_lshlrev_b64 v[15:16], 2, v[16:17]
	v_lshlrev_b64 v[17:18], 2, v[18:19]
	;; [unrolled: 1-line block ×4, first 2 shown]
	v_add_u32_e32 v44, 0x1100, v43
	v_add_u32_e32 v45, 0x2200, v43
	;; [unrolled: 1-line block ×3, first 2 shown]
	v_cmp_eq_u32_e32 vcc, 0, v0
	v_add_u32_e32 v55, 0x1000, v54
	v_add_u32_e32 v56, 0x2000, v54
	;; [unrolled: 1-line block ×3, first 2 shown]
	v_lshl_add_u32 v59, v35, 9, v4
	s_addc_u32 s9, s5, 0
	v_mov_b32_e32 v63, 0xfeffffff
	v_lshlrev_b32_e32 v60, 2, v24
	v_mov_b32_e32 v61, s31
	v_add_u32_e32 v37, 32, v3
	v_xor_b32_e32 v42, 16, v36
	v_xor_b32_e32 v41, 8, v36
	;; [unrolled: 1-line block ×5, first 2 shown]
	s_mov_b32 s18, 0x3fb8aa3b
	s_mov_b32 s19, 0xc2ce8ed0
	s_mov_b32 s24, 0x42b17218
	v_mov_b32_e32 v62, 0x7f800000
	v_mov_b32_e32 v3, v2
	;; [unrolled: 1-line block ×5, first 2 shown]
.LBB36_9:                               ; =>This Inner Loop Header: Depth=1
	s_mul_hi_i32 s1, s6, s15
	s_mul_i32 s0, s6, s15
	s_lshl_b64 s[0:1], s[0:1], 2
	s_add_u32 s25, s10, s0
	s_addc_u32 s26, s11, s1
	v_mov_b32_e32 v23, s26
	v_add_co_u32_e64 v24, s[0:1], s25, v7
	v_addc_co_u32_e64 v25, s[0:1], v23, v8, s[0:1]
	v_add_co_u32_e64 v23, s[0:1], v24, v60
	v_addc_co_u32_e64 v24, s[0:1], 0, v25, s[0:1]
	v_mov_b32_e32 v25, s26
	v_add_co_u32_e64 v26, s[0:1], s25, v9
	v_addc_co_u32_e64 v27, s[0:1], v25, v10, s[0:1]
	v_add_co_u32_e64 v25, s[0:1], v26, v60
	v_addc_co_u32_e64 v26, s[0:1], 0, v27, s[0:1]
	;; [unrolled: 5-line block ×3, first 2 shown]
	v_mov_b32_e32 v29, s26
	v_add_co_u32_e64 v30, s[0:1], s25, v13
	v_addc_co_u32_e64 v72, s[0:1], v29, v14, s[0:1]
	v_add_co_u32_e64 v29, s[0:1], v30, v60
	global_load_dwordx4 v[64:67], v[23:24], off
	global_load_dwordx4 v[68:71], v[25:26], off
	v_addc_co_u32_e64 v30, s[0:1], 0, v72, s[0:1]
	global_load_dwordx4 v[72:75], v[27:28], off
	global_load_dwordx4 v[76:79], v[29:30], off
	s_waitcnt vmcnt(3)
	ds_write_b128 v43, v[64:67]
	s_waitcnt vmcnt(2)
	ds_write_b128 v44, v[68:71]
	;; [unrolled: 2-line block ×4, first 2 shown]
	s_waitcnt lgkmcnt(0)
	s_barrier
	ds_read_b128 v[65:68], v47
	ds_read_b128 v[69:72], v48
	v_mov_b32_e32 v64, 0
	s_waitcnt lgkmcnt(0)
	;;#ASMSTART
	v_dot2_f32_f16 v64, v65, v69, v64
	;;#ASMEND
	;;#ASMSTART
	v_dot2_f32_f16 v64, v66, v70, v64
	;;#ASMEND
	;;#ASMSTART
	v_dot2_f32_f16 v64, v67, v71, v64
	;;#ASMEND
	;;#ASMSTART
	v_dot2_f32_f16 v64, v68, v72, v64
	;;#ASMEND
	ds_read_b128 v[65:68], v47 offset:16
	ds_read_b128 v[69:72], v48 offset:16
	s_waitcnt lgkmcnt(0)
	;;#ASMSTART
	v_dot2_f32_f16 v64, v65, v69, v64
	;;#ASMEND
	;;#ASMSTART
	v_dot2_f32_f16 v64, v66, v70, v64
	;;#ASMEND
	;;#ASMSTART
	v_dot2_f32_f16 v64, v67, v71, v64
	;;#ASMEND
	;;#ASMSTART
	v_dot2_f32_f16 v64, v68, v72, v64
	;;#ASMEND
	ds_read_b128 v[65:68], v47 offset:32
	ds_read_b128 v[69:72], v48 offset:32
	s_waitcnt lgkmcnt(0)
	;;#ASMSTART
	v_dot2_f32_f16 v64, v65, v69, v64
	;;#ASMEND
	;;#ASMSTART
	v_dot2_f32_f16 v64, v66, v70, v64
	;;#ASMEND
	;;#ASMSTART
	v_dot2_f32_f16 v64, v67, v71, v64
	;;#ASMEND
	;;#ASMSTART
	v_dot2_f32_f16 v64, v68, v72, v64
	;;#ASMEND
	ds_read_b128 v[65:68], v47 offset:48
	ds_read_b128 v[69:72], v48 offset:48
	s_waitcnt lgkmcnt(0)
	;;#ASMSTART
	v_dot2_f32_f16 v64, v65, v69, v64
	;;#ASMEND
	;;#ASMSTART
	v_dot2_f32_f16 v64, v66, v70, v64
	;;#ASMEND
	;;#ASMSTART
	v_dot2_f32_f16 v64, v67, v71, v64
	;;#ASMEND
	;;#ASMSTART
	v_dot2_f32_f16 v64, v68, v72, v64
	;;#ASMEND
	ds_read_b128 v[65:68], v47 offset:64
	ds_read_b128 v[69:72], v48 offset:64
	s_waitcnt lgkmcnt(0)
	;;#ASMSTART
	v_dot2_f32_f16 v64, v65, v69, v64
	;;#ASMEND
	;;#ASMSTART
	v_dot2_f32_f16 v64, v66, v70, v64
	;;#ASMEND
	;;#ASMSTART
	v_dot2_f32_f16 v64, v67, v71, v64
	;;#ASMEND
	;;#ASMSTART
	v_dot2_f32_f16 v64, v68, v72, v64
	;;#ASMEND
	ds_read_b128 v[65:68], v47 offset:80
	ds_read_b128 v[69:72], v48 offset:80
	s_waitcnt lgkmcnt(0)
	;;#ASMSTART
	v_dot2_f32_f16 v64, v65, v69, v64
	;;#ASMEND
	;;#ASMSTART
	v_dot2_f32_f16 v64, v66, v70, v64
	;;#ASMEND
	;;#ASMSTART
	v_dot2_f32_f16 v64, v67, v71, v64
	;;#ASMEND
	;;#ASMSTART
	v_dot2_f32_f16 v64, v68, v72, v64
	;;#ASMEND
	ds_read_b128 v[65:68], v47 offset:96
	ds_read_b128 v[69:72], v48 offset:96
	s_waitcnt lgkmcnt(0)
	;;#ASMSTART
	v_dot2_f32_f16 v64, v65, v69, v64
	;;#ASMEND
	;;#ASMSTART
	v_dot2_f32_f16 v64, v66, v70, v64
	;;#ASMEND
	;;#ASMSTART
	v_dot2_f32_f16 v64, v67, v71, v64
	;;#ASMEND
	;;#ASMSTART
	v_dot2_f32_f16 v64, v68, v72, v64
	;;#ASMEND
	ds_read_b128 v[65:68], v47 offset:112
	ds_read_b128 v[69:72], v48 offset:112
	s_waitcnt lgkmcnt(0)
	;;#ASMSTART
	v_dot2_f32_f16 v64, v65, v69, v64
	;;#ASMEND
	;;#ASMSTART
	v_dot2_f32_f16 v64, v66, v70, v64
	;;#ASMEND
	;;#ASMSTART
	v_dot2_f32_f16 v64, v67, v71, v64
	;;#ASMEND
	;;#ASMSTART
	v_dot2_f32_f16 v64, v68, v72, v64
	;;#ASMEND
	ds_read_b128 v[65:68], v47 offset:128
	ds_read_b128 v[69:72], v48 offset:128
	s_waitcnt lgkmcnt(0)
	;;#ASMSTART
	v_dot2_f32_f16 v64, v65, v69, v64
	;;#ASMEND
	;;#ASMSTART
	v_dot2_f32_f16 v64, v66, v70, v64
	;;#ASMEND
	;;#ASMSTART
	v_dot2_f32_f16 v64, v67, v71, v64
	;;#ASMEND
	;;#ASMSTART
	v_dot2_f32_f16 v64, v68, v72, v64
	;;#ASMEND
	ds_read_b128 v[65:68], v47 offset:144
	ds_read_b128 v[69:72], v48 offset:144
	s_waitcnt lgkmcnt(0)
	;;#ASMSTART
	v_dot2_f32_f16 v64, v65, v69, v64
	;;#ASMEND
	;;#ASMSTART
	v_dot2_f32_f16 v64, v66, v70, v64
	;;#ASMEND
	;;#ASMSTART
	v_dot2_f32_f16 v64, v67, v71, v64
	;;#ASMEND
	;;#ASMSTART
	v_dot2_f32_f16 v64, v68, v72, v64
	;;#ASMEND
	ds_read_b128 v[65:68], v47 offset:160
	ds_read_b128 v[69:72], v48 offset:160
	s_waitcnt lgkmcnt(0)
	;;#ASMSTART
	v_dot2_f32_f16 v64, v65, v69, v64
	;;#ASMEND
	;;#ASMSTART
	v_dot2_f32_f16 v64, v66, v70, v64
	;;#ASMEND
	;;#ASMSTART
	v_dot2_f32_f16 v64, v67, v71, v64
	;;#ASMEND
	;;#ASMSTART
	v_dot2_f32_f16 v64, v68, v72, v64
	;;#ASMEND
	ds_read_b128 v[65:68], v47 offset:176
	ds_read_b128 v[69:72], v48 offset:176
	s_waitcnt lgkmcnt(0)
	;;#ASMSTART
	v_dot2_f32_f16 v64, v65, v69, v64
	;;#ASMEND
	;;#ASMSTART
	v_dot2_f32_f16 v64, v66, v70, v64
	;;#ASMEND
	;;#ASMSTART
	v_dot2_f32_f16 v64, v67, v71, v64
	;;#ASMEND
	;;#ASMSTART
	v_dot2_f32_f16 v64, v68, v72, v64
	;;#ASMEND
	ds_read_b128 v[65:68], v47 offset:192
	ds_read_b128 v[69:72], v48 offset:192
	s_waitcnt lgkmcnt(0)
	;;#ASMSTART
	v_dot2_f32_f16 v64, v65, v69, v64
	;;#ASMEND
	;;#ASMSTART
	v_dot2_f32_f16 v64, v66, v70, v64
	;;#ASMEND
	;;#ASMSTART
	v_dot2_f32_f16 v64, v67, v71, v64
	;;#ASMEND
	;;#ASMSTART
	v_dot2_f32_f16 v64, v68, v72, v64
	;;#ASMEND
	ds_read_b128 v[65:68], v47 offset:208
	ds_read_b128 v[69:72], v48 offset:208
	s_waitcnt lgkmcnt(0)
	;;#ASMSTART
	v_dot2_f32_f16 v64, v65, v69, v64
	;;#ASMEND
	;;#ASMSTART
	v_dot2_f32_f16 v64, v66, v70, v64
	;;#ASMEND
	;;#ASMSTART
	v_dot2_f32_f16 v64, v67, v71, v64
	;;#ASMEND
	;;#ASMSTART
	v_dot2_f32_f16 v64, v68, v72, v64
	;;#ASMEND
	ds_read_b128 v[65:68], v47 offset:224
	ds_read_b128 v[69:72], v48 offset:224
	s_waitcnt lgkmcnt(0)
	;;#ASMSTART
	v_dot2_f32_f16 v64, v65, v69, v64
	;;#ASMEND
	;;#ASMSTART
	v_dot2_f32_f16 v64, v66, v70, v64
	;;#ASMEND
	;;#ASMSTART
	v_dot2_f32_f16 v64, v67, v71, v64
	;;#ASMEND
	;;#ASMSTART
	v_dot2_f32_f16 v64, v68, v72, v64
	;;#ASMEND
	ds_read_b128 v[65:68], v47 offset:240
	ds_read_b128 v[69:72], v48 offset:240
	s_waitcnt lgkmcnt(0)
	;;#ASMSTART
	v_dot2_f32_f16 v64, v65, v69, v64
	;;#ASMEND
	;;#ASMSTART
	v_dot2_f32_f16 v64, v66, v70, v64
	;;#ASMEND
	;; [unrolled: 3-line block ×4, first 2 shown]
	s_barrier
	global_load_dwordx4 v[65:68], v[23:24], off offset:256
	s_nop 0
	global_load_dwordx4 v[23:26], v[25:26], off offset:256
	s_nop 0
	;; [unrolled: 2-line block ×3, first 2 shown]
	global_load_dwordx4 v[27:30], v[29:30], off offset:256
	s_waitcnt vmcnt(3)
	ds_write_b128 v43, v[65:68]
	s_waitcnt vmcnt(2)
	ds_write_b128 v44, v[23:26]
	;; [unrolled: 2-line block ×4, first 2 shown]
	s_waitcnt lgkmcnt(0)
	s_barrier
	ds_read_b128 v[23:26], v47
	ds_read_b128 v[27:30], v48 offset:256
	s_waitcnt lgkmcnt(0)
	;;#ASMSTART
	v_dot2_f32_f16 v64, v23, v27, v64
	;;#ASMEND
	;;#ASMSTART
	v_dot2_f32_f16 v64, v24, v28, v64
	;;#ASMEND
	;;#ASMSTART
	v_dot2_f32_f16 v64, v25, v29, v64
	;;#ASMEND
	;;#ASMSTART
	v_dot2_f32_f16 v64, v26, v30, v64
	;;#ASMEND
	ds_read_b128 v[23:26], v47 offset:16
	ds_read_b128 v[27:30], v48 offset:272
	s_waitcnt lgkmcnt(0)
	;;#ASMSTART
	v_dot2_f32_f16 v64, v23, v27, v64
	;;#ASMEND
	;;#ASMSTART
	v_dot2_f32_f16 v64, v24, v28, v64
	;;#ASMEND
	;;#ASMSTART
	v_dot2_f32_f16 v64, v25, v29, v64
	;;#ASMEND
	;;#ASMSTART
	v_dot2_f32_f16 v64, v26, v30, v64
	;;#ASMEND
	ds_read_b128 v[23:26], v47 offset:32
	;; [unrolled: 15-line block ×15, first 2 shown]
	ds_read_b128 v[27:30], v48 offset:496
	v_add_u32_e32 v65, s6, v6
	v_ashrrev_i32_e32 v66, 31, v65
	v_lshlrev_b64 v[65:66], 1, v[65:66]
	s_waitcnt lgkmcnt(0)
	;;#ASMSTART
	v_dot2_f32_f16 v64, v23, v27, v64
	;;#ASMEND
	v_add_co_u32_e64 v65, s[0:1], s30, v65
	;;#ASMSTART
	v_dot2_f32_f16 v64, v24, v28, v64
	;;#ASMEND
	v_addc_co_u32_e64 v66, s[0:1], v61, v66, s[0:1]
	;;#ASMSTART
	v_dot2_f32_f16 v64, v25, v29, v64
	;;#ASMEND
	;;#ASMSTART
	v_dot2_f32_f16 v64, v26, v30, v64
	;;#ASMEND
	global_load_ushort v23, v[65:66], off
	v_cmp_lt_i32_e64 s[0:1], v42, v37
	v_cndmask_b32_e64 v24, v36, v42, s[0:1]
	v_lshlrev_b32_e32 v25, 2, v24
	v_max_f32_e32 v26, v63, v63
	v_cmp_lt_i32_e64 s[0:1], v41, v37
	s_waitcnt vmcnt(0)
	v_cvt_f32_f16_e32 v23, v23
	v_add_f32_e32 v24, v64, v23
	v_add_f32_e32 v23, 0x40051340, v24
	v_max_f32_e32 v23, v26, v23
	ds_bpermute_b32 v25, v25, v23
	v_cndmask_b32_e64 v26, v36, v41, s[0:1]
	v_lshlrev_b32_e32 v26, 2, v26
	v_cmp_lt_i32_e64 s[0:1], v40, v37
	s_waitcnt lgkmcnt(0)
	v_max_f32_e32 v25, v25, v25
	v_max_f32_e32 v23, v23, v25
	ds_bpermute_b32 v25, v26, v23
	v_cndmask_b32_e64 v26, v36, v40, s[0:1]
	v_lshlrev_b32_e32 v26, 2, v26
	v_cmp_lt_i32_e64 s[0:1], v39, v37
	s_waitcnt lgkmcnt(0)
	v_max_f32_e32 v25, v25, v25
	;; [unrolled: 7-line block ×3, first 2 shown]
	v_max_f32_e32 v23, v23, v25
	ds_bpermute_b32 v25, v26, v23
	v_cndmask_b32_e64 v26, v36, v38, s[0:1]
	v_lshlrev_b32_e32 v26, 2, v26
	s_waitcnt lgkmcnt(0)
	v_max_f32_e32 v25, v25, v25
	v_max_f32_e32 v23, v23, v25
	ds_bpermute_b32 v25, v26, v23
	s_and_saveexec_b64 s[0:1], vcc
	s_cbranch_execz .LBB36_11
; %bb.10:                               ;   in Loop: Header=BB36_9 Depth=1
	s_waitcnt lgkmcnt(0)
	v_max_f32_e32 v25, v25, v25
	v_max_f32_e32 v23, v23, v23
	v_max_f32_e32 v23, v23, v25
	ds_write_b32 v49, v23
.LBB36_11:                              ;   in Loop: Header=BB36_9 Depth=1
	s_or_b64 exec, exec, s[0:1]
	s_waitcnt lgkmcnt(0)
	s_barrier
	ds_read_b32 v23, v51
	v_and_b32_e32 v25, 0x7e, v36
	v_add_u32_e32 v25, 2, v25
	v_cmp_lt_i32_e64 s[0:1], v38, v25
	v_cndmask_b32_e64 v25, v36, v38, s[0:1]
	v_lshlrev_b32_e32 v25, 2, v25
	s_waitcnt lgkmcnt(0)
	ds_bpermute_b32 v25, v25, v23
	v_max_f32_e32 v23, v23, v23
	s_waitcnt lgkmcnt(0)
	v_max_f32_e32 v25, v25, v25
	v_max_f32_e32 v23, v23, v25
	v_sub_f32_e32 v24, v24, v23
	v_mul_f32_e32 v25, 0x3fb8aa3b, v24
	v_fma_f32 v26, v24, s18, -v25
	v_rndne_f32_e32 v27, v25
	v_fmac_f32_e32 v26, 0x32a5705f, v24
	v_sub_f32_e32 v25, v25, v27
	v_add_f32_e32 v25, v25, v26
	v_exp_f32_e32 v25, v25
	v_cvt_i32_f32_e32 v26, v27
	v_cmp_ngt_f32_e64 s[0:1], s19, v24
	v_ldexp_f32 v25, v25, v26
	v_cndmask_b32_e64 v25, 0, v25, s[0:1]
	v_cmp_nlt_f32_e64 s[0:1], s24, v24
	v_cndmask_b32_e64 v24, v62, v25, s[0:1]
	v_sub_f32_e32 v25, v63, v23
	v_mul_f32_e32 v26, 0x3fb8aa3b, v25
	v_fma_f32 v27, v25, s18, -v26
	v_rndne_f32_e32 v28, v26
	v_fmac_f32_e32 v27, 0x32a5705f, v25
	v_sub_f32_e32 v26, v26, v28
	v_add_f32_e32 v26, v26, v27
	v_exp_f32_e32 v26, v26
	v_cvt_i32_f32_e32 v27, v28
	v_cmp_ngt_f32_e64 s[0:1], s19, v25
	v_ldexp_f32 v26, v26, v27
	v_cndmask_b32_e64 v26, 0, v26, s[0:1]
	v_cmp_nlt_f32_e64 s[0:1], s24, v25
	v_cndmask_b32_e64 v25, v62, v26, s[0:1]
	v_fma_f32 v50, v50, v25, v24
	v_cvt_f16_f32_e32 v25, v25
	s_mul_hi_i32 s1, s6, s14
	s_mul_i32 s0, s6, s14
	s_lshl_b64 s[0:1], s[0:1], 2
	v_mul_u32_u24_e32 v28, 0x10001, v25
	v_pk_mul_f16 v29, v4, v28
	v_cvt_f16_f32_e32 v4, v24
	s_add_u32 s25, s12, s0
	s_addc_u32 s26, s13, s1
	v_pk_mul_f16 v30, v5, v28
	ds_write_b16 v52, v4
	v_add_co_u32_e64 v4, s[0:1], s25, v15
	v_mov_b32_e32 v5, s26
	v_addc_co_u32_e64 v5, s[0:1], v5, v16, s[0:1]
	v_add_co_u32_e64 v4, s[0:1], v4, v53
	v_addc_co_u32_e64 v5, s[0:1], 0, v5, s[0:1]
	global_load_dwordx4 v[24:27], v[4:5], off
	v_add_co_u32_e64 v4, s[0:1], s25, v17
	v_mov_b32_e32 v5, s26
	v_addc_co_u32_e64 v5, s[0:1], v5, v18, s[0:1]
	v_add_co_u32_e64 v4, s[0:1], v4, v53
	v_addc_co_u32_e64 v5, s[0:1], 0, v5, s[0:1]
	s_waitcnt vmcnt(0)
	ds_write_b128 v54, v[24:27]
	global_load_dwordx4 v[24:27], v[4:5], off
	v_add_co_u32_e64 v4, s[0:1], s25, v19
	v_mov_b32_e32 v5, s26
	v_addc_co_u32_e64 v5, s[0:1], v5, v20, s[0:1]
	v_add_co_u32_e64 v4, s[0:1], v4, v53
	v_addc_co_u32_e64 v5, s[0:1], 0, v5, s[0:1]
	s_waitcnt vmcnt(0)
	ds_write_b128 v55, v[24:27]
	global_load_dwordx4 v[24:27], v[4:5], off
	v_add_co_u32_e64 v4, s[0:1], s25, v21
	v_mov_b32_e32 v5, s26
	v_addc_co_u32_e64 v5, s[0:1], v5, v22, s[0:1]
	v_add_co_u32_e64 v4, s[0:1], v4, v53
	v_addc_co_u32_e64 v5, s[0:1], 0, v5, s[0:1]
	s_or_b32 s0, s6, 32
	s_mul_hi_i32 s1, s0, s14
	s_mul_i32 s0, s0, s14
	s_lshl_b64 s[0:1], s[0:1], 2
	s_add_u32 s25, s12, s0
	s_addc_u32 s26, s13, s1
	s_waitcnt vmcnt(0)
	ds_write_b128 v56, v[24:27]
	global_load_dwordx4 v[24:27], v[4:5], off
	s_waitcnt vmcnt(0)
	ds_write_b128 v57, v[24:27]
	s_waitcnt lgkmcnt(0)
	s_barrier
	ds_read2_b64 v[24:27], v59 offset1:32
	ds_read_u16 v4, v58
	ds_read_u16 v63, v58 offset:4
	ds_read_u16 v64, v58 offset:8
	;; [unrolled: 1-line block ×15, first 2 shown]
	s_waitcnt lgkmcnt(14)
	v_mul_u32_u24_e32 v4, 0x10001, v4
	v_pk_mul_f16 v5, v24, v4
	v_pk_fma_f16 v24, v2, v28, v5
	v_pk_mul_f16 v2, v25, v4
	v_pk_fma_f16 v25, v3, v28, v2
	v_pk_fma_f16 v26, v26, v4, v29
	v_pk_fma_f16 v27, v27, v4, v30
	ds_read2_b64 v[2:5], v59 offset0:128 offset1:160
	v_mul_u32_u24_e32 v28, 0x10001, v63
	s_waitcnt lgkmcnt(10)
	v_mul_u32_u24_e32 v63, 0x10001, v68
	s_waitcnt lgkmcnt(0)
	v_pk_fma_f16 v29, v2, v28, v24
	v_add_u32_e32 v2, 0x800, v59
	v_pk_fma_f16 v3, v3, v28, v25
	v_pk_fma_f16 v4, v4, v28, v26
	;; [unrolled: 1-line block ×3, first 2 shown]
	ds_read2_b64 v[24:27], v2 offset1:32
	v_mul_u32_u24_e32 v28, 0x10001, v64
	s_waitcnt lgkmcnt(0)
	v_pk_fma_f16 v29, v24, v28, v29
	v_pk_fma_f16 v3, v25, v28, v3
	;; [unrolled: 1-line block ×4, first 2 shown]
	ds_read2_b64 v[24:27], v2 offset0:128 offset1:160
	v_mul_u32_u24_e32 v28, 0x10001, v65
	v_mul_u32_u24_e32 v65, 0x10001, v72
	s_waitcnt lgkmcnt(0)
	v_pk_fma_f16 v30, v26, v28, v4
	v_add_u32_e32 v4, 0x1000, v59
	v_pk_fma_f16 v29, v24, v28, v29
	v_pk_fma_f16 v3, v25, v28, v3
	;; [unrolled: 1-line block ×3, first 2 shown]
	ds_read2_b64 v[24:27], v4 offset1:32
	v_mul_u32_u24_e32 v28, 0x10001, v66
	s_waitcnt lgkmcnt(0)
	v_pk_fma_f16 v29, v24, v28, v29
	v_pk_fma_f16 v3, v25, v28, v3
	v_pk_fma_f16 v30, v26, v28, v30
	v_pk_fma_f16 v5, v27, v28, v5
	ds_read2_b64 v[24:27], v4 offset0:128 offset1:160
	v_mul_u32_u24_e32 v28, 0x10001, v67
	s_waitcnt lgkmcnt(0)
	v_pk_fma_f16 v29, v24, v28, v29
	v_add_u32_e32 v24, 0x1800, v59
	v_pk_fma_f16 v3, v25, v28, v3
	v_pk_fma_f16 v30, v26, v28, v30
	v_pk_fma_f16 v5, v27, v28, v5
	ds_read2_b64 v[25:28], v24 offset1:32
	s_waitcnt lgkmcnt(0)
	v_pk_fma_f16 v29, v25, v63, v29
	v_pk_fma_f16 v3, v26, v63, v3
	;; [unrolled: 1-line block ×4, first 2 shown]
	ds_read2_b64 v[25:28], v24 offset0:128 offset1:160
	v_mul_u32_u24_e32 v63, 0x10001, v69
	s_waitcnt lgkmcnt(0)
	v_pk_fma_f16 v3, v26, v63, v3
	v_add_u32_e32 v26, 0x2000, v59
	v_pk_fma_f16 v25, v25, v63, v29
	v_pk_fma_f16 v64, v27, v63, v30
	;; [unrolled: 1-line block ×3, first 2 shown]
	ds_read2_b64 v[27:30], v26 offset1:32
	v_mul_u32_u24_e32 v63, 0x10001, v70
	s_waitcnt lgkmcnt(0)
	v_pk_fma_f16 v25, v27, v63, v25
	v_pk_fma_f16 v3, v28, v63, v3
	;; [unrolled: 1-line block ×4, first 2 shown]
	ds_read2_b64 v[27:30], v26 offset0:128 offset1:160
	v_mul_u32_u24_e32 v63, 0x10001, v71
	s_waitcnt lgkmcnt(0)
	v_pk_fma_f16 v25, v27, v63, v25
	v_pk_fma_f16 v3, v28, v63, v3
	;; [unrolled: 1-line block ×4, first 2 shown]
	v_add_u32_e32 v5, 0x2800, v59
	ds_read2_b64 v[27:30], v5 offset1:32
	s_waitcnt lgkmcnt(0)
	v_pk_fma_f16 v25, v27, v65, v25
	v_pk_fma_f16 v3, v28, v65, v3
	;; [unrolled: 1-line block ×4, first 2 shown]
	ds_read2_b64 v[27:30], v5 offset0:128 offset1:160
	v_mul_u32_u24_e32 v65, 0x10001, v73
	s_waitcnt lgkmcnt(0)
	v_pk_fma_f16 v66, v28, v65, v3
	v_add_u32_e32 v3, 0x3000, v59
	v_pk_fma_f16 v25, v27, v65, v25
	v_pk_fma_f16 v64, v29, v65, v64
	;; [unrolled: 1-line block ×3, first 2 shown]
	ds_read2_b64 v[27:30], v3 offset1:32
	v_mul_u32_u24_e32 v65, 0x10001, v74
	s_waitcnt lgkmcnt(0)
	v_pk_fma_f16 v25, v27, v65, v25
	v_pk_fma_f16 v66, v28, v65, v66
	;; [unrolled: 1-line block ×4, first 2 shown]
	ds_read2_b64 v[27:30], v3 offset0:128 offset1:160
	v_mul_u32_u24_e32 v65, 0x10001, v75
	s_waitcnt lgkmcnt(0)
	v_pk_fma_f16 v67, v27, v65, v25
	v_add_u32_e32 v25, 0x3800, v59
	v_pk_fma_f16 v66, v28, v65, v66
	v_pk_fma_f16 v64, v29, v65, v64
	;; [unrolled: 1-line block ×3, first 2 shown]
	ds_read2_b64 v[27:30], v25 offset1:32
	v_mul_u32_u24_e32 v65, 0x10001, v76
	s_waitcnt lgkmcnt(0)
	v_pk_fma_f16 v67, v27, v65, v67
	v_pk_fma_f16 v66, v28, v65, v66
	;; [unrolled: 1-line block ×4, first 2 shown]
	ds_read2_b64 v[27:30], v25 offset0:128 offset1:160
	v_mul_u32_u24_e32 v65, 0x10001, v77
	s_waitcnt lgkmcnt(0)
	s_barrier
	v_pk_fma_f16 v67, v27, v65, v67
	v_pk_fma_f16 v66, v28, v65, v66
	v_add_co_u32_e64 v27, s[0:1], s25, v15
	v_mov_b32_e32 v28, s26
	v_addc_co_u32_e64 v28, s[0:1], v28, v16, s[0:1]
	v_add_co_u32_e64 v27, s[0:1], v27, v53
	v_addc_co_u32_e64 v28, s[0:1], 0, v28, s[0:1]
	v_pk_fma_f16 v64, v29, v65, v64
	v_pk_fma_f16 v63, v30, v65, v63
	global_load_dwordx4 v[27:30], v[27:28], off
	s_waitcnt vmcnt(0)
	ds_write_b128 v54, v[27:30]
	v_add_co_u32_e64 v27, s[0:1], s25, v17
	v_mov_b32_e32 v28, s26
	v_addc_co_u32_e64 v28, s[0:1], v28, v18, s[0:1]
	v_add_co_u32_e64 v27, s[0:1], v27, v53
	v_addc_co_u32_e64 v28, s[0:1], 0, v28, s[0:1]
	global_load_dwordx4 v[27:30], v[27:28], off
	s_waitcnt vmcnt(0)
	ds_write_b128 v55, v[27:30]
	v_add_co_u32_e64 v27, s[0:1], s25, v19
	v_mov_b32_e32 v28, s26
	v_addc_co_u32_e64 v28, s[0:1], v28, v20, s[0:1]
	v_add_co_u32_e64 v27, s[0:1], v27, v53
	v_addc_co_u32_e64 v28, s[0:1], 0, v28, s[0:1]
	;; [unrolled: 8-line block ×3, first 2 shown]
	global_load_dwordx4 v[27:30], v[27:28], off
	s_waitcnt vmcnt(0)
	ds_write_b128 v57, v[27:30]
	s_waitcnt lgkmcnt(0)
	s_barrier
	ds_read2_b64 v[27:30], v59 offset1:32
	ds_read_u16 v65, v58 offset:64
	ds_read_u16 v68, v58 offset:68
	ds_read_u16 v69, v58 offset:72
	ds_read_u16 v70, v58 offset:76
	ds_read_u16 v71, v58 offset:80
	ds_read_u16 v72, v58 offset:84
	ds_read_u16 v73, v58 offset:88
	ds_read_u16 v74, v58 offset:92
	ds_read_u16 v75, v58 offset:96
	ds_read_u16 v76, v58 offset:100
	ds_read_u16 v77, v58 offset:104
	ds_read_u16 v78, v58 offset:108
	ds_read_u16 v79, v58 offset:112
	ds_read_u16 v80, v58 offset:116
	ds_read_u16 v81, v58 offset:120
	ds_read_u16 v82, v58 offset:124
	s_waitcnt lgkmcnt(14)
	v_mul_u32_u24_e32 v65, 0x10001, v65
	v_pk_fma_f16 v67, v27, v65, v67
	v_pk_fma_f16 v66, v28, v65, v66
	v_pk_fma_f16 v64, v29, v65, v64
	v_pk_fma_f16 v63, v30, v65, v63
	ds_read2_b64 v[27:30], v59 offset0:128 offset1:160
	v_mul_u32_u24_e32 v65, 0x10001, v68
	s_waitcnt lgkmcnt(0)
	v_pk_fma_f16 v67, v27, v65, v67
	v_pk_fma_f16 v66, v28, v65, v66
	v_pk_fma_f16 v64, v29, v65, v64
	v_pk_fma_f16 v63, v30, v65, v63
	ds_read2_b64 v[27:30], v2 offset1:32
	v_mul_u32_u24_e32 v65, 0x10001, v69
	s_waitcnt lgkmcnt(0)
	v_pk_fma_f16 v67, v27, v65, v67
	v_pk_fma_f16 v66, v28, v65, v66
	v_pk_fma_f16 v64, v29, v65, v64
	v_pk_fma_f16 v63, v30, v65, v63
	ds_read2_b64 v[27:30], v2 offset0:128 offset1:160
	v_mul_u32_u24_e32 v2, 0x10001, v70
	s_waitcnt lgkmcnt(0)
	v_pk_fma_f16 v65, v27, v2, v67
	v_pk_fma_f16 v66, v28, v2, v66
	v_pk_fma_f16 v64, v29, v2, v64
	v_pk_fma_f16 v2, v30, v2, v63
	ds_read2_b64 v[27:30], v4 offset1:32
	v_mul_u32_u24_e32 v63, 0x10001, v71
	s_waitcnt lgkmcnt(0)
	;; [unrolled: 14-line block ×4, first 2 shown]
	v_pk_fma_f16 v24, v27, v4, v24
	v_pk_fma_f16 v63, v28, v4, v63
	;; [unrolled: 1-line block ×3, first 2 shown]
	ds_read2_b64 v[26:29], v26 offset0:128 offset1:160
	v_pk_fma_f16 v2, v30, v4, v2
	v_mul_u32_u24_e32 v4, 0x10001, v76
	s_waitcnt lgkmcnt(0)
	v_pk_fma_f16 v24, v26, v4, v24
	v_pk_fma_f16 v30, v27, v4, v63
	v_pk_fma_f16 v63, v28, v4, v64
	v_pk_fma_f16 v2, v29, v4, v2
	ds_read2_b64 v[26:29], v5 offset1:32
	v_mul_u32_u24_e32 v4, 0x10001, v77
	s_waitcnt lgkmcnt(0)
	v_pk_fma_f16 v24, v26, v4, v24
	v_pk_fma_f16 v30, v27, v4, v30
	v_pk_fma_f16 v63, v28, v4, v63
	v_pk_fma_f16 v2, v29, v4, v2
	ds_read2_b64 v[26:29], v5 offset0:128 offset1:160
	v_mul_u32_u24_e32 v4, 0x10001, v78
	s_waitcnt lgkmcnt(0)
	v_pk_fma_f16 v5, v26, v4, v24
	v_pk_fma_f16 v24, v27, v4, v30
	v_pk_fma_f16 v30, v28, v4, v63
	v_pk_fma_f16 v2, v29, v4, v2
	ds_read2_b64 v[26:29], v3 offset1:32
	v_mul_u32_u24_e32 v4, 0x10001, v79
	s_waitcnt lgkmcnt(0)
	v_pk_fma_f16 v26, v26, v4, v5
	v_pk_fma_f16 v24, v27, v4, v24
	v_pk_fma_f16 v27, v28, v4, v30
	v_pk_fma_f16 v28, v29, v4, v2
	ds_read2_b64 v[2:5], v3 offset0:128 offset1:160
	;; [unrolled: 14-line block ×3, first 2 shown]
	s_waitcnt lgkmcnt(0)
	s_barrier
	s_load_dword s0, s[8:9], 0x4
	v_mul_u32_u24_e32 v25, 0x10001, v82
	v_pk_fma_f16 v2, v2, v25, v26
	v_pk_fma_f16 v3, v3, v25, v24
	;; [unrolled: 1-line block ×3, first 2 shown]
	s_waitcnt lgkmcnt(0)
	s_lshl_b32 s0, s0, 6
	s_add_i32 s6, s0, s6
	v_pk_fma_f16 v5, v5, v25, v28
	s_cmp_ge_i32 s6, s28
	s_cbranch_scc1 .LBB36_13
; %bb.12:                               ;   in Loop: Header=BB36_9 Depth=1
	v_mov_b32_e32 v63, v23
	s_branch .LBB36_9
.LBB36_13:
	v_mov_b32_e32 v6, v35
.LBB36_14:
	v_cmp_lt_i32_e32 vcc, v42, v37
	v_cndmask_b32_e32 v7, v36, v42, vcc
	v_lshlrev_b32_e32 v7, 2, v7
	ds_bpermute_b32 v7, v7, v50
	v_cmp_lt_i32_e32 vcc, v41, v37
	v_cndmask_b32_e32 v8, v36, v41, vcc
	v_lshlrev_b32_e32 v8, 2, v8
	v_cmp_lt_i32_e32 vcc, v40, v37
	s_waitcnt lgkmcnt(0)
	v_add_f32_e32 v7, v50, v7
	ds_bpermute_b32 v8, v8, v7
	v_cndmask_b32_e32 v9, v36, v40, vcc
	v_lshlrev_b32_e32 v9, 2, v9
	v_cmp_lt_i32_e32 vcc, v39, v37
	v_cmp_ne_u32_e64 s[0:1], 0, v6
	s_waitcnt lgkmcnt(0)
	v_add_f32_e32 v7, v7, v8
	ds_bpermute_b32 v8, v9, v7
	v_cndmask_b32_e32 v9, v36, v39, vcc
	v_lshlrev_b32_e32 v9, 2, v9
	v_cmp_lt_i32_e32 vcc, v38, v37
	s_waitcnt lgkmcnt(0)
	v_add_f32_e32 v7, v7, v8
	ds_bpermute_b32 v8, v9, v7
	v_cndmask_b32_e32 v9, v36, v38, vcc
	v_lshlrev_b32_e32 v9, 2, v9
	v_cmp_eq_u32_e32 vcc, 0, v6
	s_waitcnt lgkmcnt(0)
	v_add_f32_e32 v7, v7, v8
	ds_bpermute_b32 v8, v9, v7
	s_waitcnt lgkmcnt(0)
	v_add_f32_e32 v24, v7, v8
	s_and_saveexec_b64 s[8:9], s[0:1]
	s_xor_b64 s[8:9], exec, s[8:9]
	s_cbranch_execnz .LBB36_18
; %bb.15:
	s_andn2_saveexec_b64 s[0:1], s[8:9]
	s_cbranch_execnz .LBB36_21
.LBB36_16:
	s_or_b64 exec, exec, s[0:1]
	s_and_saveexec_b64 s[0:1], vcc
	s_cbranch_execnz .LBB36_22
.LBB36_17:
	s_endpgm
.LBB36_18:
	v_lshl_add_u32 v6, v1, 9, v34
	v_cmp_eq_u32_e64 s[0:1], 0, v0
	ds_write_b128 v6, v[2:5]
	s_and_saveexec_b64 s[10:11], s[0:1]
; %bb.19:
	v_lshlrev_b32_e32 v1, 2, v1
	ds_write_b32 v1, v24 offset:17408
; %bb.20:
	s_or_b64 exec, exec, s[10:11]
                                        ; implicit-def: $vgpr1
                                        ; implicit-def: $vgpr34
	s_andn2_saveexec_b64 s[0:1], s[8:9]
	s_cbranch_execz .LBB36_16
.LBB36_21:
	v_lshl_add_u32 v6, v1, 9, v34
	v_lshlrev_b32_e32 v1, 2, v1
	s_waitcnt lgkmcnt(0)
	s_barrier
	ds_read_b128 v[6:9], v6 offset:512
	ds_read_b32 v1, v1 offset:17412
	s_waitcnt lgkmcnt(1)
	v_pk_add_f16 v2, v6, v2
	v_pk_add_f16 v3, v7, v3
	;; [unrolled: 1-line block ×4, first 2 shown]
	s_waitcnt lgkmcnt(0)
	v_add_f32_e32 v24, v24, v1
	s_or_b64 exec, exec, s[0:1]
	s_and_saveexec_b64 s[0:1], vcc
	s_cbranch_execz .LBB36_17
.LBB36_22:
	s_cmp_eq_u64 s[16:17], 0
	s_cselect_b64 s[0:1], -1, 0
	s_cmp_lg_u32 s7, 0
	s_cselect_b64 s[8:9], -1, 0
	s_or_b64 s[0:1], s[8:9], s[0:1]
	s_and_b64 vcc, exec, s[0:1]
	s_cbranch_vccnz .LBB36_24
; %bb.23:
	v_add_u32_e32 v6, s29, v31
	v_ashrrev_i32_e32 v7, 31, v6
	v_lshlrev_b64 v[6:7], 2, v[6:7]
	v_mov_b32_e32 v1, s17
	v_add_co_u32_e32 v6, vcc, s16, v6
	v_addc_co_u32_e32 v7, vcc, v1, v7, vcc
	global_load_dword v1, v[6:7], off
	v_max_f32_e32 v6, v23, v23
	s_mov_b32 s0, 0x3fb8aa3b
	s_mov_b32 s1, 0xc2ce8ed0
	s_waitcnt vmcnt(0)
	v_max_f32_e32 v7, v1, v1
	v_max_f32_e32 v6, v6, v7
	v_sub_f32_e32 v7, v23, v6
	v_sub_f32_e32 v1, v1, v6
	v_mul_f32_e32 v8, 0x3fb8aa3b, v7
	v_mul_f32_e32 v9, 0x3fb8aa3b, v1
	v_fma_f32 v10, v7, s0, -v8
	v_rndne_f32_e32 v11, v8
	v_fma_f32 v12, v1, s0, -v9
	v_rndne_f32_e32 v13, v9
	v_fmac_f32_e32 v10, 0x32a5705f, v7
	v_sub_f32_e32 v8, v8, v11
	v_fmac_f32_e32 v12, 0x32a5705f, v1
	v_sub_f32_e32 v9, v9, v13
	v_add_f32_e32 v8, v8, v10
	v_cvt_i32_f32_e32 v11, v11
	v_add_f32_e32 v9, v9, v12
	v_exp_f32_e32 v8, v8
	v_cvt_i32_f32_e32 v13, v13
	v_exp_f32_e32 v9, v9
	v_cmp_ngt_f32_e32 vcc, s1, v7
	v_ldexp_f32 v8, v8, v11
	s_mov_b32 s0, 0x42b17218
	v_ldexp_f32 v9, v9, v13
	v_cndmask_b32_e32 v8, 0, v8, vcc
	v_cmp_ngt_f32_e32 vcc, s1, v1
	v_mov_b32_e32 v10, 0x7f800000
	v_cndmask_b32_e32 v9, 0, v9, vcc
	v_cmp_nlt_f32_e32 vcc, s0, v7
	v_cndmask_b32_e32 v7, v10, v8, vcc
	v_cvt_f16_f32_e32 v8, v7
	v_cmp_nlt_f32_e32 vcc, s0, v1
	v_cndmask_b32_e32 v1, v10, v9, vcc
	v_fmac_f32_e32 v1, v24, v7
	v_mov_b32_e32 v24, v1
	v_mul_u32_u24_e32 v1, 0x10001, v8
	v_pk_mul_f16 v2, v2, v1
	v_pk_mul_f16 v3, v3, v1
	;; [unrolled: 1-line block ×4, first 2 shown]
	v_mov_b32_e32 v23, v6
.LBB36_24:
	v_cmp_gt_i32_e32 vcc, s2, v32
	s_and_b64 exec, exec, vcc
	s_cbranch_execz .LBB36_17
; %bb.25:
	v_div_scale_f32 v1, s[0:1], v24, v24, 1.0
	v_div_scale_f32 v6, vcc, 1.0, v24, 1.0
	v_cmp_eq_u32_e64 s[0:1], 0, v0
	s_mul_i32 s33, s33, s2
	v_cvt_f32_f16_sdwa v11, v2 dst_sel:DWORD dst_unused:UNUSED_PAD src0_sel:WORD_1
	v_cvt_f32_f16_e32 v12, v2
	v_add_u32_e32 v2, s33, v32
	s_load_dword s4, s[4:5], 0xd4
	v_mul_lo_u32 v2, v2, s3
	v_cvt_f32_f16_sdwa v7, v3 dst_sel:DWORD dst_unused:UNUSED_PAD src0_sel:WORD_1
	v_cvt_f32_f16_e32 v3, v3
	v_mov_b32_e32 v10, 0
	s_waitcnt lgkmcnt(0)
	s_cmp_lg_u32 s4, 1
	v_cvt_f32_f16_sdwa v13, v5 dst_sel:DWORD dst_unused:UNUSED_PAD src0_sel:WORD_1
	v_rcp_f32_e32 v0, v1
	v_cvt_f32_f16_e32 v14, v5
	s_cselect_b64 s[2:3], -1, 0
	v_cvt_f32_f16_sdwa v15, v4 dst_sel:DWORD dst_unused:UNUSED_PAD src0_sel:WORD_1
	v_fma_f32 v8, -v1, v0, 1.0
	v_fmac_f32_e32 v0, v8, v0
	v_mul_f32_e32 v8, v6, v0
	v_fma_f32 v9, -v1, v8, v6
	v_fmac_f32_e32 v8, v9, v0
	v_fma_f32 v1, -v1, v8, v6
	v_div_fmas_f32 v6, v1, v0, v8
	v_add3_u32 v0, s29, v31, v2
	v_mul_lo_u32 v0, s4, v0
	v_mov_b32_e32 v8, s21
	s_and_b64 s[0:1], s[0:1], s[2:3]
	v_add_u32_e32 v0, s7, v0
	v_lshl_add_u32 v9, v0, 8, v33
	v_lshlrev_b64 v[1:2], 2, v[9:10]
	v_add_u32_e32 v9, 0x80, v9
	v_add_co_u32_e32 v1, vcc, s20, v1
	v_addc_co_u32_e32 v2, vcc, v8, v2, vcc
	v_div_fixup_f32 v5, v6, v24, 1.0
	v_cndmask_b32_e64 v16, v5, 1.0, s[2:3]
	v_mul_f32_e32 v8, v16, v7
	v_mul_f32_e32 v7, v16, v3
	;; [unrolled: 1-line block ×4, first 2 shown]
	global_store_dwordx4 v[1:2], v[5:8], off
	v_cvt_f32_f16_e32 v1, v4
	v_lshlrev_b64 v[5:6], 2, v[9:10]
	v_mov_b32_e32 v7, s21
	v_add_co_u32_e32 v5, vcc, s20, v5
	v_mul_f32_e32 v4, v16, v13
	v_mul_f32_e32 v3, v16, v14
	;; [unrolled: 1-line block ×4, first 2 shown]
	v_addc_co_u32_e32 v6, vcc, v7, v6, vcc
	global_store_dwordx4 v[5:6], v[1:4], off
	s_and_b64 exec, exec, s[0:1]
	s_cbranch_execz .LBB36_17
; %bb.26:
	v_ashrrev_i32_e32 v1, 31, v0
	v_lshlrev_b64 v[0:1], 3, v[0:1]
	v_mov_b32_e32 v2, s23
	v_add_co_u32_e32 v0, vcc, s22, v0
	v_addc_co_u32_e32 v1, vcc, v2, v1, vcc
	global_store_dwordx2 v[0:1], v[23:24], off
	s_endpgm
	.section	.rodata,"a",@progbits
	.p2align	6, 0x0
	.amdhsa_kernel _ZL15flash_attn_tileILi256ELi256ELi2ELi2ELb0EEvPKcS1_S1_S1_S1_PKiPfP15HIP_vector_typeIfLj2EEffffjfiS5_IjLj3EEiiiiiiiiiiiliiliiiiil
		.amdhsa_group_segment_fixed_size 20000
		.amdhsa_private_segment_fixed_size 0
		.amdhsa_kernarg_size 464
		.amdhsa_user_sgpr_count 6
		.amdhsa_user_sgpr_private_segment_buffer 1
		.amdhsa_user_sgpr_dispatch_ptr 0
		.amdhsa_user_sgpr_queue_ptr 0
		.amdhsa_user_sgpr_kernarg_segment_ptr 1
		.amdhsa_user_sgpr_dispatch_id 0
		.amdhsa_user_sgpr_flat_scratch_init 0
		.amdhsa_user_sgpr_private_segment_size 0
		.amdhsa_uses_dynamic_stack 0
		.amdhsa_system_sgpr_private_segment_wavefront_offset 0
		.amdhsa_system_sgpr_workgroup_id_x 1
		.amdhsa_system_sgpr_workgroup_id_y 1
		.amdhsa_system_sgpr_workgroup_id_z 1
		.amdhsa_system_sgpr_workgroup_info 0
		.amdhsa_system_vgpr_workitem_id 1
		.amdhsa_next_free_vgpr 83
		.amdhsa_next_free_sgpr 98
		.amdhsa_reserve_vcc 1
		.amdhsa_reserve_flat_scratch 0
		.amdhsa_float_round_mode_32 0
		.amdhsa_float_round_mode_16_64 0
		.amdhsa_float_denorm_mode_32 3
		.amdhsa_float_denorm_mode_16_64 3
		.amdhsa_dx10_clamp 1
		.amdhsa_ieee_mode 1
		.amdhsa_fp16_overflow 0
		.amdhsa_exception_fp_ieee_invalid_op 0
		.amdhsa_exception_fp_denorm_src 0
		.amdhsa_exception_fp_ieee_div_zero 0
		.amdhsa_exception_fp_ieee_overflow 0
		.amdhsa_exception_fp_ieee_underflow 0
		.amdhsa_exception_fp_ieee_inexact 0
		.amdhsa_exception_int_div_zero 0
	.end_amdhsa_kernel
	.section	.text._ZL15flash_attn_tileILi256ELi256ELi2ELi2ELb0EEvPKcS1_S1_S1_S1_PKiPfP15HIP_vector_typeIfLj2EEffffjfiS5_IjLj3EEiiiiiiiiiiiliiliiiiil,"axG",@progbits,_ZL15flash_attn_tileILi256ELi256ELi2ELi2ELb0EEvPKcS1_S1_S1_S1_PKiPfP15HIP_vector_typeIfLj2EEffffjfiS5_IjLj3EEiiiiiiiiiiiliiliiiiil,comdat
.Lfunc_end36:
	.size	_ZL15flash_attn_tileILi256ELi256ELi2ELi2ELb0EEvPKcS1_S1_S1_S1_PKiPfP15HIP_vector_typeIfLj2EEffffjfiS5_IjLj3EEiiiiiiiiiiiliiliiiiil, .Lfunc_end36-_ZL15flash_attn_tileILi256ELi256ELi2ELi2ELb0EEvPKcS1_S1_S1_S1_PKiPfP15HIP_vector_typeIfLj2EEffffjfiS5_IjLj3EEiiiiiiiiiiiliiliiiiil
                                        ; -- End function
	.set _ZL15flash_attn_tileILi256ELi256ELi2ELi2ELb0EEvPKcS1_S1_S1_S1_PKiPfP15HIP_vector_typeIfLj2EEffffjfiS5_IjLj3EEiiiiiiiiiiiliiliiiiil.num_vgpr, 83
	.set _ZL15flash_attn_tileILi256ELi256ELi2ELi2ELb0EEvPKcS1_S1_S1_S1_PKiPfP15HIP_vector_typeIfLj2EEffffjfiS5_IjLj3EEiiiiiiiiiiiliiliiiiil.num_agpr, 0
	.set _ZL15flash_attn_tileILi256ELi256ELi2ELi2ELb0EEvPKcS1_S1_S1_S1_PKiPfP15HIP_vector_typeIfLj2EEffffjfiS5_IjLj3EEiiiiiiiiiiiliiliiiiil.numbered_sgpr, 39
	.set _ZL15flash_attn_tileILi256ELi256ELi2ELi2ELb0EEvPKcS1_S1_S1_S1_PKiPfP15HIP_vector_typeIfLj2EEffffjfiS5_IjLj3EEiiiiiiiiiiiliiliiiiil.num_named_barrier, 0
	.set _ZL15flash_attn_tileILi256ELi256ELi2ELi2ELb0EEvPKcS1_S1_S1_S1_PKiPfP15HIP_vector_typeIfLj2EEffffjfiS5_IjLj3EEiiiiiiiiiiiliiliiiiil.private_seg_size, 0
	.set _ZL15flash_attn_tileILi256ELi256ELi2ELi2ELb0EEvPKcS1_S1_S1_S1_PKiPfP15HIP_vector_typeIfLj2EEffffjfiS5_IjLj3EEiiiiiiiiiiiliiliiiiil.uses_vcc, 1
	.set _ZL15flash_attn_tileILi256ELi256ELi2ELi2ELb0EEvPKcS1_S1_S1_S1_PKiPfP15HIP_vector_typeIfLj2EEffffjfiS5_IjLj3EEiiiiiiiiiiiliiliiiiil.uses_flat_scratch, 0
	.set _ZL15flash_attn_tileILi256ELi256ELi2ELi2ELb0EEvPKcS1_S1_S1_S1_PKiPfP15HIP_vector_typeIfLj2EEffffjfiS5_IjLj3EEiiiiiiiiiiiliiliiiiil.has_dyn_sized_stack, 0
	.set _ZL15flash_attn_tileILi256ELi256ELi2ELi2ELb0EEvPKcS1_S1_S1_S1_PKiPfP15HIP_vector_typeIfLj2EEffffjfiS5_IjLj3EEiiiiiiiiiiiliiliiiiil.has_recursion, 0
	.set _ZL15flash_attn_tileILi256ELi256ELi2ELi2ELb0EEvPKcS1_S1_S1_S1_PKiPfP15HIP_vector_typeIfLj2EEffffjfiS5_IjLj3EEiiiiiiiiiiiliiliiiiil.has_indirect_call, 0
	.section	.AMDGPU.csdata,"",@progbits
; Kernel info:
; codeLenInByte = 7868
; TotalNumSgprs: 43
; NumVgprs: 83
; ScratchSize: 0
; MemoryBound: 0
; FloatMode: 240
; IeeeMode: 1
; LDSByteSize: 20000 bytes/workgroup (compile time only)
; SGPRBlocks: 12
; VGPRBlocks: 20
; NumSGPRsForWavesPerEU: 102
; NumVGPRsForWavesPerEU: 83
; Occupancy: 3
; WaveLimiterHint : 1
; COMPUTE_PGM_RSRC2:SCRATCH_EN: 0
; COMPUTE_PGM_RSRC2:USER_SGPR: 6
; COMPUTE_PGM_RSRC2:TRAP_HANDLER: 0
; COMPUTE_PGM_RSRC2:TGID_X_EN: 1
; COMPUTE_PGM_RSRC2:TGID_Y_EN: 1
; COMPUTE_PGM_RSRC2:TGID_Z_EN: 1
; COMPUTE_PGM_RSRC2:TIDIG_COMP_CNT: 1
	.section	.text._ZL33flash_attn_stream_k_fixup_uniformILi256ELi2ELi2EEvPfPK15HIP_vector_typeIfLj2EEiiiiiiS1_IjLj3EES5_S5_,"axG",@progbits,_ZL33flash_attn_stream_k_fixup_uniformILi256ELi2ELi2EEvPfPK15HIP_vector_typeIfLj2EEiiiiiiS1_IjLj3EES5_S5_,comdat
	.globl	_ZL33flash_attn_stream_k_fixup_uniformILi256ELi2ELi2EEvPfPK15HIP_vector_typeIfLj2EEiiiiiiS1_IjLj3EES5_S5_ ; -- Begin function _ZL33flash_attn_stream_k_fixup_uniformILi256ELi2ELi2EEvPfPK15HIP_vector_typeIfLj2EEiiiiiiS1_IjLj3EES5_S5_
	.p2align	8
	.type	_ZL33flash_attn_stream_k_fixup_uniformILi256ELi2ELi2EEvPfPK15HIP_vector_typeIfLj2EEiiiiiiS1_IjLj3EES5_S5_,@function
_ZL33flash_attn_stream_k_fixup_uniformILi256ELi2ELi2EEvPfPK15HIP_vector_typeIfLj2EEiiiiiiS1_IjLj3EES5_S5_: ; @_ZL33flash_attn_stream_k_fixup_uniformILi256ELi2ELi2EEvPfPK15HIP_vector_typeIfLj2EEiiiiiiS1_IjLj3EES5_S5_
; %bb.0:
	s_load_dwordx8 s[12:19], s[4:5], 0x1c
	s_load_dwordx2 s[10:11], s[4:5], 0x10
	s_load_dwordx4 s[0:3], s[4:5], 0x3c
	s_waitcnt lgkmcnt(0)
	s_mul_hi_u32 s9, s15, s6
	s_add_i32 s9, s6, s9
	s_lshr_b32 s9, s9, s16
	s_mul_i32 s15, s9, s17
	s_sub_i32 s15, s6, s15
	s_mul_hi_u32 s16, s15, s18
	s_add_i32 s16, s15, s16
	s_lshr_b32 s16, s16, s19
	s_mul_i32 s0, s16, s0
	s_sub_i32 s0, s15, s0
	;; [unrolled: 5-line block ×3, first 2 shown]
	s_lshl_b32 s0, s17, 1
	s_lshl_b32 s15, s1, 1
	s_add_i32 s0, s0, s7
	s_cmp_lt_i32 s0, s10
	s_cselect_b64 s[0:1], -1, 0
	s_add_i32 s2, s15, s8
	s_cmp_lt_i32 s2, s13
	s_cselect_b64 s[2:3], -1, 0
	s_and_b64 s[0:1], s[0:1], s[2:3]
	s_andn2_b64 vcc, exec, s[0:1]
	s_cbranch_vccnz .LBB37_6
; %bb.1:
	s_load_dwordx4 s[0:3], s[4:5], 0x0
	s_mul_i32 s4, s9, s10
	s_add_i32 s4, s4, s7
	s_mul_i32 s4, s4, s11
	s_mul_i32 s16, s16, s13
	s_add_i32 s4, s4, s8
	s_add_i32 s4, s4, s16
	s_mul_i32 s5, s11, s17
	s_add_i32 s4, s4, s15
	s_lshl_b32 s5, s5, 9
	s_lshl_b32 s4, s4, 8
	s_add_i32 s5, s5, s4
	v_or_b32_e32 v1, s5, v0
	v_ashrrev_i32_e32 v2, 31, v1
	v_lshlrev_b64 v[1:2], 2, v[1:2]
	s_waitcnt lgkmcnt(0)
	v_mov_b32_e32 v3, s1
	v_add_co_u32_e32 v1, vcc, s0, v1
	v_addc_co_u32_e32 v2, vcc, v3, v2, vcc
	global_load_dword v8, v[1:2], off
	s_mul_i32 s9, s14, s6
	s_lshl_b32 s4, s7, 1
	s_add_i32 s11, s9, s14
	s_add_i32 s0, s4, s8
	s_lshl_b32 s1, s11, 2
	s_add_i32 s0, s0, s1
	s_add_i32 s0, s0, -4
	s_ashr_i32 s1, s0, 31
	s_lshl_b64 s[0:1], s[0:1], 3
	s_add_u32 s0, s2, s0
	s_addc_u32 s1, s3, s1
	s_load_dword s5, s[0:1], 0x4
	s_add_i32 s10, s11, -2
	s_cmp_lt_i32 s10, s9
	s_cbranch_scc1 .LBB37_4
; %bb.2:
	s_lshl_b32 s16, s12, 4
	s_ashr_i32 s17, s16, 31
	s_lshl_b64 s[16:17], s[16:17], 2
	s_add_u32 s10, s2, s16
	s_addc_u32 s13, s3, s17
	s_add_i32 s6, s6, 1
	s_load_dword s0, s[0:1], 0x0
	s_mul_i32 s1, s14, s6
	s_lshl_b32 s7, s7, 9
	s_lshl_b32 s14, s8, 8
	;; [unrolled: 1-line block ×3, first 2 shown]
	s_add_i32 s7, s14, s7
	s_lshl_b32 s1, s1, 2
	s_add_i32 s7, s7, s6
	s_add_i32 s1, s8, s1
	s_lshl_b32 s6, s12, 2
	s_add_i32 s1, s1, s6
	v_or_b32_e32 v0, s7, v0
	s_add_i32 s1, s1, s4
	s_add_i32 s11, s11, -1
	v_add_u32_e32 v3, 0xfffff800, v0
	s_add_i32 s4, s1, -8
	s_waitcnt lgkmcnt(0)
	v_mov_b32_e32 v7, s5
	v_mov_b32_e32 v6, s0
	;; [unrolled: 1-line block ×3, first 2 shown]
	s_mov_b32 s6, 0x3fb8aa3b
	s_mov_b32 s7, 0xc2ce8ed0
	;; [unrolled: 1-line block ×3, first 2 shown]
	v_mov_b32_e32 v5, 0x7f800000
	s_mov_b32 s12, 0xc1a00000
.LBB37_3:                               ; =>This Inner Loop Header: Depth=1
	v_ashrrev_i32_e32 v4, 31, v3
	v_lshlrev_b64 v[9:10], 2, v[3:4]
	s_ashr_i32 s5, s4, 31
	v_add_co_u32_e32 v9, vcc, s10, v9
	v_addc_co_u32_e32 v10, vcc, v0, v10, vcc
	global_load_dword v4, v[9:10], off
	s_lshl_b64 s[0:1], s[4:5], 3
	s_add_u32 s0, s2, s0
	s_addc_u32 s1, s3, s1
	s_load_dwordx2 s[14:15], s[0:1], 0x0
	s_waitcnt vmcnt(1)
	v_mov_b32_e32 v9, v8
	v_max_f32_e32 v8, v6, v6
	v_mov_b32_e32 v10, v7
	s_add_i32 s11, s11, -1
	s_waitcnt lgkmcnt(0)
	v_max_f32_e64 v7, s14, s14
	v_max_f32_e32 v7, v8, v7
	v_sub_f32_e32 v11, s14, v7
	v_sub_f32_e32 v8, v6, v7
	v_mul_f32_e32 v12, 0x3fb8aa3b, v11
	v_mov_b32_e32 v6, v7
	v_mul_f32_e32 v7, 0x3fb8aa3b, v8
	v_fma_f32 v15, v11, s6, -v12
	v_rndne_f32_e32 v16, v12
	v_fma_f32 v13, v8, s6, -v7
	v_rndne_f32_e32 v14, v7
	v_fmac_f32_e32 v15, 0x32a5705f, v11
	v_sub_f32_e32 v12, v12, v16
	v_fmac_f32_e32 v13, 0x32a5705f, v8
	v_sub_f32_e32 v7, v7, v14
	v_add_f32_e32 v12, v12, v15
	v_cvt_i32_f32_e32 v16, v16
	v_add_f32_e32 v7, v7, v13
	v_exp_f32_e32 v12, v12
	v_cvt_i32_f32_e32 v14, v14
	v_exp_f32_e32 v7, v7
	v_cmp_ngt_f32_e32 vcc, s7, v11
	v_ldexp_f32 v12, v12, v16
	v_cmp_ngt_f32_e64 s[0:1], s7, v8
	v_ldexp_f32 v7, v7, v14
	v_cndmask_b32_e32 v12, 0, v12, vcc
	v_cmp_nlt_f32_e32 vcc, s8, v11
	v_cndmask_b32_e64 v7, 0, v7, s[0:1]
	v_cmp_nlt_f32_e64 s[0:1], s8, v8
	v_cndmask_b32_e32 v12, v5, v12, vcc
	v_cmp_le_f32_e32 vcc, s12, v11
	v_cndmask_b32_e64 v7, v5, v7, s[0:1]
	v_cmp_le_f32_e64 s[0:1], s12, v8
	v_cndmask_b32_e32 v8, 0, v12, vcc
	s_add_i32 s4, s4, -4
	v_cndmask_b32_e64 v11, 0, v7, s[0:1]
	v_mul_f32_e32 v7, s15, v8
	v_add_u32_e32 v3, 0xfffffc00, v3
	s_cmp_le_i32 s11, s9
	v_fmac_f32_e32 v7, v10, v11
	s_waitcnt vmcnt(0)
	v_mul_f32_e32 v8, v4, v8
	v_fmac_f32_e32 v8, v9, v11
	s_cbranch_scc0 .LBB37_3
	s_branch .LBB37_5
.LBB37_4:
	s_waitcnt lgkmcnt(0)
	v_mov_b32_e32 v7, s5
.LBB37_5:
	s_waitcnt vmcnt(0)
	v_div_scale_f32 v0, s[0:1], v7, v7, v8
	v_div_scale_f32 v3, vcc, v8, v7, v8
	v_rcp_f32_e32 v4, v0
	v_fma_f32 v5, -v0, v4, 1.0
	v_fmac_f32_e32 v4, v5, v4
	v_mul_f32_e32 v5, v3, v4
	v_fma_f32 v6, -v0, v5, v3
	v_fmac_f32_e32 v5, v6, v4
	v_fma_f32 v0, -v0, v5, v3
	v_div_fmas_f32 v0, v0, v4, v5
	v_div_fixup_f32 v0, v0, v7, v8
	global_store_dword v[1:2], v0, off
.LBB37_6:
	s_endpgm
	.section	.rodata,"a",@progbits
	.p2align	6, 0x0
	.amdhsa_kernel _ZL33flash_attn_stream_k_fixup_uniformILi256ELi2ELi2EEvPfPK15HIP_vector_typeIfLj2EEiiiiiiS1_IjLj3EES5_S5_
		.amdhsa_group_segment_fixed_size 0
		.amdhsa_private_segment_fixed_size 0
		.amdhsa_kernarg_size 76
		.amdhsa_user_sgpr_count 6
		.amdhsa_user_sgpr_private_segment_buffer 1
		.amdhsa_user_sgpr_dispatch_ptr 0
		.amdhsa_user_sgpr_queue_ptr 0
		.amdhsa_user_sgpr_kernarg_segment_ptr 1
		.amdhsa_user_sgpr_dispatch_id 0
		.amdhsa_user_sgpr_flat_scratch_init 0
		.amdhsa_user_sgpr_private_segment_size 0
		.amdhsa_uses_dynamic_stack 0
		.amdhsa_system_sgpr_private_segment_wavefront_offset 0
		.amdhsa_system_sgpr_workgroup_id_x 1
		.amdhsa_system_sgpr_workgroup_id_y 1
		.amdhsa_system_sgpr_workgroup_id_z 1
		.amdhsa_system_sgpr_workgroup_info 0
		.amdhsa_system_vgpr_workitem_id 0
		.amdhsa_next_free_vgpr 17
		.amdhsa_next_free_sgpr 20
		.amdhsa_reserve_vcc 1
		.amdhsa_reserve_flat_scratch 0
		.amdhsa_float_round_mode_32 0
		.amdhsa_float_round_mode_16_64 0
		.amdhsa_float_denorm_mode_32 3
		.amdhsa_float_denorm_mode_16_64 3
		.amdhsa_dx10_clamp 1
		.amdhsa_ieee_mode 1
		.amdhsa_fp16_overflow 0
		.amdhsa_exception_fp_ieee_invalid_op 0
		.amdhsa_exception_fp_denorm_src 0
		.amdhsa_exception_fp_ieee_div_zero 0
		.amdhsa_exception_fp_ieee_overflow 0
		.amdhsa_exception_fp_ieee_underflow 0
		.amdhsa_exception_fp_ieee_inexact 0
		.amdhsa_exception_int_div_zero 0
	.end_amdhsa_kernel
	.section	.text._ZL33flash_attn_stream_k_fixup_uniformILi256ELi2ELi2EEvPfPK15HIP_vector_typeIfLj2EEiiiiiiS1_IjLj3EES5_S5_,"axG",@progbits,_ZL33flash_attn_stream_k_fixup_uniformILi256ELi2ELi2EEvPfPK15HIP_vector_typeIfLj2EEiiiiiiS1_IjLj3EES5_S5_,comdat
.Lfunc_end37:
	.size	_ZL33flash_attn_stream_k_fixup_uniformILi256ELi2ELi2EEvPfPK15HIP_vector_typeIfLj2EEiiiiiiS1_IjLj3EES5_S5_, .Lfunc_end37-_ZL33flash_attn_stream_k_fixup_uniformILi256ELi2ELi2EEvPfPK15HIP_vector_typeIfLj2EEiiiiiiS1_IjLj3EES5_S5_
                                        ; -- End function
	.set _ZL33flash_attn_stream_k_fixup_uniformILi256ELi2ELi2EEvPfPK15HIP_vector_typeIfLj2EEiiiiiiS1_IjLj3EES5_S5_.num_vgpr, 17
	.set _ZL33flash_attn_stream_k_fixup_uniformILi256ELi2ELi2EEvPfPK15HIP_vector_typeIfLj2EEiiiiiiS1_IjLj3EES5_S5_.num_agpr, 0
	.set _ZL33flash_attn_stream_k_fixup_uniformILi256ELi2ELi2EEvPfPK15HIP_vector_typeIfLj2EEiiiiiiS1_IjLj3EES5_S5_.numbered_sgpr, 20
	.set _ZL33flash_attn_stream_k_fixup_uniformILi256ELi2ELi2EEvPfPK15HIP_vector_typeIfLj2EEiiiiiiS1_IjLj3EES5_S5_.num_named_barrier, 0
	.set _ZL33flash_attn_stream_k_fixup_uniformILi256ELi2ELi2EEvPfPK15HIP_vector_typeIfLj2EEiiiiiiS1_IjLj3EES5_S5_.private_seg_size, 0
	.set _ZL33flash_attn_stream_k_fixup_uniformILi256ELi2ELi2EEvPfPK15HIP_vector_typeIfLj2EEiiiiiiS1_IjLj3EES5_S5_.uses_vcc, 1
	.set _ZL33flash_attn_stream_k_fixup_uniformILi256ELi2ELi2EEvPfPK15HIP_vector_typeIfLj2EEiiiiiiS1_IjLj3EES5_S5_.uses_flat_scratch, 0
	.set _ZL33flash_attn_stream_k_fixup_uniformILi256ELi2ELi2EEvPfPK15HIP_vector_typeIfLj2EEiiiiiiS1_IjLj3EES5_S5_.has_dyn_sized_stack, 0
	.set _ZL33flash_attn_stream_k_fixup_uniformILi256ELi2ELi2EEvPfPK15HIP_vector_typeIfLj2EEiiiiiiS1_IjLj3EES5_S5_.has_recursion, 0
	.set _ZL33flash_attn_stream_k_fixup_uniformILi256ELi2ELi2EEvPfPK15HIP_vector_typeIfLj2EEiiiiiiS1_IjLj3EES5_S5_.has_indirect_call, 0
	.section	.AMDGPU.csdata,"",@progbits
; Kernel info:
; codeLenInByte = 856
; TotalNumSgprs: 24
; NumVgprs: 17
; ScratchSize: 0
; MemoryBound: 0
; FloatMode: 240
; IeeeMode: 1
; LDSByteSize: 0 bytes/workgroup (compile time only)
; SGPRBlocks: 2
; VGPRBlocks: 4
; NumSGPRsForWavesPerEU: 24
; NumVGPRsForWavesPerEU: 17
; Occupancy: 10
; WaveLimiterHint : 0
; COMPUTE_PGM_RSRC2:SCRATCH_EN: 0
; COMPUTE_PGM_RSRC2:USER_SGPR: 6
; COMPUTE_PGM_RSRC2:TRAP_HANDLER: 0
; COMPUTE_PGM_RSRC2:TGID_X_EN: 1
; COMPUTE_PGM_RSRC2:TGID_Y_EN: 1
; COMPUTE_PGM_RSRC2:TGID_Z_EN: 1
; COMPUTE_PGM_RSRC2:TIDIG_COMP_CNT: 0
	.section	.text._ZL33flash_attn_stream_k_fixup_generalILi256ELi2ELi2EEvPfPK15HIP_vector_typeIfLj2EEiiiiS1_IjLj3EES5_S5_S5_,"axG",@progbits,_ZL33flash_attn_stream_k_fixup_generalILi256ELi2ELi2EEvPfPK15HIP_vector_typeIfLj2EEiiiiS1_IjLj3EES5_S5_S5_,comdat
	.globl	_ZL33flash_attn_stream_k_fixup_generalILi256ELi2ELi2EEvPfPK15HIP_vector_typeIfLj2EEiiiiS1_IjLj3EES5_S5_S5_ ; -- Begin function _ZL33flash_attn_stream_k_fixup_generalILi256ELi2ELi2EEvPfPK15HIP_vector_typeIfLj2EEiiiiS1_IjLj3EES5_S5_S5_
	.p2align	8
	.type	_ZL33flash_attn_stream_k_fixup_generalILi256ELi2ELi2EEvPfPK15HIP_vector_typeIfLj2EEiiiiS1_IjLj3EES5_S5_S5_,@function
_ZL33flash_attn_stream_k_fixup_generalILi256ELi2ELi2EEvPfPK15HIP_vector_typeIfLj2EEiiiiS1_IjLj3EES5_S5_S5_: ; @_ZL33flash_attn_stream_k_fixup_generalILi256ELi2ELi2EEvPfPK15HIP_vector_typeIfLj2EEiiiiS1_IjLj3EES5_S5_S5_
; %bb.0:
	s_load_dwordx4 s[0:3], s[4:5], 0x10
	s_load_dword s22, s[4:5], 0x50
	s_mov_b32 s12, 0
	s_waitcnt lgkmcnt(0)
	s_mul_hi_i32 s13, s3, s6
	s_cmp_lg_u64 s[12:13], 0
	s_mul_i32 s9, s3, s6
	s_cbranch_scc0 .LBB38_20
; %bb.1:
	s_add_u32 s10, s22, 0
	s_addc_u32 s11, 0, 0
	s_xor_b64 s[10:11], s[10:11], 0
	v_cvt_f32_u32_e32 v1, s10
	v_cvt_f32_u32_e32 v2, s11
	s_sub_u32 s12, 0, s10
	s_subb_u32 s18, 0, s11
	v_madmk_f32 v1, v2, 0x4f800000, v1
	v_rcp_f32_e32 v1, v1
	v_mul_f32_e32 v1, 0x5f7ffffc, v1
	v_mul_f32_e32 v2, 0x2f800000, v1
	v_trunc_f32_e32 v2, v2
	v_madmk_f32 v1, v2, 0xcf800000, v1
	v_cvt_u32_f32_e32 v2, v2
	v_cvt_u32_f32_e32 v1, v1
	v_readfirstlane_b32 s19, v2
	v_readfirstlane_b32 s14, v1
	s_mul_i32 s15, s12, s19
	s_mul_hi_u32 s21, s12, s14
	s_mul_i32 s20, s18, s14
	s_add_i32 s15, s21, s15
	s_add_i32 s15, s15, s20
	s_mul_i32 s23, s12, s14
	s_mul_i32 s21, s14, s15
	s_mul_hi_u32 s24, s14, s23
	s_mul_hi_u32 s20, s14, s15
	s_add_u32 s21, s24, s21
	s_addc_u32 s20, 0, s20
	s_mul_hi_u32 s25, s19, s23
	s_mul_i32 s23, s19, s23
	s_add_u32 s21, s21, s23
	s_mul_hi_u32 s24, s19, s15
	s_addc_u32 s20, s20, s25
	s_addc_u32 s21, s24, 0
	s_mul_i32 s15, s19, s15
	s_add_u32 s15, s20, s15
	s_addc_u32 s20, 0, s21
	s_add_u32 s21, s14, s15
	s_cselect_b64 s[14:15], -1, 0
	s_cmp_lg_u64 s[14:15], 0
	s_addc_u32 s19, s19, s20
	s_mul_i32 s14, s12, s19
	s_mul_hi_u32 s15, s12, s21
	s_add_i32 s14, s15, s14
	s_mul_i32 s18, s18, s21
	s_add_i32 s14, s14, s18
	s_mul_i32 s12, s12, s21
	s_mul_hi_u32 s18, s19, s12
	s_mul_i32 s20, s19, s12
	s_mul_i32 s24, s21, s14
	s_mul_hi_u32 s12, s21, s12
	s_mul_hi_u32 s23, s21, s14
	s_add_u32 s12, s12, s24
	s_addc_u32 s23, 0, s23
	s_add_u32 s12, s12, s20
	s_mul_hi_u32 s15, s19, s14
	s_addc_u32 s12, s23, s18
	s_addc_u32 s15, s15, 0
	s_mul_i32 s14, s19, s14
	s_add_u32 s12, s12, s14
	s_addc_u32 s18, 0, s15
	s_add_u32 s20, s21, s12
	s_cselect_b64 s[14:15], -1, 0
	s_cmp_lg_u64 s[14:15], 0
	s_addc_u32 s18, s19, s18
	s_ashr_i32 s14, s13, 31
	s_add_u32 s12, s9, s14
	s_mov_b32 s15, s14
	s_addc_u32 s13, s13, s14
	s_xor_b64 s[12:13], s[12:13], s[14:15]
	s_mul_i32 s21, s12, s18
	s_mul_hi_u32 s23, s12, s20
	s_mul_hi_u32 s19, s12, s18
	s_add_u32 s21, s23, s21
	s_addc_u32 s19, 0, s19
	s_mul_hi_u32 s24, s13, s20
	s_mul_i32 s20, s13, s20
	s_add_u32 s20, s21, s20
	s_mul_hi_u32 s23, s13, s18
	s_addc_u32 s19, s19, s24
	s_addc_u32 s20, s23, 0
	s_mul_i32 s18, s13, s18
	s_add_u32 s23, s19, s18
	s_addc_u32 s24, 0, s20
	s_mul_i32 s18, s10, s24
	s_mul_hi_u32 s19, s10, s23
	s_add_i32 s18, s19, s18
	s_mul_i32 s19, s11, s23
	s_add_i32 s25, s18, s19
	s_sub_i32 s20, s13, s25
	s_mul_i32 s18, s10, s23
	s_sub_u32 s12, s12, s18
	s_cselect_b64 s[18:19], -1, 0
	s_cmp_lg_u64 s[18:19], 0
	s_subb_u32 s26, s20, s11
	s_sub_u32 s27, s12, s10
	s_cselect_b64 s[20:21], -1, 0
	s_cmp_lg_u64 s[20:21], 0
	s_subb_u32 s20, s26, 0
	s_cmp_ge_u32 s20, s11
	s_cselect_b32 s21, -1, 0
	s_cmp_ge_u32 s27, s10
	s_cselect_b32 s26, -1, 0
	s_cmp_eq_u32 s20, s11
	s_cselect_b32 s20, s26, s21
	s_add_u32 s21, s23, 1
	s_addc_u32 s26, s24, 0
	s_add_u32 s27, s23, 2
	s_addc_u32 s28, s24, 0
	s_cmp_lg_u32 s20, 0
	s_cselect_b32 s20, s27, s21
	s_cselect_b32 s21, s28, s26
	s_cmp_lg_u64 s[18:19], 0
	s_subb_u32 s13, s13, s25
	s_cmp_ge_u32 s13, s11
	s_cselect_b32 s18, -1, 0
	s_cmp_ge_u32 s12, s10
	s_cselect_b32 s10, -1, 0
	s_cmp_eq_u32 s13, s11
	s_cselect_b32 s10, s10, s18
	s_cmp_lg_u32 s10, 0
	s_cselect_b32 s11, s21, s24
	s_cselect_b32 s10, s20, s23
	s_xor_b64 s[12:13], s[14:15], 0
	s_xor_b64 s[10:11], s[10:11], s[12:13]
	s_sub_u32 s10, s10, s12
	s_load_dwordx4 s[12:15], s[4:5], 0x44
	s_cbranch_execnz .LBB38_3
.LBB38_2:
	v_cvt_f32_u32_e32 v1, s22
	s_sub_i32 s10, 0, s22
	v_rcp_iflag_f32_e32 v1, v1
	v_mul_f32_e32 v1, 0x4f7ffffe, v1
	v_cvt_u32_f32_e32 v1, v1
	v_readfirstlane_b32 s11, v1
	s_mul_i32 s10, s10, s11
	s_mul_hi_u32 s10, s11, s10
	s_add_i32 s11, s11, s10
	s_mul_hi_u32 s10, s9, s11
	s_waitcnt lgkmcnt(0)
	s_mul_i32 s15, s10, s22
	s_sub_i32 s9, s9, s15
	s_add_i32 s11, s10, 1
	s_sub_i32 s15, s9, s22
	s_cmp_ge_u32 s9, s22
	s_cselect_b32 s10, s11, s10
	s_cselect_b32 s9, s15, s9
	s_add_i32 s11, s10, 1
	s_cmp_ge_u32 s9, s22
	s_cselect_b32 s10, s11, s10
.LBB38_3:
	s_add_i32 s9, s6, 1
	s_mul_hi_i32 s21, s3, s9
	s_mov_b32 s20, 0
	s_cmp_lg_u64 s[20:21], 0
	s_mul_i32 s9, s3, s9
	s_cbranch_scc0 .LBB38_21
; %bb.4:
	s_add_u32 s16, s22, 0
	s_addc_u32 s17, 0, 0
	s_xor_b64 s[18:19], s[16:17], 0
	v_cvt_f32_u32_e32 v1, s18
	v_cvt_f32_u32_e32 v2, s19
	s_sub_u32 s11, 0, s18
	s_waitcnt lgkmcnt(0)
	s_subb_u32 s15, 0, s19
	v_madmk_f32 v1, v2, 0x4f800000, v1
	v_rcp_f32_e32 v1, v1
	v_mul_f32_e32 v1, 0x5f7ffffc, v1
	v_mul_f32_e32 v2, 0x2f800000, v1
	v_trunc_f32_e32 v2, v2
	v_madmk_f32 v1, v2, 0xcf800000, v1
	v_cvt_u32_f32_e32 v2, v2
	v_cvt_u32_f32_e32 v1, v1
	v_readfirstlane_b32 s20, v2
	v_readfirstlane_b32 s23, v1
	s_mul_i32 s24, s11, s20
	s_mul_hi_u32 s26, s11, s23
	s_mul_i32 s25, s15, s23
	s_add_i32 s24, s26, s24
	s_add_i32 s24, s24, s25
	s_mul_i32 s27, s11, s23
	s_mul_i32 s26, s23, s24
	s_mul_hi_u32 s28, s23, s27
	s_mul_hi_u32 s25, s23, s24
	s_add_u32 s26, s28, s26
	s_addc_u32 s25, 0, s25
	s_mul_hi_u32 s29, s20, s27
	s_mul_i32 s27, s20, s27
	s_add_u32 s26, s26, s27
	s_mul_hi_u32 s28, s20, s24
	s_addc_u32 s25, s25, s29
	s_addc_u32 s26, s28, 0
	s_mul_i32 s24, s20, s24
	s_add_u32 s24, s25, s24
	s_addc_u32 s26, 0, s26
	s_add_u32 s23, s23, s24
	s_cselect_b64 s[24:25], -1, 0
	s_cmp_lg_u64 s[24:25], 0
	s_addc_u32 s20, s20, s26
	s_mul_i32 s24, s11, s20
	s_mul_hi_u32 s25, s11, s23
	s_add_i32 s24, s25, s24
	s_mul_i32 s15, s15, s23
	s_add_i32 s24, s24, s15
	s_mul_i32 s11, s11, s23
	s_mul_hi_u32 s25, s20, s11
	s_mul_i32 s26, s20, s11
	s_mul_i32 s28, s23, s24
	s_mul_hi_u32 s11, s23, s11
	s_mul_hi_u32 s27, s23, s24
	s_add_u32 s11, s11, s28
	s_addc_u32 s27, 0, s27
	s_add_u32 s11, s11, s26
	s_mul_hi_u32 s15, s20, s24
	s_addc_u32 s11, s27, s25
	s_addc_u32 s15, s15, 0
	s_mul_i32 s24, s20, s24
	s_add_u32 s11, s11, s24
	s_addc_u32 s15, 0, s15
	s_add_u32 s11, s23, s11
	s_cselect_b64 s[24:25], -1, 0
	s_cmp_lg_u64 s[24:25], 0
	s_addc_u32 s15, s20, s15
	s_ashr_i32 s24, s21, 31
	s_add_u32 s20, s9, s24
	s_mov_b32 s25, s24
	s_addc_u32 s21, s21, s24
	s_xor_b64 s[20:21], s[20:21], s[24:25]
	s_mul_i32 s26, s20, s15
	s_mul_hi_u32 s27, s20, s11
	s_mul_hi_u32 s23, s20, s15
	s_add_u32 s26, s27, s26
	s_addc_u32 s23, 0, s23
	s_mul_hi_u32 s28, s21, s11
	s_mul_i32 s11, s21, s11
	s_add_u32 s11, s26, s11
	s_mul_hi_u32 s27, s21, s15
	s_addc_u32 s11, s23, s28
	s_addc_u32 s23, s27, 0
	s_mul_i32 s15, s21, s15
	s_add_u32 s11, s11, s15
	s_addc_u32 s15, 0, s23
	s_mul_i32 s23, s18, s15
	s_mul_hi_u32 s26, s18, s11
	s_add_i32 s23, s26, s23
	s_mul_i32 s26, s19, s11
	s_add_i32 s23, s23, s26
	s_sub_i32 s28, s21, s23
	s_mul_i32 s26, s18, s11
	s_sub_u32 s20, s20, s26
	s_cselect_b64 s[26:27], -1, 0
	s_cmp_lg_u64 s[26:27], 0
	s_subb_u32 s30, s28, s19
	s_sub_u32 s31, s20, s18
	s_cselect_b64 s[28:29], -1, 0
	s_cmp_lg_u64 s[28:29], 0
	s_subb_u32 s28, s30, 0
	s_cmp_ge_u32 s28, s19
	s_cselect_b32 s29, -1, 0
	s_cmp_ge_u32 s31, s18
	s_cselect_b32 s30, -1, 0
	s_cmp_eq_u32 s28, s19
	s_cselect_b32 s28, s30, s29
	s_add_u32 s29, s11, 1
	s_addc_u32 s30, s15, 0
	s_add_u32 s31, s11, 2
	s_addc_u32 s33, s15, 0
	s_cmp_lg_u32 s28, 0
	s_cselect_b32 s28, s31, s29
	s_cselect_b32 s29, s33, s30
	s_cmp_lg_u64 s[26:27], 0
	s_subb_u32 s21, s21, s23
	s_cmp_ge_u32 s21, s19
	s_cselect_b32 s23, -1, 0
	s_cmp_ge_u32 s20, s18
	s_cselect_b32 s18, -1, 0
	s_cmp_eq_u32 s21, s19
	s_cselect_b32 s18, s18, s23
	s_cmp_lg_u32 s18, 0
	s_cselect_b32 s19, s29, s15
	s_cselect_b32 s18, s28, s11
	s_xor_b64 s[20:21], s[24:25], 0
	s_xor_b64 s[18:19], s[18:19], s[20:21]
	s_sub_u32 s18, s18, s20
	s_cbranch_execnz .LBB38_6
.LBB38_5:
	v_cvt_f32_u32_e32 v1, s22
	s_sub_i32 s11, 0, s22
	v_rcp_iflag_f32_e32 v1, v1
	v_mul_f32_e32 v1, 0x4f7ffffe, v1
	v_cvt_u32_f32_e32 v1, v1
	s_waitcnt lgkmcnt(0)
	v_readfirstlane_b32 s15, v1
	s_mul_i32 s11, s11, s15
	s_mul_hi_u32 s11, s15, s11
	s_add_i32 s15, s15, s11
	s_mul_hi_u32 s11, s9, s15
	s_mul_i32 s16, s11, s22
	s_sub_i32 s9, s9, s16
	s_add_i32 s15, s11, 1
	s_sub_i32 s16, s9, s22
	s_cmp_ge_u32 s9, s22
	s_cselect_b32 s11, s15, s11
	s_cselect_b32 s9, s16, s9
	s_add_i32 s15, s11, 1
	s_cmp_ge_u32 s9, s22
	s_cselect_b32 s18, s15, s11
.LBB38_6:
	s_cmp_eq_u32 s10, s18
	s_waitcnt lgkmcnt(0)
	s_mul_hi_u32 s9, s10, s12
	s_cselect_b64 s[16:17], -1, 0
	s_add_i32 s9, s9, s10
	s_lshr_b32 s11, s9, s13
	s_mul_i32 s9, s11, s14
	s_cmp_eq_u32 s9, s10
	s_mul_hi_u32 s9, s18, s12
	s_cselect_b64 s[20:21], -1, 0
	s_add_i32 s9, s9, s18
	s_lshr_b32 s9, s9, s13
	s_cmp_eq_u32 s11, s9
	s_mul_i32 s9, s9, s14
	s_cselect_b64 s[24:25], -1, 0
	s_cmp_lg_u32 s9, s18
	s_cselect_b64 s[18:19], -1, 0
	s_and_b64 s[18:19], s[24:25], s[18:19]
	s_or_b64 s[16:17], s[16:17], s[20:21]
	s_or_b64 s[16:17], s[16:17], s[18:19]
	s_and_b64 vcc, exec, s[16:17]
	s_cbranch_vccnz .LBB38_23
; %bb.7:
	s_load_dwordx8 s[24:31], s[4:5], 0x20
	s_load_dword s15, s[4:5], 0x40
	s_waitcnt lgkmcnt(0)
	s_mul_hi_u32 s9, s10, s24
	s_add_i32 s9, s9, s10
	s_lshr_b32 s9, s9, s25
	s_mul_i32 s16, s9, s26
	s_sub_i32 s16, s10, s16
	s_mul_hi_u32 s17, s16, s27
	s_add_i32 s17, s16, s17
	s_lshr_b32 s23, s17, s28
	s_mul_i32 s17, s23, s29
	s_sub_i32 s16, s16, s17
	;; [unrolled: 5-line block ×3, first 2 shown]
	s_mul_hi_u32 s16, s15, s12
	s_add_i32 s15, s15, s16
	s_lshr_b32 s25, s15, s13
	s_lshl_b32 s15, s25, 1
	s_lshl_b32 s24, s17, 1
	s_add_i32 s15, s15, s7
	s_cmp_lt_i32 s15, s0
	s_cselect_b64 s[16:17], -1, 0
	s_add_i32 s15, s24, s8
	s_cmp_lt_i32 s15, s2
	s_cselect_b64 s[18:19], -1, 0
	s_and_b64 s[16:17], s[16:17], s[18:19]
	s_andn2_b64 vcc, exec, s[16:17]
	s_cbranch_vccnz .LBB38_23
; %bb.8:
	s_load_dwordx4 s[16:19], s[4:5], 0x0
	s_mov_b32 s4, 0
	s_lshl_b32 s15, s7, 1
	s_lshl_b32 s20, s22, 4
	s_mov_b32 s21, s4
	s_add_i32 s15, s15, s8
	s_lshl_b64 s[20:21], s[20:21], 2
	s_waitcnt lgkmcnt(0)
	s_add_u32 s20, s18, s20
	s_mul_i32 s0, s9, s0
	s_addc_u32 s21, s19, s21
	s_add_i32 s0, s0, s7
	s_mul_i32 s0, s0, s1
	s_mul_i32 s23, s23, s2
	s_add_i32 s0, s0, s8
	s_add_i32 s0, s0, s23
	s_mul_i32 s2, s1, s25
	s_add_i32 s0, s0, s24
	s_lshl_b32 s2, s2, 9
	s_lshl_b32 s0, s0, 8
	s_add_i32 s2, s2, s0
	v_or_b32_e32 v1, s2, v0
	v_ashrrev_i32_e32 v2, 31, v1
	v_lshlrev_b64 v[1:2], 2, v[1:2]
	v_mov_b32_e32 v3, s17
	v_add_co_u32_e32 v1, vcc, s16, v1
	v_addc_co_u32_e32 v2, vcc, v3, v2, vcc
	global_load_dword v3, v[1:2], off
	v_cvt_f32_u32_e32 v4, s22
	s_lshl_b32 s0, s6, 2
	s_add_i32 s0, s15, s0
	s_ashr_i32 s1, s0, 31
	s_lshl_b64 s[0:1], s[0:1], 3
	v_rcp_iflag_f32_e32 v4, v4
	s_add_u32 s0, s18, s0
	s_addc_u32 s1, s19, s1
	s_load_dwordx2 s[0:1], s[0:1], 0x0
	v_mul_f32_e32 v4, 0x4f7ffffe, v4
	v_cvt_u32_f32_e32 v4, v4
	s_add_i32 s24, s6, -1
	v_lshl_or_b32 v0, s15, 8, v0
	s_waitcnt lgkmcnt(0)
	v_mov_b32_e32 v6, s1
	v_mov_b32_e32 v7, s0
	s_mov_b32 s2, 0x3fb8aa3b
	s_mov_b32 s16, 0xc2ce8ed0
	;; [unrolled: 1-line block ×4, first 2 shown]
	v_mov_b32_e32 v5, 0x7f800000
	s_mul_hi_i32 s5, s24, s3
	s_cmp_lg_u64 s[4:5], 0
	s_mul_i32 s8, s24, s3
	s_cbranch_scc0 .LBB38_19
.LBB38_9:
	s_add_u32 s0, s22, 0
	s_addc_u32 s1, 0, 0
	s_xor_b64 s[0:1], s[0:1], 0
	v_cvt_f32_u32_e32 v8, s0
	v_cvt_f32_u32_e32 v9, s1
	s_sub_u32 s9, 0, s0
	s_subb_u32 s25, 0, s1
	v_mac_f32_e32 v8, 0x4f800000, v9
	v_rcp_f32_e32 v8, v8
	v_mul_f32_e32 v8, 0x5f7ffffc, v8
	v_mul_f32_e32 v9, 0x2f800000, v8
	v_trunc_f32_e32 v9, v9
	v_mac_f32_e32 v8, 0xcf800000, v9
	v_cvt_u32_f32_e32 v9, v9
	v_cvt_u32_f32_e32 v8, v8
	v_readfirstlane_b32 s26, v9
	v_readfirstlane_b32 s6, v8
	s_mul_i32 s7, s9, s26
	s_mul_hi_u32 s28, s9, s6
	s_mul_i32 s27, s25, s6
	s_add_i32 s7, s28, s7
	s_mul_i32 s29, s9, s6
	s_add_i32 s7, s7, s27
	s_mul_i32 s28, s6, s7
	s_mul_hi_u32 s30, s6, s29
	s_mul_hi_u32 s27, s6, s7
	s_add_u32 s28, s30, s28
	s_addc_u32 s27, 0, s27
	s_mul_hi_u32 s31, s26, s29
	s_mul_i32 s29, s26, s29
	s_add_u32 s28, s28, s29
	s_mul_hi_u32 s30, s26, s7
	s_addc_u32 s27, s27, s31
	s_addc_u32 s28, s30, 0
	s_mul_i32 s7, s26, s7
	s_add_u32 s7, s27, s7
	s_addc_u32 s27, 0, s28
	s_add_u32 s28, s6, s7
	s_cselect_b64 s[6:7], -1, 0
	s_cmp_lg_u64 s[6:7], 0
	s_addc_u32 s26, s26, s27
	s_mul_i32 s6, s9, s26
	s_mul_hi_u32 s7, s9, s28
	s_add_i32 s6, s7, s6
	s_mul_i32 s25, s25, s28
	s_add_i32 s6, s6, s25
	s_mul_i32 s9, s9, s28
	s_mul_hi_u32 s25, s26, s9
	s_mul_i32 s27, s26, s9
	s_mul_i32 s30, s28, s6
	s_mul_hi_u32 s9, s28, s9
	s_mul_hi_u32 s29, s28, s6
	s_add_u32 s9, s9, s30
	s_addc_u32 s29, 0, s29
	s_add_u32 s9, s9, s27
	s_mul_hi_u32 s7, s26, s6
	s_addc_u32 s9, s29, s25
	s_addc_u32 s7, s7, 0
	s_mul_i32 s6, s26, s6
	s_add_u32 s6, s9, s6
	s_addc_u32 s9, 0, s7
	s_add_u32 s25, s28, s6
	s_cselect_b64 s[6:7], -1, 0
	s_cmp_lg_u64 s[6:7], 0
	s_addc_u32 s9, s26, s9
	s_ashr_i32 s6, s5, 31
	s_add_u32 s26, s8, s6
	s_mov_b32 s7, s6
	s_addc_u32 s27, s5, s6
	s_xor_b64 s[26:27], s[26:27], s[6:7]
	s_mul_i32 s28, s26, s9
	s_mul_hi_u32 s29, s26, s25
	s_mul_hi_u32 s5, s26, s9
	s_add_u32 s28, s29, s28
	s_addc_u32 s5, 0, s5
	s_mul_hi_u32 s30, s27, s25
	s_mul_i32 s25, s27, s25
	s_add_u32 s25, s28, s25
	s_mul_hi_u32 s29, s27, s9
	s_addc_u32 s5, s5, s30
	s_addc_u32 s25, s29, 0
	s_mul_i32 s9, s27, s9
	s_add_u32 s5, s5, s9
	s_addc_u32 s9, 0, s25
	s_mul_i32 s25, s0, s9
	s_mul_hi_u32 s28, s0, s5
	s_add_i32 s25, s28, s25
	s_mul_i32 s28, s1, s5
	s_add_i32 s25, s25, s28
	s_sub_i32 s30, s27, s25
	s_mul_i32 s28, s0, s5
	s_sub_u32 s26, s26, s28
	s_cselect_b64 s[28:29], -1, 0
	s_cmp_lg_u64 s[28:29], 0
	s_subb_u32 s33, s30, s1
	s_sub_u32 s34, s26, s0
	s_cselect_b64 s[30:31], -1, 0
	s_cmp_lg_u64 s[30:31], 0
	s_subb_u32 s30, s33, 0
	s_cmp_ge_u32 s30, s1
	s_cselect_b32 s31, -1, 0
	s_cmp_ge_u32 s34, s0
	s_cselect_b32 s33, -1, 0
	s_cmp_eq_u32 s30, s1
	s_cselect_b32 s30, s33, s31
	s_add_u32 s31, s5, 1
	s_addc_u32 s33, s9, 0
	s_add_u32 s34, s5, 2
	s_addc_u32 s35, s9, 0
	s_cmp_lg_u32 s30, 0
	s_cselect_b32 s30, s34, s31
	s_cselect_b32 s31, s35, s33
	s_cmp_lg_u64 s[28:29], 0
	s_subb_u32 s25, s27, s25
	s_cmp_ge_u32 s25, s1
	s_cselect_b32 s27, -1, 0
	s_cmp_ge_u32 s26, s0
	s_cselect_b32 s0, -1, 0
	s_cmp_eq_u32 s25, s1
	s_cselect_b32 s0, s0, s27
	s_cmp_lg_u32 s0, 0
	s_cselect_b32 s1, s31, s9
	s_cselect_b32 s0, s30, s5
	s_xor_b64 s[6:7], s[6:7], 0
	s_xor_b64 s[0:1], s[0:1], s[6:7]
	s_sub_u32 s6, s0, s6
	s_cbranch_execnz .LBB38_11
.LBB38_10:
	s_sub_i32 s0, 0, s22
	v_readfirstlane_b32 s1, v4
	s_mul_i32 s0, s0, s1
	s_mul_hi_u32 s0, s1, s0
	s_add_i32 s1, s1, s0
	s_mul_hi_u32 s0, s8, s1
	s_mul_i32 s5, s0, s22
	s_sub_i32 s5, s8, s5
	s_add_i32 s1, s0, 1
	s_sub_i32 s6, s5, s22
	s_cmp_ge_u32 s5, s22
	s_cselect_b32 s0, s1, s0
	s_cselect_b32 s5, s6, s5
	s_add_i32 s1, s0, 1
	s_cmp_ge_u32 s5, s22
	s_cselect_b32 s6, s1, s0
.LBB38_11:
	s_cmp_lg_u32 s10, s6
	s_mov_b64 s[8:9], -1
                                        ; implicit-def: $sgpr0_sgpr1
                                        ; implicit-def: $vgpr10
                                        ; implicit-def: $vgpr8
                                        ; implicit-def: $vgpr9
                                        ; implicit-def: $sgpr5
                                        ; implicit-def: $sgpr7
	s_cbranch_scc1 .LBB38_14
; %bb.12:
	s_andn2_b64 vcc, exec, s[8:9]
	s_cbranch_vccz .LBB38_17
.LBB38_13:
	s_andn2_b64 vcc, exec, s[0:1]
	s_cbranch_vccnz .LBB38_18
	s_branch .LBB38_22
.LBB38_14:
	s_add_i32 s0, s24, s22
	s_lshl_b32 s0, s0, 2
	s_add_i32 s0, s0, s15
	s_mov_b32 s1, s4
	s_lshl_b64 s[0:1], s[0:1], 3
	s_add_u32 s8, s18, s0
	s_mul_hi_u32 s0, s6, s12
	s_addc_u32 s9, s19, s1
	s_add_i32 s0, s0, s6
	s_lshr_b32 s5, s0, s13
	s_mul_i32 s0, s5, s14
	s_cmp_eq_u32 s0, s6
	s_cselect_b64 s[0:1], -1, 0
	s_cmp_lt_u32 s5, s11
	s_cselect_b64 s[26:27], -1, 0
	s_or_b64 s[26:27], s[26:27], s[0:1]
	s_mov_b64 s[0:1], -1
	s_and_b64 vcc, exec, s[26:27]
	s_mov_b32 s5, s24
	s_mov_b32 s7, s10
	s_cbranch_vccnz .LBB38_16
; %bb.15:
	s_add_i32 s5, s24, -1
	s_mov_b64 s[0:1], 0
	s_mov_b32 s7, s6
.LBB38_16:
	v_lshl_add_u32 v8, s24, 10, v0
	v_ashrrev_i32_e32 v9, 31, v8
	v_lshlrev_b64 v[8:9], 2, v[8:9]
	v_mov_b32_e32 v10, s21
	v_add_co_u32_e32 v8, vcc, s20, v8
	v_addc_co_u32_e32 v9, vcc, v10, v9, vcc
	global_load_dword v10, v[8:9], off
	s_load_dwordx2 s[8:9], s[8:9], 0x0
	v_max_f32_e32 v8, v7, v7
	s_waitcnt lgkmcnt(0)
	v_max_f32_e64 v9, s8, s8
	v_max_f32_e32 v8, v8, v9
	v_sub_f32_e32 v9, v7, v8
	v_sub_f32_e32 v11, s8, v8
	v_mul_f32_e32 v12, 0x3fb8aa3b, v9
	v_mul_f32_e32 v13, 0x3fb8aa3b, v11
	v_fma_f32 v14, v9, s2, -v12
	v_rndne_f32_e32 v15, v12
	v_fma_f32 v16, v11, s2, -v13
	v_rndne_f32_e32 v17, v13
	v_fmac_f32_e32 v14, 0x32a5705f, v9
	v_sub_f32_e32 v12, v12, v15
	v_fmac_f32_e32 v16, 0x32a5705f, v11
	v_sub_f32_e32 v13, v13, v17
	v_add_f32_e32 v12, v12, v14
	v_cvt_i32_f32_e32 v15, v15
	v_add_f32_e32 v13, v13, v16
	v_exp_f32_e32 v12, v12
	v_cvt_i32_f32_e32 v17, v17
	v_exp_f32_e32 v13, v13
	v_cmp_ngt_f32_e32 vcc, s16, v9
	v_ldexp_f32 v12, v12, v15
	v_cndmask_b32_e32 v12, 0, v12, vcc
	v_ldexp_f32 v13, v13, v17
	v_cmp_ngt_f32_e32 vcc, s16, v11
	v_cndmask_b32_e32 v13, 0, v13, vcc
	v_cmp_nlt_f32_e32 vcc, s17, v9
	v_cndmask_b32_e32 v12, v5, v12, vcc
	v_cmp_nlt_f32_e32 vcc, s17, v11
	v_cndmask_b32_e32 v13, v5, v13, vcc
	v_cmp_le_f32_e32 vcc, s23, v9
	v_cndmask_b32_e32 v12, 0, v12, vcc
	v_cmp_le_f32_e32 vcc, s23, v11
	v_cndmask_b32_e32 v11, 0, v13, vcc
	v_mul_f32_e32 v9, s9, v11
	v_fmac_f32_e32 v9, v6, v12
	s_waitcnt vmcnt(0)
	v_mul_f32_e32 v10, v10, v11
	v_fmac_f32_e32 v10, v3, v12
	s_cbranch_execnz .LBB38_13
.LBB38_17:
	s_add_i32 s5, s24, -1
	s_mov_b32 s7, s10
	v_mov_b32_e32 v9, v6
	v_mov_b32_e32 v8, v7
	s_waitcnt vmcnt(0)
	v_mov_b32_e32 v10, v3
	s_cbranch_execz .LBB38_22
.LBB38_18:
	s_mov_b32 s10, s7
	s_mov_b32 s24, s5
	v_mov_b32_e32 v6, v9
	v_mov_b32_e32 v7, v8
	s_waitcnt vmcnt(0)
	v_mov_b32_e32 v3, v10
	s_mul_hi_i32 s5, s24, s3
	s_cmp_lg_u64 s[4:5], 0
	s_mul_i32 s8, s24, s3
	s_cbranch_scc1 .LBB38_9
.LBB38_19:
                                        ; implicit-def: $sgpr6_sgpr7
	s_branch .LBB38_10
.LBB38_20:
                                        ; implicit-def: $sgpr10_sgpr11
	s_load_dwordx4 s[12:15], s[4:5], 0x44
	s_branch .LBB38_2
.LBB38_21:
                                        ; implicit-def: $sgpr18_sgpr19
	s_branch .LBB38_5
.LBB38_22:
	v_div_scale_f32 v0, s[0:1], v9, v9, v10
	s_waitcnt vmcnt(0)
	v_div_scale_f32 v3, vcc, v10, v9, v10
	v_rcp_f32_e32 v4, v0
	v_fma_f32 v5, -v0, v4, 1.0
	v_fmac_f32_e32 v4, v5, v4
	v_mul_f32_e32 v5, v3, v4
	v_fma_f32 v6, -v0, v5, v3
	v_fmac_f32_e32 v5, v6, v4
	v_fma_f32 v0, -v0, v5, v3
	v_div_fmas_f32 v0, v0, v4, v5
	v_div_fixup_f32 v0, v0, v9, v10
	global_store_dword v[1:2], v0, off
.LBB38_23:
	s_endpgm
	.section	.rodata,"a",@progbits
	.p2align	6, 0x0
	.amdhsa_kernel _ZL33flash_attn_stream_k_fixup_generalILi256ELi2ELi2EEvPfPK15HIP_vector_typeIfLj2EEiiiiS1_IjLj3EES5_S5_S5_
		.amdhsa_group_segment_fixed_size 0
		.amdhsa_private_segment_fixed_size 0
		.amdhsa_kernarg_size 336
		.amdhsa_user_sgpr_count 6
		.amdhsa_user_sgpr_private_segment_buffer 1
		.amdhsa_user_sgpr_dispatch_ptr 0
		.amdhsa_user_sgpr_queue_ptr 0
		.amdhsa_user_sgpr_kernarg_segment_ptr 1
		.amdhsa_user_sgpr_dispatch_id 0
		.amdhsa_user_sgpr_flat_scratch_init 0
		.amdhsa_user_sgpr_private_segment_size 0
		.amdhsa_uses_dynamic_stack 0
		.amdhsa_system_sgpr_private_segment_wavefront_offset 0
		.amdhsa_system_sgpr_workgroup_id_x 1
		.amdhsa_system_sgpr_workgroup_id_y 1
		.amdhsa_system_sgpr_workgroup_id_z 1
		.amdhsa_system_sgpr_workgroup_info 0
		.amdhsa_system_vgpr_workitem_id 0
		.amdhsa_next_free_vgpr 18
		.amdhsa_next_free_sgpr 36
		.amdhsa_reserve_vcc 1
		.amdhsa_reserve_flat_scratch 0
		.amdhsa_float_round_mode_32 0
		.amdhsa_float_round_mode_16_64 0
		.amdhsa_float_denorm_mode_32 3
		.amdhsa_float_denorm_mode_16_64 3
		.amdhsa_dx10_clamp 1
		.amdhsa_ieee_mode 1
		.amdhsa_fp16_overflow 0
		.amdhsa_exception_fp_ieee_invalid_op 0
		.amdhsa_exception_fp_denorm_src 0
		.amdhsa_exception_fp_ieee_div_zero 0
		.amdhsa_exception_fp_ieee_overflow 0
		.amdhsa_exception_fp_ieee_underflow 0
		.amdhsa_exception_fp_ieee_inexact 0
		.amdhsa_exception_int_div_zero 0
	.end_amdhsa_kernel
	.section	.text._ZL33flash_attn_stream_k_fixup_generalILi256ELi2ELi2EEvPfPK15HIP_vector_typeIfLj2EEiiiiS1_IjLj3EES5_S5_S5_,"axG",@progbits,_ZL33flash_attn_stream_k_fixup_generalILi256ELi2ELi2EEvPfPK15HIP_vector_typeIfLj2EEiiiiS1_IjLj3EES5_S5_S5_,comdat
.Lfunc_end38:
	.size	_ZL33flash_attn_stream_k_fixup_generalILi256ELi2ELi2EEvPfPK15HIP_vector_typeIfLj2EEiiiiS1_IjLj3EES5_S5_S5_, .Lfunc_end38-_ZL33flash_attn_stream_k_fixup_generalILi256ELi2ELi2EEvPfPK15HIP_vector_typeIfLj2EEiiiiS1_IjLj3EES5_S5_S5_
                                        ; -- End function
	.set _ZL33flash_attn_stream_k_fixup_generalILi256ELi2ELi2EEvPfPK15HIP_vector_typeIfLj2EEiiiiS1_IjLj3EES5_S5_S5_.num_vgpr, 18
	.set _ZL33flash_attn_stream_k_fixup_generalILi256ELi2ELi2EEvPfPK15HIP_vector_typeIfLj2EEiiiiS1_IjLj3EES5_S5_S5_.num_agpr, 0
	.set _ZL33flash_attn_stream_k_fixup_generalILi256ELi2ELi2EEvPfPK15HIP_vector_typeIfLj2EEiiiiS1_IjLj3EES5_S5_S5_.numbered_sgpr, 36
	.set _ZL33flash_attn_stream_k_fixup_generalILi256ELi2ELi2EEvPfPK15HIP_vector_typeIfLj2EEiiiiS1_IjLj3EES5_S5_S5_.num_named_barrier, 0
	.set _ZL33flash_attn_stream_k_fixup_generalILi256ELi2ELi2EEvPfPK15HIP_vector_typeIfLj2EEiiiiS1_IjLj3EES5_S5_S5_.private_seg_size, 0
	.set _ZL33flash_attn_stream_k_fixup_generalILi256ELi2ELi2EEvPfPK15HIP_vector_typeIfLj2EEiiiiS1_IjLj3EES5_S5_S5_.uses_vcc, 1
	.set _ZL33flash_attn_stream_k_fixup_generalILi256ELi2ELi2EEvPfPK15HIP_vector_typeIfLj2EEiiiiS1_IjLj3EES5_S5_S5_.uses_flat_scratch, 0
	.set _ZL33flash_attn_stream_k_fixup_generalILi256ELi2ELi2EEvPfPK15HIP_vector_typeIfLj2EEiiiiS1_IjLj3EES5_S5_S5_.has_dyn_sized_stack, 0
	.set _ZL33flash_attn_stream_k_fixup_generalILi256ELi2ELi2EEvPfPK15HIP_vector_typeIfLj2EEiiiiS1_IjLj3EES5_S5_S5_.has_recursion, 0
	.set _ZL33flash_attn_stream_k_fixup_generalILi256ELi2ELi2EEvPfPK15HIP_vector_typeIfLj2EEiiiiS1_IjLj3EES5_S5_S5_.has_indirect_call, 0
	.section	.AMDGPU.csdata,"",@progbits
; Kernel info:
; codeLenInByte = 2940
; TotalNumSgprs: 40
; NumVgprs: 18
; ScratchSize: 0
; MemoryBound: 0
; FloatMode: 240
; IeeeMode: 1
; LDSByteSize: 0 bytes/workgroup (compile time only)
; SGPRBlocks: 4
; VGPRBlocks: 4
; NumSGPRsForWavesPerEU: 40
; NumVGPRsForWavesPerEU: 18
; Occupancy: 10
; WaveLimiterHint : 0
; COMPUTE_PGM_RSRC2:SCRATCH_EN: 0
; COMPUTE_PGM_RSRC2:USER_SGPR: 6
; COMPUTE_PGM_RSRC2:TRAP_HANDLER: 0
; COMPUTE_PGM_RSRC2:TGID_X_EN: 1
; COMPUTE_PGM_RSRC2:TGID_Y_EN: 1
; COMPUTE_PGM_RSRC2:TGID_Z_EN: 1
; COMPUTE_PGM_RSRC2:TIDIG_COMP_CNT: 0
	.section	.text._ZL15flash_attn_tileILi256ELi256ELi1ELi2ELb0EEvPKcS1_S1_S1_S1_PKiPfP15HIP_vector_typeIfLj2EEffffjfiS5_IjLj3EEiiiiiiiiiiiliiliiiiil,"axG",@progbits,_ZL15flash_attn_tileILi256ELi256ELi1ELi2ELb0EEvPKcS1_S1_S1_S1_PKiPfP15HIP_vector_typeIfLj2EEffffjfiS5_IjLj3EEiiiiiiiiiiiliiliiiiil,comdat
	.globl	_ZL15flash_attn_tileILi256ELi256ELi1ELi2ELb0EEvPKcS1_S1_S1_S1_PKiPfP15HIP_vector_typeIfLj2EEffffjfiS5_IjLj3EEiiiiiiiiiiiliiliiiiil ; -- Begin function _ZL15flash_attn_tileILi256ELi256ELi1ELi2ELb0EEvPKcS1_S1_S1_S1_PKiPfP15HIP_vector_typeIfLj2EEffffjfiS5_IjLj3EEiiiiiiiiiiiliiliiiiil
	.p2align	8
	.type	_ZL15flash_attn_tileILi256ELi256ELi1ELi2ELb0EEvPKcS1_S1_S1_S1_PKiPfP15HIP_vector_typeIfLj2EEffffjfiS5_IjLj3EEiiiiiiiiiiiliiliiiiil,@function
_ZL15flash_attn_tileILi256ELi256ELi1ELi2ELb0EEvPKcS1_S1_S1_S1_PKiPfP15HIP_vector_typeIfLj2EEffffjfiS5_IjLj3EEiiiiiiiiiiiliiliiiiil: ; @_ZL15flash_attn_tileILi256ELi256ELi1ELi2ELb0EEvPKcS1_S1_S1_S1_PKiPfP15HIP_vector_typeIfLj2EEffffjfiS5_IjLj3EEiiiiiiiiiiiliiliiiiil
; %bb.0:
	s_load_dwordx4 s[24:27], s[4:5], 0x5c
	s_load_dwordx2 s[28:29], s[4:5], 0x80
	s_load_dwordx2 s[34:35], s[4:5], 0xb8
	s_mov_b64 s[30:31], 0
	s_waitcnt lgkmcnt(0)
	s_lshr_b32 s0, s27, 31
	s_add_i32 s0, s27, s0
	s_ashr_i32 s0, s0, 1
	v_cvt_f32_u32_e32 v2, s0
	s_sub_i32 s1, 0, s0
	v_rcp_iflag_f32_e32 v2, v2
	v_mul_f32_e32 v2, 0x4f7ffffe, v2
	v_cvt_u32_f32_e32 v2, v2
	v_readfirstlane_b32 s2, v2
	s_mul_i32 s1, s1, s2
	s_mul_hi_u32 s1, s2, s1
	s_add_i32 s2, s2, s1
	s_mul_hi_u32 s1, s8, s2
	s_mul_i32 s2, s1, s0
	s_sub_i32 s2, s8, s2
	s_add_i32 s3, s1, 1
	s_sub_i32 s9, s2, s0
	s_cmp_ge_u32 s2, s0
	s_cselect_b32 s1, s3, s1
	s_cselect_b32 s2, s9, s2
	s_add_i32 s3, s1, 1
	s_cmp_ge_u32 s2, s0
	s_cselect_b32 s33, s3, s1
	s_abs_i32 s1, s29
	v_cvt_f32_u32_e32 v2, s1
	s_lshl_b32 s0, s8, 1
	s_sub_i32 s8, 0, s1
	s_abs_i32 s3, s27
	v_rcp_iflag_f32_e32 v2, v2
	s_xor_b32 s2, s27, s29
	s_ashr_i32 s2, s2, 31
	v_mul_f32_e32 v2, 0x4f7ffffe, v2
	v_cvt_u32_f32_e32 v2, v2
	v_readfirstlane_b32 s9, v2
	s_mul_i32 s8, s8, s9
	s_mul_hi_u32 s8, s9, s8
	s_add_i32 s9, s9, s8
	s_mul_hi_u32 s8, s3, s9
	s_mul_i32 s9, s8, s1
	s_sub_i32 s3, s3, s9
	s_add_i32 s10, s8, 1
	s_sub_i32 s9, s3, s1
	s_cmp_ge_u32 s3, s1
	s_cselect_b32 s8, s10, s8
	s_cselect_b32 s3, s9, s3
	s_add_i32 s9, s8, 1
	s_cmp_ge_u32 s3, s1
	s_cselect_b32 s1, s9, s8
	s_xor_b32 s1, s1, s2
	s_sub_i32 s37, s1, s2
	s_abs_i32 s36, s37
	v_cvt_f32_u32_e32 v2, s36
	s_load_dwordx16 s[8:23], s[4:5], 0x0
	s_mul_i32 s1, s33, s27
	v_rcp_iflag_f32_e32 v2, v2
	s_waitcnt lgkmcnt(0)
	s_cmp_eq_u64 s[14:15], 0
	v_mul_f32_e32 v2, 0x4f7ffffe, v2
	v_cvt_u32_f32_e32 v2, v2
	v_readfirstlane_b32 s38, v2
	s_cbranch_scc1 .LBB39_2
; %bb.1:
	s_abs_i32 s29, s34
	v_cvt_f32_u32_e32 v2, s29
	s_sub_i32 s34, 0, s29
	s_abs_i32 s31, s33
	s_ashr_i32 s30, s33, 31
	v_rcp_iflag_f32_e32 v2, v2
	s_load_dwordx2 s[2:3], s[4:5], 0xc8
	v_mul_f32_e32 v2, 0x4f7ffffe, v2
	v_cvt_u32_f32_e32 v2, v2
	v_readfirstlane_b32 s39, v2
	s_mul_i32 s34, s34, s39
	s_mul_hi_u32 s34, s39, s34
	s_add_i32 s39, s39, s34
	s_mul_hi_u32 s34, s31, s39
	s_mul_i32 s34, s34, s29
	s_sub_i32 s31, s31, s34
	s_sub_i32 s34, s31, s29
	s_cmp_ge_u32 s31, s29
	s_cselect_b32 s31, s34, s31
	s_sub_i32 s34, s31, s29
	s_cmp_ge_u32 s31, s29
	s_cselect_b32 s29, s34, s31
	s_xor_b32 s29, s29, s30
	s_sub_i32 s29, s29, s30
	s_ashr_i32 s30, s29, 31
	s_waitcnt lgkmcnt(0)
	s_mul_hi_u32 s31, s2, s29
	s_mul_i32 s30, s2, s30
	s_mul_i32 s3, s3, s29
	s_add_i32 s30, s31, s30
	s_add_i32 s3, s30, s3
	s_mul_i32 s2, s2, s29
	s_add_u32 s30, s14, s2
	s_addc_u32 s31, s15, s3
.LBB39_2:
	v_lshlrev_b32_e32 v2, 7, v1
	v_and_b32_e32 v3, 0x180, v2
	v_lshlrev_b32_e32 v31, 2, v0
	s_sub_i32 s29, s0, s1
	v_add_u32_e32 v2, v3, v31
	s_movk_i32 s0, 0x100
	v_cmp_gt_u32_e32 vcc, s0, v2
	v_lshlrev_b32_e32 v2, 3, v0
	v_bfe_u32 v33, v1, 2, 1
	v_lshrrev_b32_e32 v32, 3, v1
	v_lshlrev_b32_e32 v4, 2, v31
	s_and_saveexec_b64 s[14:15], vcc
	s_cbranch_execz .LBB39_4
; %bb.3:
	s_load_dwordx4 s[0:3], s[4:5], 0x70
	v_add_u32_e32 v7, s6, v32
	v_mul_hi_u32 v5, s24, v7
	v_lshlrev_b32_e32 v3, 2, v3
	s_waitcnt lgkmcnt(0)
	s_mul_i32 s3, s33, s2
	s_ashr_i32 s39, s3, 31
	s_mul_i32 s34, s29, s1
	s_add_u32 s3, s8, s3
	v_add_u32_e32 v5, v7, v5
	s_addc_u32 s8, s9, s39
	s_ashr_i32 s9, s34, 31
	v_lshrrev_b32_e32 v5, s25, v5
	s_add_u32 s34, s3, s34
	v_mul_lo_u32 v8, v5, s26
	s_addc_u32 s39, s8, s9
	s_ashr_i32 s3, s1, 31
	s_mov_b32 s2, s1
	s_lshr_b32 s1, s3, 2
	v_mul_lo_u32 v6, s1, v33
	s_ashr_i32 s1, s0, 31
	s_lshr_b64 s[8:9], s[2:3], 2
	s_lshr_b64 s[2:3], s[0:1], 2
	v_sub_u32_e32 v9, v7, v8
	v_mad_u64_u32 v[7:8], s[2:3], s2, v9, 0
	v_mul_lo_u32 v5, s8, v33
	s_lshr_b32 s0, s1, 2
	v_mad_u64_u32 v[8:9], s[0:1], s0, v9, v[8:9]
	v_lshlrev_b64 v[5:6], 2, v[5:6]
	v_mov_b32_e32 v10, s39
	v_add_co_u32_e32 v9, vcc, s34, v5
	v_addc_co_u32_e32 v10, vcc, v10, v6, vcc
	v_lshlrev_b64 v[5:6], 2, v[7:8]
	s_load_dword s0, s[4:5], 0x40
	v_add_co_u32_e32 v5, vcc, v9, v5
	v_addc_co_u32_e32 v6, vcc, v10, v6, vcc
	v_add_co_u32_e32 v3, vcc, v5, v3
	v_addc_co_u32_e32 v6, vcc, 0, v6, vcc
	;; [unrolled: 2-line block ×3, first 2 shown]
	global_load_dwordx4 v[5:8], v[5:6], off
	v_lshrrev_b32_e32 v3, 2, v1
	v_lshlrev_b32_e32 v9, 8, v1
	v_lshlrev_b32_e32 v3, 9, v3
	v_and_b32_e32 v9, 0x300, v9
	v_add3_u32 v3, v3, v9, v2
	s_waitcnt vmcnt(0) lgkmcnt(0)
	v_fma_mixlo_f16 v5, s0, v5, 0
	v_fma_mixlo_f16 v6, s0, v6, 0
	;; [unrolled: 1-line block ×4, first 2 shown]
	v_lshlrev_b32_e32 v6, 16, v6
	v_and_b32_e32 v5, 0xffff, v5
	v_lshlrev_b32_e32 v8, 16, v8
	v_and_b32_e32 v7, 0xffff, v7
	v_or_b32_e32 v5, v6, v5
	v_or3_b32 v6, v8, v7, 0
	v_or3_b32 v5, 0, 0, v5
	ds_write_b64 v3, v[5:6] offset:18432
.LBB39_4:
	s_or_b64 exec, exec, s[14:15]
	s_cmp_eq_u64 s[18:19], 0
	s_waitcnt lgkmcnt(0)
	s_barrier
	s_cbranch_scc1 .LBB39_6
; %bb.5:
	s_load_dword s0, s[4:5], 0xd0
	s_mov_b32 s1, 0
	s_waitcnt lgkmcnt(0)
	s_mul_i32 s0, s0, s33
	s_add_i32 s0, s0, s6
	s_lshl_b64 s[0:1], s[0:1], 2
	s_add_u32 s0, s18, s0
	s_addc_u32 s1, s19, s1
	s_load_dword s28, s[0:1], 0x0
.LBB39_6:
	s_lshl_b32 s14, s7, 7
	s_waitcnt lgkmcnt(0)
	s_cmp_lt_i32 s14, s28
	v_mbcnt_lo_u32_b32 v5, -1, 0
	v_and_b32_e32 v35, 3, v1
	s_cbranch_scc1 .LBB39_9
; %bb.7:
	v_mbcnt_hi_u32_b32 v36, -1, v5
	v_and_b32_e32 v3, 0x60, v36
	v_add_u32_e32 v37, 32, v3
	v_xor_b32_e32 v43, 16, v36
	v_xor_b32_e32 v41, 8, v36
	v_xor_b32_e32 v40, 4, v36
	v_xor_b32_e32 v39, 2, v36
	v_xor_b32_e32 v38, 1, v36
	v_and_b32_e32 v6, 3, v1
	v_lshlrev_b32_e32 v34, 2, v1
	v_cmp_eq_u32_e64 s[0:1], 0, v0
	s_cbranch_execz .LBB39_10
; %bb.8:
	v_mov_b32_e32 v5, 0
	v_mov_b32_e32 v50, 0
	;; [unrolled: 1-line block ×6, first 2 shown]
	s_branch .LBB39_16
.LBB39_9:
                                        ; implicit-def: $vgpr36
                                        ; implicit-def: $vgpr37
                                        ; implicit-def: $vgpr43
                                        ; implicit-def: $vgpr41
                                        ; implicit-def: $vgpr40
                                        ; implicit-def: $vgpr39
                                        ; implicit-def: $vgpr38
                                        ; implicit-def: $vgpr6
	v_lshlrev_b32_e32 v34, 2, v1
	v_cmp_eq_u32_e64 s[0:1], 0, v0
.LBB39_10:
	s_sub_i32 s2, 0, s36
	s_mul_i32 s2, s2, s38
	s_mul_hi_u32 s2, s38, s2
	s_add_i32 s38, s38, s2
	s_load_dwordx2 s[2:3], s[4:5], 0x8c
	s_load_dwordx4 s[40:43], s[4:5], 0x98
	s_abs_i32 s19, s29
	s_mul_hi_u32 s34, s19, s38
	s_ashr_i32 s38, s29, 31
	s_waitcnt lgkmcnt(0)
	s_ashr_i32 s18, s2, 2
	s_ashr_i32 s2, s33, 31
	s_ashr_i32 s15, s42, 2
	s_mul_hi_u32 s39, s40, s33
	s_mul_i32 s42, s40, s2
	s_add_i32 s39, s39, s42
	s_mul_i32 s41, s41, s33
	s_ashr_i32 s37, s37, 31
	s_ashr_i32 s35, s35, 1
	s_add_i32 s39, s39, s41
	s_mul_i32 s40, s40, s33
	s_add_u32 s10, s10, s40
	s_addc_u32 s11, s11, s39
	s_xor_b32 s37, s38, s37
	s_mul_i32 s38, s34, s36
	s_sub_i32 s19, s19, s38
	s_add_i32 s38, s34, 1
	s_sub_i32 s39, s19, s36
	s_cmp_ge_u32 s19, s36
	s_cselect_b32 s34, s38, s34
	s_cselect_b32 s19, s39, s19
	s_add_i32 s38, s34, 1
	s_cmp_ge_u32 s19, s36
	s_load_dwordx2 s[8:9], s[4:5], 0xa8
	s_cselect_b32 s19, s38, s34
	s_xor_b32 s19, s19, s37
	s_sub_i32 s19, s19, s37
	s_mul_i32 s3, s19, s3
	v_add_u32_e32 v16, s6, v32
	s_ashr_i32 s34, s3, 31
	v_mul_hi_u32 v17, s24, v16
	s_add_u32 s10, s10, s3
	s_waitcnt lgkmcnt(0)
	s_mul_hi_u32 s3, s8, s33
	s_mul_i32 s2, s8, s2
	s_addc_u32 s11, s11, s34
	s_add_i32 s2, s3, s2
	s_mul_i32 s3, s9, s33
	s_add_i32 s2, s2, s3
	s_mul_i32 s3, s8, s33
	v_lshrrev_b32_e32 v3, 3, v0
	s_add_u32 s3, s12, s3
	s_mul_i32 s19, s19, s43
	v_add_u32_e32 v6, v3, v34
	v_add_u32_e32 v17, v16, v17
	s_addc_u32 s2, s13, s2
	s_ashr_i32 s8, s19, 31
	v_mul_lo_u32 v8, s18, v6
	v_lshrrev_b32_e32 v17, s25, v17
	s_add_u32 s12, s3, s19
	v_and_b32_e32 v24, 28, v31
	v_mul_lo_u32 v17, v17, s26
	s_addc_u32 s13, s2, s8
	v_lshlrev_b32_e32 v7, 2, v24
	s_movk_i32 s2, 0x90
	v_mad_u32_u24 v42, v6, s2, v7
	s_lshl_b32 s2, s18, 5
	v_lshlrev_b32_e32 v7, 5, v1
	v_add_u32_e32 v10, s2, v8
	v_and_b32_e32 v18, 0x60, v7
	v_and_b32_e32 v19, 0x1f80, v7
	v_mov_b32_e32 v7, 0x4800
	v_add_u32_e32 v12, s2, v10
	v_add_u32_e32 v6, v18, v0
	v_lshl_add_u32 v48, v19, 2, v7
	v_sub_u32_e32 v7, v16, v17
	v_add_u32_e32 v14, s2, v12
	v_mul_u32_u24_e32 v47, 0x90, v6
	v_mad_u64_u32 v[6:7], s[2:3], v7, s35, v[6:7]
	v_and_b32_e32 v7, 3, v0
	s_movk_i32 s2, 0xfc
	v_and_or_b32 v7, v1, s2, v7
	v_mov_b32_e32 v16, 0x4e00
	v_lshl_add_u32 v51, v7, 2, v16
	v_mul_lo_u32 v16, s15, v1
	v_mov_b32_e32 v7, 0x4c00
	v_lshl_add_u32 v7, v19, 1, v7
	s_lshl_b32 s2, s15, 3
	v_lshl_or_b32 v17, v18, 1, v7
	v_add_u32_e32 v18, s2, v16
	v_add_u32_e32 v20, s2, v18
	;; [unrolled: 1-line block ×3, first 2 shown]
	v_ashrrev_i32_e32 v9, 31, v8
	v_ashrrev_i32_e32 v11, 31, v10
	;; [unrolled: 1-line block ×4, first 2 shown]
	v_lshl_add_u32 v52, v0, 1, v17
	v_ashrrev_i32_e32 v17, 31, v16
	v_ashrrev_i32_e32 v19, 31, v18
	;; [unrolled: 1-line block ×4, first 2 shown]
	v_mbcnt_hi_u32_b32 v36, -1, v5
	v_mov_b32_e32 v3, 0
	v_lshl_add_u32 v53, v1, 9, v4
	v_lshl_or_b32 v57, v35, 1, v7
	v_lshl_add_u32 v58, v35, 9, v2
	s_add_u32 s2, s4, 0xd0
	v_lshlrev_b64 v[7:8], 2, v[8:9]
	v_lshlrev_b64 v[9:10], 2, v[10:11]
	;; [unrolled: 1-line block ×4, first 2 shown]
	v_and_b32_e32 v2, 0x60, v36
	v_lshlrev_b64 v[15:16], 2, v[16:17]
	v_lshlrev_b64 v[17:18], 2, v[18:19]
	;; [unrolled: 1-line block ×4, first 2 shown]
	v_add_u32_e32 v44, 0x1200, v42
	v_add_u32_e32 v45, 0x2400, v42
	;; [unrolled: 1-line block ×7, first 2 shown]
	s_addc_u32 s3, s5, 0
	v_mov_b32_e32 v63, 0xfeffffff
	v_lshlrev_b32_e32 v59, 2, v24
	v_mov_b32_e32 v60, s31
	v_add_u32_e32 v37, 32, v2
	v_xor_b32_e32 v43, 16, v36
	v_xor_b32_e32 v41, 8, v36
	;; [unrolled: 1-line block ×5, first 2 shown]
	s_mov_b32 s19, 0x3fb8aa3b
	s_mov_b32 s24, 0xc2ce8ed0
	;; [unrolled: 1-line block ×3, first 2 shown]
	v_lshlrev_b32_e32 v61, 2, v31
	v_mov_b32_e32 v62, 0x7f800000
	v_mov_b32_e32 v2, v3
	;; [unrolled: 1-line block ×5, first 2 shown]
.LBB39_11:                              ; =>This Inner Loop Header: Depth=1
	s_mul_hi_i32 s9, s14, s18
	s_mul_i32 s8, s14, s18
	s_lshl_b64 s[8:9], s[8:9], 2
	s_add_u32 s8, s10, s8
	s_addc_u32 s9, s11, s9
	v_mov_b32_e32 v23, s9
	v_add_co_u32_e32 v24, vcc, s8, v7
	v_addc_co_u32_e32 v25, vcc, v23, v8, vcc
	v_add_co_u32_e32 v23, vcc, v24, v59
	v_addc_co_u32_e32 v24, vcc, 0, v25, vcc
	v_mov_b32_e32 v25, s9
	v_add_co_u32_e32 v26, vcc, s8, v9
	v_addc_co_u32_e32 v27, vcc, v25, v10, vcc
	v_add_co_u32_e32 v25, vcc, v26, v59
	v_addc_co_u32_e32 v26, vcc, 0, v27, vcc
	;; [unrolled: 5-line block ×3, first 2 shown]
	v_mov_b32_e32 v29, s9
	v_add_co_u32_e32 v30, vcc, s8, v13
	v_addc_co_u32_e32 v72, vcc, v29, v14, vcc
	v_add_co_u32_e32 v29, vcc, v30, v59
	global_load_dwordx4 v[64:67], v[23:24], off
	global_load_dwordx4 v[68:71], v[25:26], off
	v_addc_co_u32_e32 v30, vcc, 0, v72, vcc
	global_load_dwordx4 v[72:75], v[27:28], off
	global_load_dwordx4 v[76:79], v[29:30], off
	s_waitcnt vmcnt(3)
	ds_write_b128 v42, v[64:67]
	s_waitcnt vmcnt(2)
	ds_write_b128 v44, v[68:71]
	;; [unrolled: 2-line block ×4, first 2 shown]
	s_waitcnt lgkmcnt(0)
	s_barrier
	ds_read_b128 v[65:68], v47
	ds_read_b128 v[69:72], v48
	v_mov_b32_e32 v64, 0
	s_waitcnt lgkmcnt(0)
	;;#ASMSTART
	v_dot2_f32_f16 v64, v65, v69, v64
	;;#ASMEND
	;;#ASMSTART
	v_dot2_f32_f16 v64, v66, v70, v64
	;;#ASMEND
	;;#ASMSTART
	v_dot2_f32_f16 v64, v67, v71, v64
	;;#ASMEND
	;;#ASMSTART
	v_dot2_f32_f16 v64, v68, v72, v64
	;;#ASMEND
	ds_read_b128 v[65:68], v47 offset:16
	ds_read_b128 v[69:72], v48 offset:16
	s_waitcnt lgkmcnt(0)
	;;#ASMSTART
	v_dot2_f32_f16 v64, v65, v69, v64
	;;#ASMEND
	;;#ASMSTART
	v_dot2_f32_f16 v64, v66, v70, v64
	;;#ASMEND
	;;#ASMSTART
	v_dot2_f32_f16 v64, v67, v71, v64
	;;#ASMEND
	;;#ASMSTART
	v_dot2_f32_f16 v64, v68, v72, v64
	;;#ASMEND
	ds_read_b128 v[65:68], v47 offset:32
	ds_read_b128 v[69:72], v48 offset:32
	;; [unrolled: 15-line block ×7, first 2 shown]
	s_waitcnt lgkmcnt(0)
	;;#ASMSTART
	v_dot2_f32_f16 v64, v65, v69, v64
	;;#ASMEND
	;;#ASMSTART
	v_dot2_f32_f16 v64, v66, v70, v64
	;;#ASMEND
	;;#ASMSTART
	v_dot2_f32_f16 v64, v67, v71, v64
	;;#ASMEND
	;;#ASMSTART
	v_dot2_f32_f16 v64, v68, v72, v64
	;;#ASMEND
	s_barrier
	global_load_dwordx4 v[65:68], v[23:24], off offset:128
	global_load_dwordx4 v[69:72], v[25:26], off offset:128
	;; [unrolled: 1-line block ×4, first 2 shown]
	s_waitcnt vmcnt(3)
	ds_write_b128 v42, v[65:68]
	s_waitcnt vmcnt(2)
	ds_write_b128 v44, v[69:72]
	;; [unrolled: 2-line block ×4, first 2 shown]
	s_waitcnt lgkmcnt(0)
	s_barrier
	ds_read_b128 v[65:68], v47
	ds_read_b128 v[69:72], v48 offset:128
	s_waitcnt lgkmcnt(0)
	;;#ASMSTART
	v_dot2_f32_f16 v64, v65, v69, v64
	;;#ASMEND
	;;#ASMSTART
	v_dot2_f32_f16 v64, v66, v70, v64
	;;#ASMEND
	;;#ASMSTART
	v_dot2_f32_f16 v64, v67, v71, v64
	;;#ASMEND
	;;#ASMSTART
	v_dot2_f32_f16 v64, v68, v72, v64
	;;#ASMEND
	ds_read_b128 v[65:68], v47 offset:16
	ds_read_b128 v[69:72], v48 offset:144
	s_waitcnt lgkmcnt(0)
	;;#ASMSTART
	v_dot2_f32_f16 v64, v65, v69, v64
	;;#ASMEND
	;;#ASMSTART
	v_dot2_f32_f16 v64, v66, v70, v64
	;;#ASMEND
	;;#ASMSTART
	v_dot2_f32_f16 v64, v67, v71, v64
	;;#ASMEND
	;;#ASMSTART
	v_dot2_f32_f16 v64, v68, v72, v64
	;;#ASMEND
	ds_read_b128 v[65:68], v47 offset:32
	;; [unrolled: 15-line block ×7, first 2 shown]
	ds_read_b128 v[69:72], v48 offset:240
	s_waitcnt lgkmcnt(0)
	;;#ASMSTART
	v_dot2_f32_f16 v64, v65, v69, v64
	;;#ASMEND
	;;#ASMSTART
	v_dot2_f32_f16 v64, v66, v70, v64
	;;#ASMEND
	;; [unrolled: 3-line block ×4, first 2 shown]
	s_barrier
	global_load_dwordx4 v[65:68], v[23:24], off offset:256
	global_load_dwordx4 v[69:72], v[25:26], off offset:256
	;; [unrolled: 1-line block ×4, first 2 shown]
	s_waitcnt vmcnt(3)
	ds_write_b128 v42, v[65:68]
	s_waitcnt vmcnt(2)
	ds_write_b128 v44, v[69:72]
	;; [unrolled: 2-line block ×4, first 2 shown]
	s_waitcnt lgkmcnt(0)
	s_barrier
	ds_read_b128 v[65:68], v47
	ds_read_b128 v[69:72], v48 offset:256
	s_waitcnt lgkmcnt(0)
	;;#ASMSTART
	v_dot2_f32_f16 v64, v65, v69, v64
	;;#ASMEND
	;;#ASMSTART
	v_dot2_f32_f16 v64, v66, v70, v64
	;;#ASMEND
	;;#ASMSTART
	v_dot2_f32_f16 v64, v67, v71, v64
	;;#ASMEND
	;;#ASMSTART
	v_dot2_f32_f16 v64, v68, v72, v64
	;;#ASMEND
	ds_read_b128 v[65:68], v47 offset:16
	ds_read_b128 v[69:72], v48 offset:272
	s_waitcnt lgkmcnt(0)
	;;#ASMSTART
	v_dot2_f32_f16 v64, v65, v69, v64
	;;#ASMEND
	;;#ASMSTART
	v_dot2_f32_f16 v64, v66, v70, v64
	;;#ASMEND
	;;#ASMSTART
	v_dot2_f32_f16 v64, v67, v71, v64
	;;#ASMEND
	;;#ASMSTART
	v_dot2_f32_f16 v64, v68, v72, v64
	;;#ASMEND
	ds_read_b128 v[65:68], v47 offset:32
	;; [unrolled: 15-line block ×7, first 2 shown]
	ds_read_b128 v[69:72], v48 offset:368
	s_waitcnt lgkmcnt(0)
	;;#ASMSTART
	v_dot2_f32_f16 v64, v65, v69, v64
	;;#ASMEND
	;;#ASMSTART
	v_dot2_f32_f16 v64, v66, v70, v64
	;;#ASMEND
	;; [unrolled: 3-line block ×4, first 2 shown]
	s_barrier
	global_load_dwordx4 v[65:68], v[23:24], off offset:384
	s_nop 0
	global_load_dwordx4 v[23:26], v[25:26], off offset:384
	s_nop 0
	;; [unrolled: 2-line block ×3, first 2 shown]
	global_load_dwordx4 v[27:30], v[29:30], off offset:384
	s_waitcnt vmcnt(3)
	ds_write_b128 v42, v[65:68]
	s_waitcnt vmcnt(2)
	ds_write_b128 v44, v[23:26]
	;; [unrolled: 2-line block ×4, first 2 shown]
	s_waitcnt lgkmcnt(0)
	s_barrier
	ds_read_b128 v[23:26], v47
	ds_read_b128 v[27:30], v48 offset:384
	s_waitcnt lgkmcnt(0)
	;;#ASMSTART
	v_dot2_f32_f16 v64, v23, v27, v64
	;;#ASMEND
	;;#ASMSTART
	v_dot2_f32_f16 v64, v24, v28, v64
	;;#ASMEND
	;;#ASMSTART
	v_dot2_f32_f16 v64, v25, v29, v64
	;;#ASMEND
	;;#ASMSTART
	v_dot2_f32_f16 v64, v26, v30, v64
	;;#ASMEND
	ds_read_b128 v[23:26], v47 offset:16
	ds_read_b128 v[27:30], v48 offset:400
	s_waitcnt lgkmcnt(0)
	;;#ASMSTART
	v_dot2_f32_f16 v64, v23, v27, v64
	;;#ASMEND
	;;#ASMSTART
	v_dot2_f32_f16 v64, v24, v28, v64
	;;#ASMEND
	;;#ASMSTART
	v_dot2_f32_f16 v64, v25, v29, v64
	;;#ASMEND
	;;#ASMSTART
	v_dot2_f32_f16 v64, v26, v30, v64
	;;#ASMEND
	ds_read_b128 v[23:26], v47 offset:32
	;; [unrolled: 15-line block ×7, first 2 shown]
	ds_read_b128 v[27:30], v48 offset:496
	v_add_u32_e32 v65, s14, v6
	v_ashrrev_i32_e32 v66, 31, v65
	v_lshlrev_b64 v[65:66], 1, v[65:66]
	s_waitcnt lgkmcnt(0)
	;;#ASMSTART
	v_dot2_f32_f16 v64, v23, v27, v64
	;;#ASMEND
	v_add_co_u32_e32 v65, vcc, s30, v65
	;;#ASMSTART
	v_dot2_f32_f16 v64, v24, v28, v64
	;;#ASMEND
	v_addc_co_u32_e32 v66, vcc, v60, v66, vcc
	;;#ASMSTART
	v_dot2_f32_f16 v64, v25, v29, v64
	;;#ASMEND
	;;#ASMSTART
	v_dot2_f32_f16 v64, v26, v30, v64
	;;#ASMEND
	global_load_ushort v23, v[65:66], off
	v_cmp_lt_i32_e32 vcc, v43, v37
	v_cndmask_b32_e32 v24, v36, v43, vcc
	v_lshlrev_b32_e32 v25, 2, v24
	v_max_f32_e32 v26, v63, v63
	v_cmp_lt_i32_e32 vcc, v41, v37
	s_waitcnt vmcnt(0)
	v_cvt_f32_f16_e32 v23, v23
	v_add_f32_e32 v24, v64, v23
	v_add_f32_e32 v23, 0x40051340, v24
	v_max_f32_e32 v23, v26, v23
	ds_bpermute_b32 v25, v25, v23
	v_cndmask_b32_e32 v26, v36, v41, vcc
	v_lshlrev_b32_e32 v26, 2, v26
	v_cmp_lt_i32_e32 vcc, v40, v37
	s_waitcnt lgkmcnt(0)
	v_max_f32_e32 v25, v25, v25
	v_max_f32_e32 v23, v23, v25
	ds_bpermute_b32 v25, v26, v23
	v_cndmask_b32_e32 v26, v36, v40, vcc
	v_lshlrev_b32_e32 v26, 2, v26
	v_cmp_lt_i32_e32 vcc, v39, v37
	s_waitcnt lgkmcnt(0)
	v_max_f32_e32 v25, v25, v25
	;; [unrolled: 7-line block ×3, first 2 shown]
	v_max_f32_e32 v23, v23, v25
	ds_bpermute_b32 v25, v26, v23
	v_cndmask_b32_e32 v26, v36, v38, vcc
	v_lshlrev_b32_e32 v26, 2, v26
	s_waitcnt lgkmcnt(0)
	v_max_f32_e32 v25, v25, v25
	v_max_f32_e32 v23, v23, v25
	ds_bpermute_b32 v25, v26, v23
	s_and_saveexec_b64 s[8:9], s[0:1]
	s_cbranch_execz .LBB39_13
; %bb.12:                               ;   in Loop: Header=BB39_11 Depth=1
	s_waitcnt lgkmcnt(0)
	v_max_f32_e32 v25, v25, v25
	v_max_f32_e32 v23, v23, v23
	;; [unrolled: 1-line block ×3, first 2 shown]
	ds_write_b32 v49, v23
.LBB39_13:                              ;   in Loop: Header=BB39_11 Depth=1
	s_or_b64 exec, exec, s[8:9]
	s_waitcnt lgkmcnt(0)
	s_barrier
	ds_read_b32 v23, v51
	v_and_b32_e32 v25, 0x7c, v36
	v_add_u32_e32 v25, 4, v25
	v_cmp_lt_i32_e32 vcc, v39, v25
	v_cndmask_b32_e32 v26, v36, v39, vcc
	v_lshlrev_b32_e32 v26, 2, v26
	s_waitcnt lgkmcnt(0)
	ds_bpermute_b32 v26, v26, v23
	v_cmp_lt_i32_e32 vcc, v38, v25
	v_max_f32_e32 v23, v23, v23
	v_cndmask_b32_e32 v25, v36, v38, vcc
	v_lshlrev_b32_e32 v25, 2, v25
	s_waitcnt lgkmcnt(0)
	v_max_f32_e32 v26, v26, v26
	v_max_f32_e32 v23, v23, v26
	ds_bpermute_b32 v25, v25, v23
	s_mul_hi_i32 s9, s14, s15
	s_mul_i32 s8, s14, s15
	s_lshl_b64 s[8:9], s[8:9], 2
	s_add_u32 s8, s12, s8
	s_waitcnt lgkmcnt(0)
	v_max_f32_e32 v25, v25, v25
	v_max_f32_e32 v23, v23, v25
	v_sub_f32_e32 v24, v24, v23
	v_mul_f32_e32 v25, 0x3fb8aa3b, v24
	v_fma_f32 v26, v24, s19, -v25
	v_rndne_f32_e32 v27, v25
	v_fmac_f32_e32 v26, 0x32a5705f, v24
	v_sub_f32_e32 v25, v25, v27
	v_add_f32_e32 v25, v25, v26
	v_exp_f32_e32 v25, v25
	v_cvt_i32_f32_e32 v26, v27
	v_cmp_ngt_f32_e32 vcc, s24, v24
	s_addc_u32 s9, s13, s9
	v_ldexp_f32 v25, v25, v26
	v_cndmask_b32_e32 v25, 0, v25, vcc
	v_cmp_nlt_f32_e32 vcc, s25, v24
	v_cndmask_b32_e32 v24, v62, v25, vcc
	v_sub_f32_e32 v25, v63, v23
	v_mul_f32_e32 v26, 0x3fb8aa3b, v25
	v_fma_f32 v27, v25, s19, -v26
	v_rndne_f32_e32 v28, v26
	v_fmac_f32_e32 v27, 0x32a5705f, v25
	v_sub_f32_e32 v26, v26, v28
	v_add_f32_e32 v26, v26, v27
	v_exp_f32_e32 v26, v26
	v_cvt_i32_f32_e32 v27, v28
	v_cmp_ngt_f32_e32 vcc, s24, v25
	v_ldexp_f32 v26, v26, v27
	v_cndmask_b32_e32 v26, 0, v26, vcc
	v_cmp_nlt_f32_e32 vcc, s25, v25
	v_cndmask_b32_e32 v25, v62, v26, vcc
	v_fma_f32 v50, v50, v25, v24
	v_cvt_f16_f32_e32 v25, v25
	v_mul_u32_u24_e32 v28, 0x10001, v25
	v_pk_mul_f16 v29, v4, v28
	v_cvt_f16_f32_e32 v4, v24
	v_pk_mul_f16 v30, v5, v28
	v_mov_b32_e32 v5, s9
	ds_write_b16 v52, v4
	v_add_co_u32_e32 v4, vcc, s8, v15
	v_addc_co_u32_e32 v5, vcc, v5, v16, vcc
	v_add_co_u32_e32 v4, vcc, v4, v61
	v_addc_co_u32_e32 v5, vcc, 0, v5, vcc
	global_load_dwordx4 v[24:27], v[4:5], off
	v_add_co_u32_e32 v4, vcc, s8, v17
	v_mov_b32_e32 v5, s9
	v_addc_co_u32_e32 v5, vcc, v5, v18, vcc
	v_add_co_u32_e32 v4, vcc, v4, v61
	v_addc_co_u32_e32 v5, vcc, 0, v5, vcc
	s_waitcnt vmcnt(0)
	ds_write_b128 v53, v[24:27]
	global_load_dwordx4 v[24:27], v[4:5], off
	v_add_co_u32_e32 v4, vcc, s8, v19
	v_mov_b32_e32 v5, s9
	v_addc_co_u32_e32 v5, vcc, v5, v20, vcc
	v_add_co_u32_e32 v4, vcc, v4, v61
	v_addc_co_u32_e32 v5, vcc, 0, v5, vcc
	s_waitcnt vmcnt(0)
	ds_write_b128 v54, v[24:27]
	global_load_dwordx4 v[24:27], v[4:5], off
	v_add_co_u32_e32 v4, vcc, s8, v21
	v_mov_b32_e32 v5, s9
	v_addc_co_u32_e32 v5, vcc, v5, v22, vcc
	v_add_co_u32_e32 v4, vcc, v4, v61
	v_addc_co_u32_e32 v5, vcc, 0, v5, vcc
	s_or_b32 s8, s14, 32
	s_mul_hi_i32 s9, s8, s15
	s_mul_i32 s8, s8, s15
	s_lshl_b64 s[8:9], s[8:9], 2
	s_add_u32 s8, s12, s8
	s_addc_u32 s9, s13, s9
	s_waitcnt vmcnt(0)
	ds_write_b128 v55, v[24:27]
	global_load_dwordx4 v[24:27], v[4:5], off
	s_waitcnt vmcnt(0)
	ds_write_b128 v56, v[24:27]
	s_waitcnt lgkmcnt(0)
	s_barrier
	ds_read2_b64 v[24:27], v58 offset1:32
	ds_read_u16 v4, v57
	ds_read_u16 v63, v57 offset:8
	ds_read_u16 v64, v57 offset:16
	;; [unrolled: 1-line block ×7, first 2 shown]
	s_waitcnt lgkmcnt(7)
	v_mul_u32_u24_e32 v4, 0x10001, v4
	v_pk_mul_f16 v5, v24, v4
	v_pk_fma_f16 v70, v2, v28, v5
	v_pk_mul_f16 v2, v25, v4
	v_add_u32_e32 v24, 0x800, v58
	v_pk_fma_f16 v25, v3, v28, v2
	v_pk_fma_f16 v26, v26, v4, v29
	v_pk_fma_f16 v27, v27, v4, v30
	ds_read2_b64 v[2:5], v24 offset1:32
	s_waitcnt lgkmcnt(7)
	v_mul_u32_u24_e32 v28, 0x10001, v63
	s_waitcnt lgkmcnt(0)
	v_pk_fma_f16 v30, v3, v28, v25
	v_add_u32_e32 v25, 0x1000, v58
	v_pk_fma_f16 v29, v2, v28, v70
	v_pk_fma_f16 v26, v4, v28, v26
	v_pk_fma_f16 v27, v5, v28, v27
	ds_read2_b64 v[2:5], v25 offset1:32
	v_mul_u32_u24_e32 v28, 0x10001, v64
	s_waitcnt lgkmcnt(0)
	v_pk_fma_f16 v63, v2, v28, v29
	v_add_u32_e32 v2, 0x1800, v58
	v_pk_fma_f16 v3, v3, v28, v30
	v_pk_fma_f16 v4, v4, v28, v26
	v_pk_fma_f16 v5, v5, v28, v27
	ds_read2_b64 v[26:29], v2 offset1:32
	;; [unrolled: 8-line block ×3, first 2 shown]
	v_mul_u32_u24_e32 v30, 0x10001, v66
	v_mul_u32_u24_e32 v66, 0x10001, v68
	s_waitcnt lgkmcnt(0)
	v_pk_fma_f16 v65, v28, v30, v4
	v_add_u32_e32 v4, 0x2800, v58
	v_pk_fma_f16 v63, v26, v30, v63
	v_pk_fma_f16 v64, v27, v30, v64
	;; [unrolled: 1-line block ×3, first 2 shown]
	ds_read2_b64 v[26:29], v4 offset1:32
	v_mul_u32_u24_e32 v30, 0x10001, v67
	v_mul_u32_u24_e32 v67, 0x10001, v69
	s_waitcnt lgkmcnt(0)
	v_pk_fma_f16 v63, v26, v30, v63
	v_pk_fma_f16 v64, v27, v30, v64
	v_pk_fma_f16 v65, v28, v30, v65
	v_pk_fma_f16 v30, v29, v30, v5
	v_add_u32_e32 v5, 0x3000, v58
	ds_read2_b64 v[26:29], v5 offset1:32
	s_waitcnt lgkmcnt(0)
	v_pk_fma_f16 v63, v26, v66, v63
	v_add_u32_e32 v26, 0x3800, v58
	v_pk_fma_f16 v64, v27, v66, v64
	v_pk_fma_f16 v65, v28, v66, v65
	;; [unrolled: 1-line block ×3, first 2 shown]
	ds_read2_b64 v[27:30], v26 offset1:32
	s_waitcnt lgkmcnt(0)
	s_barrier
	v_pk_fma_f16 v63, v27, v67, v63
	v_pk_fma_f16 v64, v28, v67, v64
	v_add_co_u32_e32 v27, vcc, s8, v15
	v_mov_b32_e32 v28, s9
	v_addc_co_u32_e32 v28, vcc, v28, v16, vcc
	v_add_co_u32_e32 v27, vcc, v27, v61
	v_addc_co_u32_e32 v28, vcc, 0, v28, vcc
	v_pk_fma_f16 v65, v29, v67, v65
	v_pk_fma_f16 v66, v30, v67, v66
	global_load_dwordx4 v[27:30], v[27:28], off
	s_waitcnt vmcnt(0)
	ds_write_b128 v53, v[27:30]
	v_add_co_u32_e32 v27, vcc, s8, v17
	v_mov_b32_e32 v28, s9
	v_addc_co_u32_e32 v28, vcc, v28, v18, vcc
	v_add_co_u32_e32 v27, vcc, v27, v61
	v_addc_co_u32_e32 v28, vcc, 0, v28, vcc
	global_load_dwordx4 v[27:30], v[27:28], off
	s_waitcnt vmcnt(0)
	ds_write_b128 v54, v[27:30]
	v_add_co_u32_e32 v27, vcc, s8, v19
	v_mov_b32_e32 v28, s9
	v_addc_co_u32_e32 v28, vcc, v28, v20, vcc
	v_add_co_u32_e32 v27, vcc, v27, v61
	v_addc_co_u32_e32 v28, vcc, 0, v28, vcc
	;; [unrolled: 8-line block ×3, first 2 shown]
	global_load_dwordx4 v[27:30], v[27:28], off
	s_or_b32 s8, s14, 64
	s_mul_hi_i32 s9, s8, s15
	s_mul_i32 s8, s8, s15
	s_lshl_b64 s[8:9], s[8:9], 2
	s_add_u32 s8, s12, s8
	s_addc_u32 s9, s13, s9
	s_waitcnt vmcnt(0)
	ds_write_b128 v56, v[27:30]
	s_waitcnt lgkmcnt(0)
	s_barrier
	ds_read2_b64 v[27:30], v58 offset1:32
	ds_read_u16 v67, v57 offset:64
	ds_read_u16 v68, v57 offset:72
	;; [unrolled: 1-line block ×8, first 2 shown]
	s_waitcnt lgkmcnt(7)
	v_mul_u32_u24_e32 v67, 0x10001, v67
	v_pk_fma_f16 v63, v27, v67, v63
	v_pk_fma_f16 v64, v28, v67, v64
	;; [unrolled: 1-line block ×4, first 2 shown]
	ds_read2_b64 v[27:30], v24 offset1:32
	s_waitcnt lgkmcnt(7)
	v_mul_u32_u24_e32 v67, 0x10001, v68
	s_waitcnt lgkmcnt(0)
	v_pk_fma_f16 v63, v27, v67, v63
	v_pk_fma_f16 v64, v28, v67, v64
	v_pk_fma_f16 v65, v29, v67, v65
	v_pk_fma_f16 v66, v30, v67, v66
	ds_read2_b64 v[27:30], v25 offset1:32
	v_mul_u32_u24_e32 v67, 0x10001, v69
	s_waitcnt lgkmcnt(0)
	v_pk_fma_f16 v63, v27, v67, v63
	v_pk_fma_f16 v64, v28, v67, v64
	v_pk_fma_f16 v65, v29, v67, v65
	v_pk_fma_f16 v66, v30, v67, v66
	ds_read2_b64 v[27:30], v2 offset1:32
	;; [unrolled: 7-line block ×6, first 2 shown]
	v_mul_u32_u24_e32 v67, 0x10001, v74
	s_waitcnt lgkmcnt(0)
	s_barrier
	v_pk_fma_f16 v63, v27, v67, v63
	v_pk_fma_f16 v64, v28, v67, v64
	v_add_co_u32_e32 v27, vcc, s8, v15
	v_mov_b32_e32 v28, s9
	v_addc_co_u32_e32 v28, vcc, v28, v16, vcc
	v_add_co_u32_e32 v27, vcc, v27, v61
	v_addc_co_u32_e32 v28, vcc, 0, v28, vcc
	v_pk_fma_f16 v65, v29, v67, v65
	v_pk_fma_f16 v66, v30, v67, v66
	global_load_dwordx4 v[27:30], v[27:28], off
	s_waitcnt vmcnt(0)
	ds_write_b128 v53, v[27:30]
	v_add_co_u32_e32 v27, vcc, s8, v17
	v_mov_b32_e32 v28, s9
	v_addc_co_u32_e32 v28, vcc, v28, v18, vcc
	v_add_co_u32_e32 v27, vcc, v27, v61
	v_addc_co_u32_e32 v28, vcc, 0, v28, vcc
	global_load_dwordx4 v[27:30], v[27:28], off
	s_waitcnt vmcnt(0)
	ds_write_b128 v54, v[27:30]
	v_add_co_u32_e32 v27, vcc, s8, v19
	v_mov_b32_e32 v28, s9
	v_addc_co_u32_e32 v28, vcc, v28, v20, vcc
	v_add_co_u32_e32 v27, vcc, v27, v61
	v_addc_co_u32_e32 v28, vcc, 0, v28, vcc
	;; [unrolled: 8-line block ×3, first 2 shown]
	global_load_dwordx4 v[27:30], v[27:28], off
	s_or_b32 s8, s14, 0x60
	s_mul_hi_i32 s9, s8, s15
	s_mul_i32 s8, s8, s15
	s_lshl_b64 s[8:9], s[8:9], 2
	s_add_u32 s8, s12, s8
	s_addc_u32 s9, s13, s9
	s_waitcnt vmcnt(0)
	ds_write_b128 v56, v[27:30]
	s_waitcnt lgkmcnt(0)
	s_barrier
	ds_read2_b64 v[27:30], v58 offset1:32
	ds_read_u16 v67, v57 offset:128
	ds_read_u16 v68, v57 offset:136
	;; [unrolled: 1-line block ×8, first 2 shown]
	s_waitcnt lgkmcnt(7)
	v_mul_u32_u24_e32 v67, 0x10001, v67
	v_pk_fma_f16 v63, v27, v67, v63
	v_pk_fma_f16 v64, v28, v67, v64
	;; [unrolled: 1-line block ×4, first 2 shown]
	ds_read2_b64 v[27:30], v24 offset1:32
	s_waitcnt lgkmcnt(7)
	v_mul_u32_u24_e32 v67, 0x10001, v68
	s_waitcnt lgkmcnt(0)
	v_pk_fma_f16 v63, v27, v67, v63
	v_pk_fma_f16 v64, v28, v67, v64
	v_pk_fma_f16 v65, v29, v67, v65
	v_pk_fma_f16 v66, v30, v67, v66
	ds_read2_b64 v[27:30], v25 offset1:32
	v_mul_u32_u24_e32 v67, 0x10001, v69
	s_waitcnt lgkmcnt(0)
	v_pk_fma_f16 v63, v27, v67, v63
	v_pk_fma_f16 v64, v28, v67, v64
	v_pk_fma_f16 v65, v29, v67, v65
	v_pk_fma_f16 v66, v30, v67, v66
	ds_read2_b64 v[27:30], v2 offset1:32
	;; [unrolled: 7-line block ×6, first 2 shown]
	v_mul_u32_u24_e32 v67, 0x10001, v74
	s_waitcnt lgkmcnt(0)
	s_barrier
	v_pk_fma_f16 v63, v27, v67, v63
	v_pk_fma_f16 v64, v28, v67, v64
	v_add_co_u32_e32 v27, vcc, s8, v15
	v_mov_b32_e32 v28, s9
	v_addc_co_u32_e32 v28, vcc, v28, v16, vcc
	v_add_co_u32_e32 v27, vcc, v27, v61
	v_addc_co_u32_e32 v28, vcc, 0, v28, vcc
	v_pk_fma_f16 v65, v29, v67, v65
	v_pk_fma_f16 v66, v30, v67, v66
	global_load_dwordx4 v[27:30], v[27:28], off
	s_waitcnt vmcnt(0)
	ds_write_b128 v53, v[27:30]
	v_add_co_u32_e32 v27, vcc, s8, v17
	v_mov_b32_e32 v28, s9
	v_addc_co_u32_e32 v28, vcc, v28, v18, vcc
	v_add_co_u32_e32 v27, vcc, v27, v61
	v_addc_co_u32_e32 v28, vcc, 0, v28, vcc
	global_load_dwordx4 v[27:30], v[27:28], off
	s_waitcnt vmcnt(0)
	ds_write_b128 v54, v[27:30]
	v_add_co_u32_e32 v27, vcc, s8, v19
	v_mov_b32_e32 v28, s9
	v_addc_co_u32_e32 v28, vcc, v28, v20, vcc
	v_add_co_u32_e32 v27, vcc, v27, v61
	v_addc_co_u32_e32 v28, vcc, 0, v28, vcc
	;; [unrolled: 8-line block ×3, first 2 shown]
	global_load_dwordx4 v[27:30], v[27:28], off
	s_waitcnt vmcnt(0)
	ds_write_b128 v56, v[27:30]
	s_waitcnt lgkmcnt(0)
	s_barrier
	ds_read2_b64 v[27:30], v58 offset1:32
	ds_read_u16 v67, v57 offset:192
	ds_read_u16 v68, v57 offset:200
	;; [unrolled: 1-line block ×8, first 2 shown]
	s_waitcnt lgkmcnt(7)
	v_mul_u32_u24_e32 v67, 0x10001, v67
	v_pk_fma_f16 v63, v27, v67, v63
	v_pk_fma_f16 v64, v28, v67, v64
	;; [unrolled: 1-line block ×4, first 2 shown]
	ds_read2_b64 v[27:30], v24 offset1:32
	s_waitcnt lgkmcnt(7)
	v_mul_u32_u24_e32 v24, 0x10001, v68
	s_waitcnt lgkmcnt(0)
	v_pk_fma_f16 v63, v27, v24, v63
	v_pk_fma_f16 v64, v28, v24, v64
	v_pk_fma_f16 v65, v29, v24, v65
	v_pk_fma_f16 v24, v30, v24, v66
	ds_read2_b64 v[27:30], v25 offset1:32
	v_mul_u32_u24_e32 v25, 0x10001, v69
	s_waitcnt lgkmcnt(0)
	v_pk_fma_f16 v63, v27, v25, v63
	v_pk_fma_f16 v64, v28, v25, v64
	v_pk_fma_f16 v65, v29, v25, v65
	v_pk_fma_f16 v24, v30, v25, v24
	ds_read2_b64 v[27:30], v2 offset1:32
	;; [unrolled: 7-line block ×6, first 2 shown]
	s_waitcnt lgkmcnt(0)
	s_barrier
	s_load_dword s8, s[2:3], 0x4
	v_mul_u32_u24_e32 v26, 0x10001, v74
	v_pk_fma_f16 v2, v2, v26, v24
	v_pk_fma_f16 v3, v3, v26, v25
	;; [unrolled: 1-line block ×3, first 2 shown]
	s_waitcnt lgkmcnt(0)
	s_lshl_b32 s8, s8, 7
	s_add_i32 s14, s8, s14
	v_pk_fma_f16 v5, v5, v26, v28
	s_cmp_ge_i32 s14, s28
	s_cbranch_scc1 .LBB39_15
; %bb.14:                               ;   in Loop: Header=BB39_11 Depth=1
	v_mov_b32_e32 v63, v23
	s_branch .LBB39_11
.LBB39_15:
	v_mov_b32_e32 v6, v35
.LBB39_16:
	v_cmp_lt_i32_e32 vcc, v43, v37
	v_cndmask_b32_e32 v7, v36, v43, vcc
	v_lshlrev_b32_e32 v7, 2, v7
	ds_bpermute_b32 v7, v7, v50
	v_cmp_lt_i32_e32 vcc, v41, v37
	v_cndmask_b32_e32 v8, v36, v41, vcc
	v_lshlrev_b32_e32 v8, 2, v8
	v_cmp_lt_i32_e32 vcc, v40, v37
	s_waitcnt lgkmcnt(0)
	v_add_f32_e32 v7, v50, v7
	ds_bpermute_b32 v8, v8, v7
	v_cndmask_b32_e32 v9, v36, v40, vcc
	v_lshlrev_b32_e32 v9, 2, v9
	v_cmp_lt_i32_e32 vcc, v39, v37
	v_cmp_ne_u32_e64 s[0:1], 0, v6
	s_waitcnt lgkmcnt(0)
	v_add_f32_e32 v7, v7, v8
	ds_bpermute_b32 v8, v9, v7
	v_cndmask_b32_e32 v9, v36, v39, vcc
	v_lshlrev_b32_e32 v9, 2, v9
	v_cmp_lt_i32_e32 vcc, v38, v37
	s_waitcnt lgkmcnt(0)
	v_add_f32_e32 v7, v7, v8
	ds_bpermute_b32 v8, v9, v7
	v_cndmask_b32_e32 v9, v36, v38, vcc
	v_lshlrev_b32_e32 v9, 2, v9
	v_cmp_eq_u32_e32 vcc, 0, v6
	s_waitcnt lgkmcnt(0)
	v_add_f32_e32 v7, v7, v8
	ds_bpermute_b32 v8, v9, v7
	s_waitcnt lgkmcnt(0)
	v_add_f32_e32 v24, v7, v8
	s_and_saveexec_b64 s[2:3], s[0:1]
	s_xor_b64 s[2:3], exec, s[2:3]
	s_cbranch_execnz .LBB39_20
; %bb.17:
	s_andn2_saveexec_b64 s[0:1], s[2:3]
	s_cbranch_execnz .LBB39_23
.LBB39_18:
	s_or_b64 exec, exec, s[0:1]
	s_and_saveexec_b64 s[0:1], vcc
	s_cbranch_execnz .LBB39_24
.LBB39_19:
	s_endpgm
.LBB39_20:
	v_lshlrev_b32_e32 v6, 4, v0
	v_lshl_add_u32 v1, v1, 9, v6
	v_cmp_eq_u32_e64 s[0:1], 0, v0
	ds_write_b128 v1, v[2:5]
	s_and_saveexec_b64 s[8:9], s[0:1]
; %bb.21:
	ds_write_b32 v34, v24 offset:18432
; %bb.22:
	s_or_b64 exec, exec, s[8:9]
                                        ; implicit-def: $vgpr1
                                        ; implicit-def: $vgpr34
	s_andn2_saveexec_b64 s[0:1], s[2:3]
	s_cbranch_execz .LBB39_18
.LBB39_23:
	v_lshlrev_b32_e32 v1, 9, v1
	v_lshl_add_u32 v1, v0, 4, v1
	s_waitcnt lgkmcnt(0)
	s_barrier
	ds_read_b128 v[6:9], v1 offset:512
	ds_read_b128 v[10:13], v1 offset:1024
	s_waitcnt lgkmcnt(1)
	v_pk_add_f16 v6, v6, v2
	v_add_u32_e32 v2, 0x4804, v34
	ds_read2_b32 v[14:15], v2 offset1:1
	v_pk_add_f16 v7, v7, v3
	v_pk_add_f16 v8, v8, v4
	;; [unrolled: 1-line block ×3, first 2 shown]
	ds_read_b128 v[2:5], v1 offset:1536
	s_waitcnt lgkmcnt(2)
	v_pk_add_f16 v6, v10, v6
	ds_read_b32 v10, v34 offset:18444
	s_waitcnt lgkmcnt(2)
	v_add_f32_e32 v1, v24, v14
	v_pk_add_f16 v7, v11, v7
	v_pk_add_f16 v8, v12, v8
	;; [unrolled: 1-line block ×3, first 2 shown]
	v_add_f32_e32 v1, v1, v15
	s_waitcnt lgkmcnt(1)
	v_pk_add_f16 v2, v2, v6
	v_pk_add_f16 v3, v3, v7
	;; [unrolled: 1-line block ×4, first 2 shown]
	s_waitcnt lgkmcnt(0)
	v_add_f32_e32 v24, v1, v10
	s_or_b64 exec, exec, s[0:1]
	s_and_saveexec_b64 s[0:1], vcc
	s_cbranch_execz .LBB39_19
.LBB39_24:
	s_cmp_eq_u64 s[16:17], 0
	s_cselect_b64 s[0:1], -1, 0
	s_cmp_lg_u32 s7, 0
	s_cselect_b64 s[2:3], -1, 0
	s_or_b64 s[0:1], s[2:3], s[0:1]
	v_add_u32_e32 v6, s29, v33
	s_and_b64 vcc, exec, s[0:1]
	s_cbranch_vccnz .LBB39_26
; %bb.25:
	v_ashrrev_i32_e32 v7, 31, v6
	v_lshlrev_b64 v[7:8], 2, v[6:7]
	v_mov_b32_e32 v1, s17
	v_add_co_u32_e32 v7, vcc, s16, v7
	v_addc_co_u32_e32 v8, vcc, v1, v8, vcc
	global_load_dword v1, v[7:8], off
	v_max_f32_e32 v7, v23, v23
	s_mov_b32 s0, 0x3fb8aa3b
	s_mov_b32 s1, 0xc2ce8ed0
	s_waitcnt vmcnt(0)
	v_max_f32_e32 v8, v1, v1
	v_max_f32_e32 v7, v7, v8
	v_sub_f32_e32 v8, v23, v7
	v_sub_f32_e32 v1, v1, v7
	v_mul_f32_e32 v9, 0x3fb8aa3b, v8
	v_mul_f32_e32 v10, 0x3fb8aa3b, v1
	v_fma_f32 v11, v8, s0, -v9
	v_rndne_f32_e32 v12, v9
	v_fma_f32 v13, v1, s0, -v10
	v_rndne_f32_e32 v14, v10
	v_fmac_f32_e32 v11, 0x32a5705f, v8
	v_sub_f32_e32 v9, v9, v12
	v_fmac_f32_e32 v13, 0x32a5705f, v1
	v_sub_f32_e32 v10, v10, v14
	v_add_f32_e32 v9, v9, v11
	v_cvt_i32_f32_e32 v12, v12
	v_add_f32_e32 v10, v10, v13
	v_exp_f32_e32 v9, v9
	v_cvt_i32_f32_e32 v14, v14
	v_exp_f32_e32 v10, v10
	v_cmp_ngt_f32_e32 vcc, s1, v8
	v_ldexp_f32 v9, v9, v12
	s_mov_b32 s0, 0x42b17218
	v_ldexp_f32 v10, v10, v14
	v_cndmask_b32_e32 v9, 0, v9, vcc
	v_cmp_ngt_f32_e32 vcc, s1, v1
	v_mov_b32_e32 v11, 0x7f800000
	v_cndmask_b32_e32 v10, 0, v10, vcc
	v_cmp_nlt_f32_e32 vcc, s0, v8
	v_cndmask_b32_e32 v8, v11, v9, vcc
	v_cvt_f16_f32_e32 v9, v8
	v_cmp_nlt_f32_e32 vcc, s0, v1
	v_cndmask_b32_e32 v1, v11, v10, vcc
	v_fmac_f32_e32 v1, v24, v8
	v_mov_b32_e32 v24, v1
	v_mul_u32_u24_e32 v1, 0x10001, v9
	v_pk_mul_f16 v2, v2, v1
	v_pk_mul_f16 v3, v3, v1
	;; [unrolled: 1-line block ×4, first 2 shown]
	v_mov_b32_e32 v23, v7
.LBB39_26:
	v_div_scale_f32 v1, s[0:1], v24, v24, 1.0
	v_div_scale_f32 v7, vcc, 1.0, v24, 1.0
	s_load_dword s4, s[4:5], 0xd4
	s_mul_i32 s0, s33, s26
	v_cvt_f32_f16_sdwa v11, v5 dst_sel:DWORD dst_unused:UNUSED_PAD src0_sel:WORD_1
	v_cvt_f32_f16_sdwa v12, v4 dst_sel:DWORD dst_unused:UNUSED_PAD src0_sel:WORD_1
	v_mov_b32_e32 v13, s21
	s_waitcnt lgkmcnt(0)
	s_cmp_lg_u32 s4, 1
	s_cselect_b64 s[2:3], -1, 0
	s_add_i32 s0, s0, s6
	v_cvt_f32_f16_e32 v5, v5
	v_cvt_f32_f16_e32 v14, v4
	v_mov_b32_e32 v15, s21
	v_rcp_f32_e32 v8, v1
	v_fma_f32 v9, -v1, v8, 1.0
	v_fmac_f32_e32 v8, v9, v8
	v_mul_f32_e32 v9, v7, v8
	v_fma_f32 v10, -v1, v9, v7
	v_fmac_f32_e32 v9, v10, v8
	v_fma_f32 v1, -v1, v9, v7
	v_div_fmas_f32 v1, v1, v8, v9
	v_cvt_f32_f16_sdwa v7, v3 dst_sel:DWORD dst_unused:UNUSED_PAD src0_sel:WORD_1
	v_cmp_eq_u32_e32 vcc, 0, v0
	v_cvt_f32_f16_e32 v9, v2
	v_cvt_f32_f16_sdwa v8, v2 dst_sel:DWORD dst_unused:UNUSED_PAD src0_sel:WORD_1
	v_cvt_f32_f16_e32 v3, v3
	v_mov_b32_e32 v10, 0
	v_div_fixup_f32 v0, v1, v24, 1.0
	v_cndmask_b32_e64 v16, v0, 1.0, s[2:3]
	v_add_u32_e32 v0, s0, v32
	v_mad_u64_u32 v[0:1], s[0:1], v0, s27, v[6:7]
	v_mul_f32_e32 v1, v16, v9
	v_mul_f32_e32 v2, v16, v8
	v_mul_lo_u32 v0, s4, v0
	v_mul_f32_e32 v8, v16, v11
	v_mul_f32_e32 v6, v16, v12
	;; [unrolled: 1-line block ×3, first 2 shown]
	v_add_u32_e32 v0, s7, v0
	v_lshl_add_u32 v9, v0, 8, v31
	v_lshlrev_b64 v[11:12], 2, v[9:10]
	v_add_u32_e32 v9, 0x80, v9
	v_lshlrev_b64 v[9:10], 2, v[9:10]
	v_add_co_u32_e64 v11, s[0:1], s20, v11
	v_mul_f32_e32 v3, v16, v3
	v_addc_co_u32_e64 v12, s[0:1], v13, v12, s[0:1]
	global_store_dwordx4 v[11:12], v[1:4], off
	v_mul_f32_e32 v7, v16, v5
	v_add_co_u32_e64 v1, s[0:1], s20, v9
	v_addc_co_u32_e64 v2, s[0:1], v15, v10, s[0:1]
	v_mul_f32_e32 v5, v16, v14
	s_and_b64 s[0:1], vcc, s[2:3]
	global_store_dwordx4 v[1:2], v[5:8], off
	s_and_b64 exec, exec, s[0:1]
	s_cbranch_execz .LBB39_19
; %bb.27:
	v_ashrrev_i32_e32 v1, 31, v0
	v_lshlrev_b64 v[0:1], 3, v[0:1]
	v_mov_b32_e32 v2, s23
	v_add_co_u32_e32 v0, vcc, s22, v0
	v_addc_co_u32_e32 v1, vcc, v2, v1, vcc
	global_store_dwordx2 v[0:1], v[23:24], off
	s_endpgm
	.section	.rodata,"a",@progbits
	.p2align	6, 0x0
	.amdhsa_kernel _ZL15flash_attn_tileILi256ELi256ELi1ELi2ELb0EEvPKcS1_S1_S1_S1_PKiPfP15HIP_vector_typeIfLj2EEffffjfiS5_IjLj3EEiiiiiiiiiiiliiliiiiil
		.amdhsa_group_segment_fixed_size 20000
		.amdhsa_private_segment_fixed_size 0
		.amdhsa_kernarg_size 464
		.amdhsa_user_sgpr_count 6
		.amdhsa_user_sgpr_private_segment_buffer 1
		.amdhsa_user_sgpr_dispatch_ptr 0
		.amdhsa_user_sgpr_queue_ptr 0
		.amdhsa_user_sgpr_kernarg_segment_ptr 1
		.amdhsa_user_sgpr_dispatch_id 0
		.amdhsa_user_sgpr_flat_scratch_init 0
		.amdhsa_user_sgpr_private_segment_size 0
		.amdhsa_uses_dynamic_stack 0
		.amdhsa_system_sgpr_private_segment_wavefront_offset 0
		.amdhsa_system_sgpr_workgroup_id_x 1
		.amdhsa_system_sgpr_workgroup_id_y 1
		.amdhsa_system_sgpr_workgroup_id_z 1
		.amdhsa_system_sgpr_workgroup_info 0
		.amdhsa_system_vgpr_workitem_id 1
		.amdhsa_next_free_vgpr 81
		.amdhsa_next_free_sgpr 98
		.amdhsa_reserve_vcc 1
		.amdhsa_reserve_flat_scratch 0
		.amdhsa_float_round_mode_32 0
		.amdhsa_float_round_mode_16_64 0
		.amdhsa_float_denorm_mode_32 3
		.amdhsa_float_denorm_mode_16_64 3
		.amdhsa_dx10_clamp 1
		.amdhsa_ieee_mode 1
		.amdhsa_fp16_overflow 0
		.amdhsa_exception_fp_ieee_invalid_op 0
		.amdhsa_exception_fp_denorm_src 0
		.amdhsa_exception_fp_ieee_div_zero 0
		.amdhsa_exception_fp_ieee_overflow 0
		.amdhsa_exception_fp_ieee_underflow 0
		.amdhsa_exception_fp_ieee_inexact 0
		.amdhsa_exception_int_div_zero 0
	.end_amdhsa_kernel
	.section	.text._ZL15flash_attn_tileILi256ELi256ELi1ELi2ELb0EEvPKcS1_S1_S1_S1_PKiPfP15HIP_vector_typeIfLj2EEffffjfiS5_IjLj3EEiiiiiiiiiiiliiliiiiil,"axG",@progbits,_ZL15flash_attn_tileILi256ELi256ELi1ELi2ELb0EEvPKcS1_S1_S1_S1_PKiPfP15HIP_vector_typeIfLj2EEffffjfiS5_IjLj3EEiiiiiiiiiiiliiliiiiil,comdat
.Lfunc_end39:
	.size	_ZL15flash_attn_tileILi256ELi256ELi1ELi2ELb0EEvPKcS1_S1_S1_S1_PKiPfP15HIP_vector_typeIfLj2EEffffjfiS5_IjLj3EEiiiiiiiiiiiliiliiiiil, .Lfunc_end39-_ZL15flash_attn_tileILi256ELi256ELi1ELi2ELb0EEvPKcS1_S1_S1_S1_PKiPfP15HIP_vector_typeIfLj2EEffffjfiS5_IjLj3EEiiiiiiiiiiiliiliiiiil
                                        ; -- End function
	.set _ZL15flash_attn_tileILi256ELi256ELi1ELi2ELb0EEvPKcS1_S1_S1_S1_PKiPfP15HIP_vector_typeIfLj2EEffffjfiS5_IjLj3EEiiiiiiiiiiiliiliiiiil.num_vgpr, 81
	.set _ZL15flash_attn_tileILi256ELi256ELi1ELi2ELb0EEvPKcS1_S1_S1_S1_PKiPfP15HIP_vector_typeIfLj2EEffffjfiS5_IjLj3EEiiiiiiiiiiiliiliiiiil.num_agpr, 0
	.set _ZL15flash_attn_tileILi256ELi256ELi1ELi2ELb0EEvPKcS1_S1_S1_S1_PKiPfP15HIP_vector_typeIfLj2EEffffjfiS5_IjLj3EEiiiiiiiiiiiliiliiiiil.numbered_sgpr, 44
	.set _ZL15flash_attn_tileILi256ELi256ELi1ELi2ELb0EEvPKcS1_S1_S1_S1_PKiPfP15HIP_vector_typeIfLj2EEffffjfiS5_IjLj3EEiiiiiiiiiiiliiliiiiil.num_named_barrier, 0
	.set _ZL15flash_attn_tileILi256ELi256ELi1ELi2ELb0EEvPKcS1_S1_S1_S1_PKiPfP15HIP_vector_typeIfLj2EEffffjfiS5_IjLj3EEiiiiiiiiiiiliiliiiiil.private_seg_size, 0
	.set _ZL15flash_attn_tileILi256ELi256ELi1ELi2ELb0EEvPKcS1_S1_S1_S1_PKiPfP15HIP_vector_typeIfLj2EEffffjfiS5_IjLj3EEiiiiiiiiiiiliiliiiiil.uses_vcc, 1
	.set _ZL15flash_attn_tileILi256ELi256ELi1ELi2ELb0EEvPKcS1_S1_S1_S1_PKiPfP15HIP_vector_typeIfLj2EEffffjfiS5_IjLj3EEiiiiiiiiiiiliiliiiiil.uses_flat_scratch, 0
	.set _ZL15flash_attn_tileILi256ELi256ELi1ELi2ELb0EEvPKcS1_S1_S1_S1_PKiPfP15HIP_vector_typeIfLj2EEffffjfiS5_IjLj3EEiiiiiiiiiiiliiliiiiil.has_dyn_sized_stack, 0
	.set _ZL15flash_attn_tileILi256ELi256ELi1ELi2ELb0EEvPKcS1_S1_S1_S1_PKiPfP15HIP_vector_typeIfLj2EEffffjfiS5_IjLj3EEiiiiiiiiiiiliiliiiiil.has_recursion, 0
	.set _ZL15flash_attn_tileILi256ELi256ELi1ELi2ELb0EEvPKcS1_S1_S1_S1_PKiPfP15HIP_vector_typeIfLj2EEffffjfiS5_IjLj3EEiiiiiiiiiiiliiliiiiil.has_indirect_call, 0
	.section	.AMDGPU.csdata,"",@progbits
; Kernel info:
; codeLenInByte = 8400
; TotalNumSgprs: 48
; NumVgprs: 81
; ScratchSize: 0
; MemoryBound: 0
; FloatMode: 240
; IeeeMode: 1
; LDSByteSize: 20000 bytes/workgroup (compile time only)
; SGPRBlocks: 12
; VGPRBlocks: 20
; NumSGPRsForWavesPerEU: 102
; NumVGPRsForWavesPerEU: 81
; Occupancy: 3
; WaveLimiterHint : 1
; COMPUTE_PGM_RSRC2:SCRATCH_EN: 0
; COMPUTE_PGM_RSRC2:USER_SGPR: 6
; COMPUTE_PGM_RSRC2:TRAP_HANDLER: 0
; COMPUTE_PGM_RSRC2:TGID_X_EN: 1
; COMPUTE_PGM_RSRC2:TGID_Y_EN: 1
; COMPUTE_PGM_RSRC2:TGID_Z_EN: 1
; COMPUTE_PGM_RSRC2:TIDIG_COMP_CNT: 1
	.section	.text._ZL33flash_attn_stream_k_fixup_uniformILi256ELi1ELi2EEvPfPK15HIP_vector_typeIfLj2EEiiiiiiS1_IjLj3EES5_S5_,"axG",@progbits,_ZL33flash_attn_stream_k_fixup_uniformILi256ELi1ELi2EEvPfPK15HIP_vector_typeIfLj2EEiiiiiiS1_IjLj3EES5_S5_,comdat
	.globl	_ZL33flash_attn_stream_k_fixup_uniformILi256ELi1ELi2EEvPfPK15HIP_vector_typeIfLj2EEiiiiiiS1_IjLj3EES5_S5_ ; -- Begin function _ZL33flash_attn_stream_k_fixup_uniformILi256ELi1ELi2EEvPfPK15HIP_vector_typeIfLj2EEiiiiiiS1_IjLj3EES5_S5_
	.p2align	8
	.type	_ZL33flash_attn_stream_k_fixup_uniformILi256ELi1ELi2EEvPfPK15HIP_vector_typeIfLj2EEiiiiiiS1_IjLj3EES5_S5_,@function
_ZL33flash_attn_stream_k_fixup_uniformILi256ELi1ELi2EEvPfPK15HIP_vector_typeIfLj2EEiiiiiiS1_IjLj3EES5_S5_: ; @_ZL33flash_attn_stream_k_fixup_uniformILi256ELi1ELi2EEvPfPK15HIP_vector_typeIfLj2EEiiiiiiS1_IjLj3EES5_S5_
; %bb.0:
	s_load_dwordx8 s[12:19], s[4:5], 0x1c
	s_load_dwordx2 s[10:11], s[4:5], 0x10
	s_load_dwordx4 s[0:3], s[4:5], 0x3c
	s_waitcnt lgkmcnt(0)
	s_mul_hi_u32 s9, s15, s6
	s_add_i32 s9, s6, s9
	s_lshr_b32 s9, s9, s16
	s_mul_i32 s15, s9, s17
	s_sub_i32 s16, s6, s15
	s_mul_hi_u32 s15, s16, s18
	s_add_i32 s15, s16, s15
	s_lshr_b32 s15, s15, s19
	s_mul_i32 s0, s15, s0
	s_sub_i32 s0, s16, s0
	;; [unrolled: 5-line block ×3, first 2 shown]
	s_lshl_b32 s17, s1, 1
	s_add_i32 s16, s16, s7
	s_cmp_lt_i32 s16, s10
	s_cselect_b64 s[0:1], -1, 0
	s_add_i32 s17, s17, s8
	s_cmp_lt_i32 s17, s13
	s_cselect_b64 s[2:3], -1, 0
	s_and_b64 s[0:1], s[0:1], s[2:3]
	s_andn2_b64 vcc, exec, s[0:1]
	s_cbranch_vccnz .LBB40_6
; %bb.1:
	s_mul_i32 s9, s9, s10
	s_load_dwordx4 s[0:3], s[4:5], 0x0
	s_mul_i32 s15, s15, s13
	s_add_i32 s4, s16, s9
	s_mul_i32 s4, s4, s11
	s_add_i32 s5, s17, s15
	s_add_i32 s5, s5, s4
	v_lshl_or_b32 v1, s5, 8, v0
	v_ashrrev_i32_e32 v2, 31, v1
	v_lshlrev_b64 v[1:2], 2, v[1:2]
	s_waitcnt lgkmcnt(0)
	v_mov_b32_e32 v3, s1
	v_add_co_u32_e32 v1, vcc, s0, v1
	v_addc_co_u32_e32 v2, vcc, v3, v2, vcc
	global_load_dword v8, v[1:2], off
	s_mul_i32 s9, s14, s6
	s_add_i32 s4, s9, s14
	s_add_i32 s0, s7, s4
	s_lshl_b32 s0, s0, 1
	s_add_i32 s0, s0, s8
	s_add_i32 s0, s0, -2
	s_ashr_i32 s1, s0, 31
	s_lshl_b64 s[0:1], s[0:1], 3
	s_add_u32 s0, s2, s0
	s_addc_u32 s1, s3, s1
	s_load_dword s5, s[0:1], 0x4
	s_add_i32 s10, s4, -2
	s_cmp_lt_i32 s10, s9
	s_cbranch_scc1 .LBB40_4
; %bb.2:
	s_lshl_b32 s10, s12, 3
	s_ashr_i32 s11, s10, 31
	s_lshl_b64 s[10:11], s[10:11], 2
	s_add_u32 s10, s2, s10
	s_addc_u32 s13, s3, s11
	s_load_dword s0, s[0:1], 0x0
	s_add_i32 s6, s6, 1
	s_lshl_b32 s1, s8, 8
	s_add_i32 s12, s7, s12
	s_mul_i32 s6, s14, s6
	s_lshl_b32 s7, s7, 9
	s_add_i32 s12, s12, s4
	s_lshl_b32 s6, s6, 9
	s_add_i32 s1, s1, s7
	s_add_i32 s11, s4, -1
	s_lshl_b32 s4, s12, 1
	s_add_i32 s1, s1, s6
	s_add_i32 s4, s8, s4
	v_or_b32_e32 v0, s1, v0
	s_add_i32 s4, s4, -4
	v_add_u32_e32 v3, 0xfffffc00, v0
	s_waitcnt lgkmcnt(0)
	v_mov_b32_e32 v7, s5
	v_mov_b32_e32 v6, s0
	;; [unrolled: 1-line block ×3, first 2 shown]
	s_mov_b32 s6, 0x3fb8aa3b
	s_mov_b32 s7, 0xc2ce8ed0
	;; [unrolled: 1-line block ×3, first 2 shown]
	v_mov_b32_e32 v5, 0x7f800000
	s_mov_b32 s12, 0xc1a00000
.LBB40_3:                               ; =>This Inner Loop Header: Depth=1
	v_ashrrev_i32_e32 v4, 31, v3
	v_lshlrev_b64 v[9:10], 2, v[3:4]
	s_ashr_i32 s5, s4, 31
	v_add_co_u32_e32 v9, vcc, s10, v9
	v_addc_co_u32_e32 v10, vcc, v0, v10, vcc
	global_load_dword v4, v[9:10], off
	s_lshl_b64 s[0:1], s[4:5], 3
	s_add_u32 s0, s2, s0
	s_addc_u32 s1, s3, s1
	s_load_dwordx2 s[14:15], s[0:1], 0x0
	s_waitcnt vmcnt(1)
	v_mov_b32_e32 v9, v8
	v_max_f32_e32 v8, v6, v6
	v_mov_b32_e32 v10, v7
	s_add_i32 s11, s11, -1
	s_waitcnt lgkmcnt(0)
	v_max_f32_e64 v7, s14, s14
	v_max_f32_e32 v7, v8, v7
	v_sub_f32_e32 v11, s14, v7
	v_sub_f32_e32 v8, v6, v7
	v_mul_f32_e32 v12, 0x3fb8aa3b, v11
	v_mov_b32_e32 v6, v7
	v_mul_f32_e32 v7, 0x3fb8aa3b, v8
	v_fma_f32 v15, v11, s6, -v12
	v_rndne_f32_e32 v16, v12
	v_fma_f32 v13, v8, s6, -v7
	v_rndne_f32_e32 v14, v7
	v_fmac_f32_e32 v15, 0x32a5705f, v11
	v_sub_f32_e32 v12, v12, v16
	v_fmac_f32_e32 v13, 0x32a5705f, v8
	v_sub_f32_e32 v7, v7, v14
	v_add_f32_e32 v12, v12, v15
	v_cvt_i32_f32_e32 v16, v16
	v_add_f32_e32 v7, v7, v13
	v_exp_f32_e32 v12, v12
	v_cvt_i32_f32_e32 v14, v14
	v_exp_f32_e32 v7, v7
	v_cmp_ngt_f32_e32 vcc, s7, v11
	v_ldexp_f32 v12, v12, v16
	v_cmp_ngt_f32_e64 s[0:1], s7, v8
	v_ldexp_f32 v7, v7, v14
	v_cndmask_b32_e32 v12, 0, v12, vcc
	v_cmp_nlt_f32_e32 vcc, s8, v11
	v_cndmask_b32_e64 v7, 0, v7, s[0:1]
	v_cmp_nlt_f32_e64 s[0:1], s8, v8
	v_cndmask_b32_e32 v12, v5, v12, vcc
	v_cmp_le_f32_e32 vcc, s12, v11
	v_cndmask_b32_e64 v7, v5, v7, s[0:1]
	v_cmp_le_f32_e64 s[0:1], s12, v8
	v_cndmask_b32_e32 v8, 0, v12, vcc
	s_add_i32 s4, s4, -2
	v_cndmask_b32_e64 v11, 0, v7, s[0:1]
	v_mul_f32_e32 v7, s15, v8
	v_add_u32_e32 v3, 0xfffffe00, v3
	s_cmp_le_i32 s11, s9
	v_fmac_f32_e32 v7, v10, v11
	s_waitcnt vmcnt(0)
	v_mul_f32_e32 v8, v4, v8
	v_fmac_f32_e32 v8, v9, v11
	s_cbranch_scc0 .LBB40_3
	s_branch .LBB40_5
.LBB40_4:
	s_waitcnt lgkmcnt(0)
	v_mov_b32_e32 v7, s5
.LBB40_5:
	s_waitcnt vmcnt(0)
	v_div_scale_f32 v0, s[0:1], v7, v7, v8
	v_div_scale_f32 v3, vcc, v8, v7, v8
	v_rcp_f32_e32 v4, v0
	v_fma_f32 v5, -v0, v4, 1.0
	v_fmac_f32_e32 v4, v5, v4
	v_mul_f32_e32 v5, v3, v4
	v_fma_f32 v6, -v0, v5, v3
	v_fmac_f32_e32 v5, v6, v4
	v_fma_f32 v0, -v0, v5, v3
	v_div_fmas_f32 v0, v0, v4, v5
	v_div_fixup_f32 v0, v0, v7, v8
	global_store_dword v[1:2], v0, off
.LBB40_6:
	s_endpgm
	.section	.rodata,"a",@progbits
	.p2align	6, 0x0
	.amdhsa_kernel _ZL33flash_attn_stream_k_fixup_uniformILi256ELi1ELi2EEvPfPK15HIP_vector_typeIfLj2EEiiiiiiS1_IjLj3EES5_S5_
		.amdhsa_group_segment_fixed_size 0
		.amdhsa_private_segment_fixed_size 0
		.amdhsa_kernarg_size 76
		.amdhsa_user_sgpr_count 6
		.amdhsa_user_sgpr_private_segment_buffer 1
		.amdhsa_user_sgpr_dispatch_ptr 0
		.amdhsa_user_sgpr_queue_ptr 0
		.amdhsa_user_sgpr_kernarg_segment_ptr 1
		.amdhsa_user_sgpr_dispatch_id 0
		.amdhsa_user_sgpr_flat_scratch_init 0
		.amdhsa_user_sgpr_private_segment_size 0
		.amdhsa_uses_dynamic_stack 0
		.amdhsa_system_sgpr_private_segment_wavefront_offset 0
		.amdhsa_system_sgpr_workgroup_id_x 1
		.amdhsa_system_sgpr_workgroup_id_y 1
		.amdhsa_system_sgpr_workgroup_id_z 1
		.amdhsa_system_sgpr_workgroup_info 0
		.amdhsa_system_vgpr_workitem_id 0
		.amdhsa_next_free_vgpr 17
		.amdhsa_next_free_sgpr 20
		.amdhsa_reserve_vcc 1
		.amdhsa_reserve_flat_scratch 0
		.amdhsa_float_round_mode_32 0
		.amdhsa_float_round_mode_16_64 0
		.amdhsa_float_denorm_mode_32 3
		.amdhsa_float_denorm_mode_16_64 3
		.amdhsa_dx10_clamp 1
		.amdhsa_ieee_mode 1
		.amdhsa_fp16_overflow 0
		.amdhsa_exception_fp_ieee_invalid_op 0
		.amdhsa_exception_fp_denorm_src 0
		.amdhsa_exception_fp_ieee_div_zero 0
		.amdhsa_exception_fp_ieee_overflow 0
		.amdhsa_exception_fp_ieee_underflow 0
		.amdhsa_exception_fp_ieee_inexact 0
		.amdhsa_exception_int_div_zero 0
	.end_amdhsa_kernel
	.section	.text._ZL33flash_attn_stream_k_fixup_uniformILi256ELi1ELi2EEvPfPK15HIP_vector_typeIfLj2EEiiiiiiS1_IjLj3EES5_S5_,"axG",@progbits,_ZL33flash_attn_stream_k_fixup_uniformILi256ELi1ELi2EEvPfPK15HIP_vector_typeIfLj2EEiiiiiiS1_IjLj3EES5_S5_,comdat
.Lfunc_end40:
	.size	_ZL33flash_attn_stream_k_fixup_uniformILi256ELi1ELi2EEvPfPK15HIP_vector_typeIfLj2EEiiiiiiS1_IjLj3EES5_S5_, .Lfunc_end40-_ZL33flash_attn_stream_k_fixup_uniformILi256ELi1ELi2EEvPfPK15HIP_vector_typeIfLj2EEiiiiiiS1_IjLj3EES5_S5_
                                        ; -- End function
	.set _ZL33flash_attn_stream_k_fixup_uniformILi256ELi1ELi2EEvPfPK15HIP_vector_typeIfLj2EEiiiiiiS1_IjLj3EES5_S5_.num_vgpr, 17
	.set _ZL33flash_attn_stream_k_fixup_uniformILi256ELi1ELi2EEvPfPK15HIP_vector_typeIfLj2EEiiiiiiS1_IjLj3EES5_S5_.num_agpr, 0
	.set _ZL33flash_attn_stream_k_fixup_uniformILi256ELi1ELi2EEvPfPK15HIP_vector_typeIfLj2EEiiiiiiS1_IjLj3EES5_S5_.numbered_sgpr, 20
	.set _ZL33flash_attn_stream_k_fixup_uniformILi256ELi1ELi2EEvPfPK15HIP_vector_typeIfLj2EEiiiiiiS1_IjLj3EES5_S5_.num_named_barrier, 0
	.set _ZL33flash_attn_stream_k_fixup_uniformILi256ELi1ELi2EEvPfPK15HIP_vector_typeIfLj2EEiiiiiiS1_IjLj3EES5_S5_.private_seg_size, 0
	.set _ZL33flash_attn_stream_k_fixup_uniformILi256ELi1ELi2EEvPfPK15HIP_vector_typeIfLj2EEiiiiiiS1_IjLj3EES5_S5_.uses_vcc, 1
	.set _ZL33flash_attn_stream_k_fixup_uniformILi256ELi1ELi2EEvPfPK15HIP_vector_typeIfLj2EEiiiiiiS1_IjLj3EES5_S5_.uses_flat_scratch, 0
	.set _ZL33flash_attn_stream_k_fixup_uniformILi256ELi1ELi2EEvPfPK15HIP_vector_typeIfLj2EEiiiiiiS1_IjLj3EES5_S5_.has_dyn_sized_stack, 0
	.set _ZL33flash_attn_stream_k_fixup_uniformILi256ELi1ELi2EEvPfPK15HIP_vector_typeIfLj2EEiiiiiiS1_IjLj3EES5_S5_.has_recursion, 0
	.set _ZL33flash_attn_stream_k_fixup_uniformILi256ELi1ELi2EEvPfPK15HIP_vector_typeIfLj2EEiiiiiiS1_IjLj3EES5_S5_.has_indirect_call, 0
	.section	.AMDGPU.csdata,"",@progbits
; Kernel info:
; codeLenInByte = 828
; TotalNumSgprs: 24
; NumVgprs: 17
; ScratchSize: 0
; MemoryBound: 0
; FloatMode: 240
; IeeeMode: 1
; LDSByteSize: 0 bytes/workgroup (compile time only)
; SGPRBlocks: 2
; VGPRBlocks: 4
; NumSGPRsForWavesPerEU: 24
; NumVGPRsForWavesPerEU: 17
; Occupancy: 10
; WaveLimiterHint : 0
; COMPUTE_PGM_RSRC2:SCRATCH_EN: 0
; COMPUTE_PGM_RSRC2:USER_SGPR: 6
; COMPUTE_PGM_RSRC2:TRAP_HANDLER: 0
; COMPUTE_PGM_RSRC2:TGID_X_EN: 1
; COMPUTE_PGM_RSRC2:TGID_Y_EN: 1
; COMPUTE_PGM_RSRC2:TGID_Z_EN: 1
; COMPUTE_PGM_RSRC2:TIDIG_COMP_CNT: 0
	.section	.text._ZL33flash_attn_stream_k_fixup_generalILi256ELi1ELi2EEvPfPK15HIP_vector_typeIfLj2EEiiiiS1_IjLj3EES5_S5_S5_,"axG",@progbits,_ZL33flash_attn_stream_k_fixup_generalILi256ELi1ELi2EEvPfPK15HIP_vector_typeIfLj2EEiiiiS1_IjLj3EES5_S5_S5_,comdat
	.globl	_ZL33flash_attn_stream_k_fixup_generalILi256ELi1ELi2EEvPfPK15HIP_vector_typeIfLj2EEiiiiS1_IjLj3EES5_S5_S5_ ; -- Begin function _ZL33flash_attn_stream_k_fixup_generalILi256ELi1ELi2EEvPfPK15HIP_vector_typeIfLj2EEiiiiS1_IjLj3EES5_S5_S5_
	.p2align	8
	.type	_ZL33flash_attn_stream_k_fixup_generalILi256ELi1ELi2EEvPfPK15HIP_vector_typeIfLj2EEiiiiS1_IjLj3EES5_S5_S5_,@function
_ZL33flash_attn_stream_k_fixup_generalILi256ELi1ELi2EEvPfPK15HIP_vector_typeIfLj2EEiiiiS1_IjLj3EES5_S5_S5_: ; @_ZL33flash_attn_stream_k_fixup_generalILi256ELi1ELi2EEvPfPK15HIP_vector_typeIfLj2EEiiiiS1_IjLj3EES5_S5_S5_
; %bb.0:
	s_load_dwordx4 s[0:3], s[4:5], 0x10
	s_load_dword s9, s[4:5], 0x50
	s_mov_b32 s12, 0
	s_waitcnt lgkmcnt(0)
	s_mul_hi_i32 s13, s3, s6
	s_cmp_lg_u64 s[12:13], 0
	s_mul_i32 s18, s3, s6
	s_cbranch_scc0 .LBB41_20
; %bb.1:
	s_add_u32 s10, s9, 0
	s_addc_u32 s11, 0, 0
	s_xor_b64 s[10:11], s[10:11], 0
	v_cvt_f32_u32_e32 v1, s10
	v_cvt_f32_u32_e32 v2, s11
	s_sub_u32 s12, 0, s10
	s_subb_u32 s19, 0, s11
	v_madmk_f32 v1, v2, 0x4f800000, v1
	v_rcp_f32_e32 v1, v1
	v_mul_f32_e32 v1, 0x5f7ffffc, v1
	v_mul_f32_e32 v2, 0x2f800000, v1
	v_trunc_f32_e32 v2, v2
	v_madmk_f32 v1, v2, 0xcf800000, v1
	v_cvt_u32_f32_e32 v2, v2
	v_cvt_u32_f32_e32 v1, v1
	v_readfirstlane_b32 s20, v2
	v_readfirstlane_b32 s14, v1
	s_mul_i32 s15, s12, s20
	s_mul_hi_u32 s22, s12, s14
	s_mul_i32 s21, s19, s14
	s_add_i32 s15, s22, s15
	s_add_i32 s15, s15, s21
	s_mul_i32 s23, s12, s14
	s_mul_i32 s22, s14, s15
	s_mul_hi_u32 s24, s14, s23
	s_mul_hi_u32 s21, s14, s15
	s_add_u32 s22, s24, s22
	s_addc_u32 s21, 0, s21
	s_mul_hi_u32 s25, s20, s23
	s_mul_i32 s23, s20, s23
	s_add_u32 s22, s22, s23
	s_mul_hi_u32 s24, s20, s15
	s_addc_u32 s21, s21, s25
	s_addc_u32 s22, s24, 0
	s_mul_i32 s15, s20, s15
	s_add_u32 s15, s21, s15
	s_addc_u32 s21, 0, s22
	s_add_u32 s22, s14, s15
	s_cselect_b64 s[14:15], -1, 0
	s_cmp_lg_u64 s[14:15], 0
	s_addc_u32 s20, s20, s21
	s_mul_i32 s14, s12, s20
	s_mul_hi_u32 s15, s12, s22
	s_add_i32 s14, s15, s14
	s_mul_i32 s19, s19, s22
	s_add_i32 s14, s14, s19
	s_mul_i32 s12, s12, s22
	s_mul_hi_u32 s19, s20, s12
	s_mul_i32 s21, s20, s12
	s_mul_i32 s24, s22, s14
	s_mul_hi_u32 s12, s22, s12
	s_mul_hi_u32 s23, s22, s14
	s_add_u32 s12, s12, s24
	s_addc_u32 s23, 0, s23
	s_add_u32 s12, s12, s21
	s_mul_hi_u32 s15, s20, s14
	s_addc_u32 s12, s23, s19
	s_addc_u32 s15, s15, 0
	s_mul_i32 s14, s20, s14
	s_add_u32 s12, s12, s14
	s_addc_u32 s19, 0, s15
	s_add_u32 s21, s22, s12
	s_cselect_b64 s[14:15], -1, 0
	s_cmp_lg_u64 s[14:15], 0
	s_addc_u32 s19, s20, s19
	s_ashr_i32 s14, s13, 31
	s_add_u32 s12, s18, s14
	s_mov_b32 s15, s14
	s_addc_u32 s13, s13, s14
	s_xor_b64 s[12:13], s[12:13], s[14:15]
	s_mul_i32 s22, s12, s19
	s_mul_hi_u32 s23, s12, s21
	s_mul_hi_u32 s20, s12, s19
	s_add_u32 s22, s23, s22
	s_addc_u32 s20, 0, s20
	s_mul_hi_u32 s24, s13, s21
	s_mul_i32 s21, s13, s21
	s_add_u32 s21, s22, s21
	s_mul_hi_u32 s23, s13, s19
	s_addc_u32 s20, s20, s24
	s_addc_u32 s21, s23, 0
	s_mul_i32 s19, s13, s19
	s_add_u32 s19, s20, s19
	s_addc_u32 s24, 0, s21
	s_mul_i32 s20, s10, s24
	s_mul_hi_u32 s21, s10, s19
	s_add_i32 s20, s21, s20
	s_mul_i32 s21, s11, s19
	s_add_i32 s25, s20, s21
	s_sub_i32 s22, s13, s25
	s_mul_i32 s20, s10, s19
	s_sub_u32 s12, s12, s20
	s_cselect_b64 s[20:21], -1, 0
	s_cmp_lg_u64 s[20:21], 0
	s_subb_u32 s26, s22, s11
	s_sub_u32 s27, s12, s10
	s_cselect_b64 s[22:23], -1, 0
	s_cmp_lg_u64 s[22:23], 0
	s_subb_u32 s22, s26, 0
	s_cmp_ge_u32 s22, s11
	s_cselect_b32 s23, -1, 0
	s_cmp_ge_u32 s27, s10
	s_cselect_b32 s26, -1, 0
	s_cmp_eq_u32 s22, s11
	s_cselect_b32 s22, s26, s23
	s_add_u32 s23, s19, 1
	s_addc_u32 s26, s24, 0
	s_add_u32 s27, s19, 2
	s_addc_u32 s28, s24, 0
	s_cmp_lg_u32 s22, 0
	s_cselect_b32 s22, s27, s23
	s_cselect_b32 s23, s28, s26
	s_cmp_lg_u64 s[20:21], 0
	s_subb_u32 s13, s13, s25
	s_cmp_ge_u32 s13, s11
	s_cselect_b32 s20, -1, 0
	s_cmp_ge_u32 s12, s10
	s_cselect_b32 s10, -1, 0
	s_cmp_eq_u32 s13, s11
	s_cselect_b32 s10, s10, s20
	s_cmp_lg_u32 s10, 0
	s_cselect_b32 s11, s23, s24
	s_cselect_b32 s10, s22, s19
	s_xor_b64 s[12:13], s[14:15], 0
	s_xor_b64 s[10:11], s[10:11], s[12:13]
	s_sub_u32 s10, s10, s12
	s_load_dwordx4 s[12:15], s[4:5], 0x44
	s_cbranch_execnz .LBB41_3
.LBB41_2:
	v_cvt_f32_u32_e32 v1, s9
	s_sub_i32 s10, 0, s9
	v_rcp_iflag_f32_e32 v1, v1
	v_mul_f32_e32 v1, 0x4f7ffffe, v1
	v_cvt_u32_f32_e32 v1, v1
	v_readfirstlane_b32 s11, v1
	s_mul_i32 s10, s10, s11
	s_mul_hi_u32 s10, s11, s10
	s_add_i32 s11, s11, s10
	s_mul_hi_u32 s10, s18, s11
	s_waitcnt lgkmcnt(0)
	s_mul_i32 s15, s10, s9
	s_sub_i32 s15, s18, s15
	s_add_i32 s11, s10, 1
	s_sub_i32 s16, s15, s9
	s_cmp_ge_u32 s15, s9
	s_cselect_b32 s10, s11, s10
	s_cselect_b32 s15, s16, s15
	s_add_i32 s11, s10, 1
	s_cmp_ge_u32 s15, s9
	s_cselect_b32 s10, s11, s10
.LBB41_3:
	s_add_i32 s11, s6, 1
	s_mul_hi_i32 s21, s3, s11
	s_mov_b32 s20, 0
	s_cmp_lg_u64 s[20:21], 0
	s_mul_i32 s11, s3, s11
	s_cbranch_scc0 .LBB41_21
; %bb.4:
	s_add_u32 s16, s9, 0
	s_addc_u32 s17, 0, 0
	s_xor_b64 s[18:19], s[16:17], 0
	v_cvt_f32_u32_e32 v1, s18
	v_cvt_f32_u32_e32 v2, s19
	s_waitcnt lgkmcnt(0)
	s_sub_u32 s15, 0, s18
	s_subb_u32 s20, 0, s19
	v_madmk_f32 v1, v2, 0x4f800000, v1
	v_rcp_f32_e32 v1, v1
	v_mul_f32_e32 v1, 0x5f7ffffc, v1
	v_mul_f32_e32 v2, 0x2f800000, v1
	v_trunc_f32_e32 v2, v2
	v_madmk_f32 v1, v2, 0xcf800000, v1
	v_cvt_u32_f32_e32 v2, v2
	v_cvt_u32_f32_e32 v1, v1
	v_readfirstlane_b32 s24, v2
	v_readfirstlane_b32 s22, v1
	s_mul_i32 s23, s15, s24
	s_mul_hi_u32 s26, s15, s22
	s_mul_i32 s25, s20, s22
	s_add_i32 s23, s26, s23
	s_add_i32 s23, s23, s25
	s_mul_i32 s27, s15, s22
	s_mul_i32 s26, s22, s23
	s_mul_hi_u32 s28, s22, s27
	s_mul_hi_u32 s25, s22, s23
	s_add_u32 s26, s28, s26
	s_addc_u32 s25, 0, s25
	s_mul_hi_u32 s29, s24, s27
	s_mul_i32 s27, s24, s27
	s_add_u32 s26, s26, s27
	s_mul_hi_u32 s28, s24, s23
	s_addc_u32 s25, s25, s29
	s_addc_u32 s26, s28, 0
	s_mul_i32 s23, s24, s23
	s_add_u32 s23, s25, s23
	s_addc_u32 s25, 0, s26
	s_add_u32 s26, s22, s23
	s_cselect_b64 s[22:23], -1, 0
	s_cmp_lg_u64 s[22:23], 0
	s_addc_u32 s24, s24, s25
	s_mul_i32 s22, s15, s24
	s_mul_hi_u32 s23, s15, s26
	s_add_i32 s22, s23, s22
	s_mul_i32 s20, s20, s26
	s_add_i32 s22, s22, s20
	s_mul_i32 s15, s15, s26
	s_mul_hi_u32 s23, s24, s15
	s_mul_i32 s25, s24, s15
	s_mul_i32 s28, s26, s22
	s_mul_hi_u32 s15, s26, s15
	s_mul_hi_u32 s27, s26, s22
	s_add_u32 s15, s15, s28
	s_addc_u32 s27, 0, s27
	s_add_u32 s15, s15, s25
	s_mul_hi_u32 s20, s24, s22
	s_addc_u32 s15, s27, s23
	s_addc_u32 s20, s20, 0
	s_mul_i32 s22, s24, s22
	s_add_u32 s15, s15, s22
	s_addc_u32 s20, 0, s20
	s_add_u32 s15, s26, s15
	s_cselect_b64 s[22:23], -1, 0
	s_cmp_lg_u64 s[22:23], 0
	s_addc_u32 s24, s24, s20
	s_ashr_i32 s22, s21, 31
	s_add_u32 s20, s11, s22
	s_mov_b32 s23, s22
	s_addc_u32 s21, s21, s22
	s_xor_b64 s[20:21], s[20:21], s[22:23]
	s_mul_i32 s26, s20, s24
	s_mul_hi_u32 s27, s20, s15
	s_mul_hi_u32 s25, s20, s24
	s_add_u32 s26, s27, s26
	s_addc_u32 s25, 0, s25
	s_mul_hi_u32 s28, s21, s15
	s_mul_i32 s15, s21, s15
	s_add_u32 s15, s26, s15
	s_mul_hi_u32 s27, s21, s24
	s_addc_u32 s15, s25, s28
	s_addc_u32 s25, s27, 0
	s_mul_i32 s24, s21, s24
	s_add_u32 s15, s15, s24
	s_addc_u32 s28, 0, s25
	s_mul_i32 s24, s18, s28
	s_mul_hi_u32 s25, s18, s15
	s_add_i32 s24, s25, s24
	s_mul_i32 s25, s19, s15
	s_add_i32 s29, s24, s25
	s_sub_i32 s26, s21, s29
	s_mul_i32 s24, s18, s15
	s_sub_u32 s20, s20, s24
	s_cselect_b64 s[24:25], -1, 0
	s_cmp_lg_u64 s[24:25], 0
	s_subb_u32 s30, s26, s19
	s_sub_u32 s31, s20, s18
	s_cselect_b64 s[26:27], -1, 0
	s_cmp_lg_u64 s[26:27], 0
	s_subb_u32 s26, s30, 0
	s_cmp_ge_u32 s26, s19
	s_cselect_b32 s27, -1, 0
	s_cmp_ge_u32 s31, s18
	s_cselect_b32 s30, -1, 0
	s_cmp_eq_u32 s26, s19
	s_cselect_b32 s26, s30, s27
	s_add_u32 s27, s15, 1
	s_addc_u32 s30, s28, 0
	s_add_u32 s31, s15, 2
	s_addc_u32 s33, s28, 0
	s_cmp_lg_u32 s26, 0
	s_cselect_b32 s26, s31, s27
	s_cselect_b32 s27, s33, s30
	s_cmp_lg_u64 s[24:25], 0
	s_subb_u32 s21, s21, s29
	s_cmp_ge_u32 s21, s19
	s_cselect_b32 s24, -1, 0
	s_cmp_ge_u32 s20, s18
	s_cselect_b32 s18, -1, 0
	s_cmp_eq_u32 s21, s19
	s_cselect_b32 s18, s18, s24
	s_cmp_lg_u32 s18, 0
	s_cselect_b32 s19, s27, s28
	s_cselect_b32 s18, s26, s15
	s_xor_b64 s[20:21], s[22:23], 0
	s_xor_b64 s[18:19], s[18:19], s[20:21]
	s_sub_u32 s18, s18, s20
	s_cbranch_execnz .LBB41_6
.LBB41_5:
	v_cvt_f32_u32_e32 v1, s9
	s_waitcnt lgkmcnt(0)
	s_sub_i32 s15, 0, s9
	v_rcp_iflag_f32_e32 v1, v1
	v_mul_f32_e32 v1, 0x4f7ffffe, v1
	v_cvt_u32_f32_e32 v1, v1
	v_readfirstlane_b32 s16, v1
	s_mul_i32 s15, s15, s16
	s_mul_hi_u32 s15, s16, s15
	s_add_i32 s16, s16, s15
	s_mul_hi_u32 s15, s11, s16
	s_mul_i32 s17, s15, s9
	s_sub_i32 s11, s11, s17
	s_add_i32 s16, s15, 1
	s_sub_i32 s17, s11, s9
	s_cmp_ge_u32 s11, s9
	s_cselect_b32 s15, s16, s15
	s_cselect_b32 s11, s17, s11
	s_add_i32 s16, s15, 1
	s_cmp_ge_u32 s11, s9
	s_cselect_b32 s18, s16, s15
.LBB41_6:
	s_cmp_eq_u32 s10, s18
	s_waitcnt lgkmcnt(0)
	s_mul_hi_u32 s11, s10, s12
	s_cselect_b64 s[16:17], -1, 0
	s_add_i32 s11, s11, s10
	s_lshr_b32 s11, s11, s13
	s_mul_i32 s15, s11, s14
	s_cmp_eq_u32 s15, s10
	s_mul_hi_u32 s15, s18, s12
	s_cselect_b64 s[20:21], -1, 0
	s_add_i32 s15, s15, s18
	s_lshr_b32 s15, s15, s13
	s_cmp_eq_u32 s11, s15
	s_mul_i32 s15, s15, s14
	s_cselect_b64 s[22:23], -1, 0
	s_cmp_lg_u32 s15, s18
	s_cselect_b64 s[18:19], -1, 0
	s_and_b64 s[18:19], s[22:23], s[18:19]
	s_or_b64 s[16:17], s[16:17], s[20:21]
	s_or_b64 s[16:17], s[16:17], s[18:19]
	s_and_b64 vcc, exec, s[16:17]
	s_cbranch_vccnz .LBB41_23
; %bb.7:
	s_load_dwordx8 s[20:27], s[4:5], 0x20
	s_load_dword s15, s[4:5], 0x40
	s_waitcnt lgkmcnt(0)
	s_mul_hi_u32 s16, s10, s20
	s_add_i32 s16, s16, s10
	s_lshr_b32 s20, s16, s21
	s_mul_i32 s16, s20, s22
	s_sub_i32 s16, s10, s16
	s_mul_hi_u32 s17, s16, s23
	s_add_i32 s17, s16, s17
	s_lshr_b32 s21, s17, s24
	s_mul_i32 s17, s21, s25
	s_sub_i32 s16, s16, s17
	;; [unrolled: 5-line block ×3, first 2 shown]
	s_mul_hi_u32 s16, s15, s12
	s_add_i32 s15, s15, s16
	s_lshr_b32 s23, s15, s13
	s_lshl_b32 s24, s17, 1
	s_add_i32 s23, s23, s7
	s_cmp_lt_i32 s23, s0
	s_cselect_b64 s[16:17], -1, 0
	s_add_i32 s24, s24, s8
	s_cmp_lt_i32 s24, s2
	s_cselect_b64 s[18:19], -1, 0
	s_and_b64 s[16:17], s[16:17], s[18:19]
	s_andn2_b64 vcc, exec, s[16:17]
	s_cbranch_vccnz .LBB41_23
; %bb.8:
	s_load_dwordx4 s[16:19], s[4:5], 0x0
	s_mov_b32 s4, 0
	s_lshl_b32 s26, s9, 3
	s_mov_b32 s27, s4
	s_lshl_b64 s[26:27], s[26:27], 2
	s_waitcnt lgkmcnt(0)
	s_add_u32 s15, s18, s26
	s_mul_i32 s20, s20, s0
	s_addc_u32 s22, s19, s27
	s_mul_i32 s21, s21, s2
	s_add_i32 s0, s23, s20
	s_mul_i32 s0, s0, s1
	s_add_i32 s1, s24, s21
	s_add_i32 s1, s1, s0
	v_lshl_or_b32 v1, s1, 8, v0
	v_ashrrev_i32_e32 v2, 31, v1
	v_lshlrev_b64 v[1:2], 2, v[1:2]
	v_mov_b32_e32 v3, s17
	v_add_co_u32_e32 v1, vcc, s16, v1
	v_addc_co_u32_e32 v2, vcc, v3, v2, vcc
	global_load_dword v3, v[1:2], off
	s_add_i32 s0, s7, s6
	v_cvt_f32_u32_e32 v4, s9
	s_lshl_b32 s0, s0, 1
	s_add_i32 s0, s0, s8
	s_ashr_i32 s1, s0, 31
	s_lshl_b64 s[0:1], s[0:1], 3
	v_rcp_iflag_f32_e32 v4, v4
	s_add_u32 s0, s18, s0
	s_addc_u32 s1, s19, s1
	s_load_dwordx2 s[0:1], s[0:1], 0x0
	v_mul_f32_e32 v4, 0x4f7ffffe, v4
	v_cvt_u32_f32_e32 v4, v4
	s_add_i32 s25, s6, -1
	v_lshl_or_b32 v0, s8, 8, v0
	s_waitcnt lgkmcnt(0)
	v_mov_b32_e32 v6, s1
	v_mov_b32_e32 v7, s0
	s_mov_b32 s2, 0x3fb8aa3b
	s_mov_b32 s6, 0xc2ce8ed0
	;; [unrolled: 1-line block ×4, first 2 shown]
	v_mov_b32_e32 v5, 0x7f800000
	s_mul_hi_i32 s5, s25, s3
	s_cmp_lg_u64 s[4:5], 0
	s_mul_i32 s20, s25, s3
	s_cbranch_scc0 .LBB41_19
.LBB41_9:
	s_add_u32 s0, s9, 0
	s_addc_u32 s1, 0, 0
	s_xor_b64 s[0:1], s[0:1], 0
	v_cvt_f32_u32_e32 v8, s0
	v_cvt_f32_u32_e32 v9, s1
	s_sub_u32 s21, 0, s0
	s_subb_u32 s26, 0, s1
	v_mac_f32_e32 v8, 0x4f800000, v9
	v_rcp_f32_e32 v8, v8
	v_mul_f32_e32 v8, 0x5f7ffffc, v8
	v_mul_f32_e32 v9, 0x2f800000, v8
	v_trunc_f32_e32 v9, v9
	v_mac_f32_e32 v8, 0xcf800000, v9
	v_cvt_u32_f32_e32 v9, v9
	v_cvt_u32_f32_e32 v8, v8
	v_readfirstlane_b32 s27, v9
	v_readfirstlane_b32 s16, v8
	s_mul_i32 s17, s21, s27
	s_mul_hi_u32 s29, s21, s16
	s_mul_i32 s28, s26, s16
	s_add_i32 s17, s29, s17
	s_mul_i32 s30, s21, s16
	s_add_i32 s17, s17, s28
	s_mul_i32 s29, s16, s17
	s_mul_hi_u32 s31, s16, s30
	s_mul_hi_u32 s28, s16, s17
	s_add_u32 s29, s31, s29
	s_addc_u32 s28, 0, s28
	s_mul_hi_u32 s33, s27, s30
	s_mul_i32 s30, s27, s30
	s_add_u32 s29, s29, s30
	s_mul_hi_u32 s31, s27, s17
	s_addc_u32 s28, s28, s33
	s_addc_u32 s29, s31, 0
	s_mul_i32 s17, s27, s17
	s_add_u32 s17, s28, s17
	s_addc_u32 s28, 0, s29
	s_add_u32 s29, s16, s17
	s_cselect_b64 s[16:17], -1, 0
	s_cmp_lg_u64 s[16:17], 0
	s_addc_u32 s27, s27, s28
	s_mul_i32 s16, s21, s27
	s_mul_hi_u32 s17, s21, s29
	s_add_i32 s16, s17, s16
	s_mul_i32 s26, s26, s29
	s_add_i32 s16, s16, s26
	s_mul_i32 s21, s21, s29
	s_mul_hi_u32 s26, s27, s21
	s_mul_i32 s28, s27, s21
	s_mul_i32 s31, s29, s16
	s_mul_hi_u32 s21, s29, s21
	s_mul_hi_u32 s30, s29, s16
	s_add_u32 s21, s21, s31
	s_addc_u32 s30, 0, s30
	s_add_u32 s21, s21, s28
	s_mul_hi_u32 s17, s27, s16
	s_addc_u32 s21, s30, s26
	s_addc_u32 s17, s17, 0
	s_mul_i32 s16, s27, s16
	s_add_u32 s16, s21, s16
	s_addc_u32 s21, 0, s17
	s_add_u32 s28, s29, s16
	s_cselect_b64 s[16:17], -1, 0
	s_cmp_lg_u64 s[16:17], 0
	s_addc_u32 s21, s27, s21
	s_ashr_i32 s16, s5, 31
	s_add_u32 s26, s20, s16
	s_mov_b32 s17, s16
	s_addc_u32 s27, s5, s16
	s_xor_b64 s[26:27], s[26:27], s[16:17]
	s_mul_i32 s29, s26, s21
	s_mul_hi_u32 s30, s26, s28
	s_mul_hi_u32 s5, s26, s21
	s_add_u32 s29, s30, s29
	s_addc_u32 s5, 0, s5
	s_mul_hi_u32 s31, s27, s28
	s_mul_i32 s28, s27, s28
	s_add_u32 s28, s29, s28
	s_mul_hi_u32 s30, s27, s21
	s_addc_u32 s5, s5, s31
	s_addc_u32 s28, s30, 0
	s_mul_i32 s21, s27, s21
	s_add_u32 s5, s5, s21
	s_addc_u32 s21, 0, s28
	s_mul_i32 s28, s0, s21
	s_mul_hi_u32 s29, s0, s5
	s_add_i32 s28, s29, s28
	s_mul_i32 s29, s1, s5
	s_add_i32 s33, s28, s29
	s_sub_i32 s30, s27, s33
	s_mul_i32 s28, s0, s5
	s_sub_u32 s26, s26, s28
	s_cselect_b64 s[28:29], -1, 0
	s_cmp_lg_u64 s[28:29], 0
	s_subb_u32 s34, s30, s1
	s_sub_u32 s35, s26, s0
	s_cselect_b64 s[30:31], -1, 0
	s_cmp_lg_u64 s[30:31], 0
	s_subb_u32 s30, s34, 0
	s_cmp_ge_u32 s30, s1
	s_cselect_b32 s31, -1, 0
	s_cmp_ge_u32 s35, s0
	s_cselect_b32 s34, -1, 0
	s_cmp_eq_u32 s30, s1
	s_cselect_b32 s30, s34, s31
	s_add_u32 s31, s5, 1
	s_addc_u32 s34, s21, 0
	s_add_u32 s35, s5, 2
	s_addc_u32 s36, s21, 0
	s_cmp_lg_u32 s30, 0
	s_cselect_b32 s30, s35, s31
	s_cselect_b32 s31, s36, s34
	s_cmp_lg_u64 s[28:29], 0
	s_subb_u32 s27, s27, s33
	s_cmp_ge_u32 s27, s1
	s_cselect_b32 s28, -1, 0
	s_cmp_ge_u32 s26, s0
	s_cselect_b32 s0, -1, 0
	s_cmp_eq_u32 s27, s1
	s_cselect_b32 s0, s0, s28
	s_cmp_lg_u32 s0, 0
	s_cselect_b32 s1, s31, s21
	s_cselect_b32 s0, s30, s5
	s_xor_b64 s[16:17], s[16:17], 0
	s_xor_b64 s[0:1], s[0:1], s[16:17]
	s_sub_u32 s16, s0, s16
	s_cbranch_execnz .LBB41_11
.LBB41_10:
	s_sub_i32 s0, 0, s9
	v_readfirstlane_b32 s1, v4
	s_mul_i32 s0, s0, s1
	s_mul_hi_u32 s0, s1, s0
	s_add_i32 s1, s1, s0
	s_mul_hi_u32 s0, s20, s1
	s_mul_i32 s5, s0, s9
	s_sub_i32 s5, s20, s5
	s_add_i32 s1, s0, 1
	s_sub_i32 s16, s5, s9
	s_cmp_ge_u32 s5, s9
	s_cselect_b32 s0, s1, s0
	s_cselect_b32 s5, s16, s5
	s_add_i32 s1, s0, 1
	s_cmp_ge_u32 s5, s9
	s_cselect_b32 s16, s1, s0
.LBB41_11:
	s_cmp_lg_u32 s10, s16
	s_mov_b64 s[20:21], -1
                                        ; implicit-def: $sgpr0_sgpr1
                                        ; implicit-def: $vgpr10
                                        ; implicit-def: $vgpr8
                                        ; implicit-def: $vgpr9
                                        ; implicit-def: $sgpr5
                                        ; implicit-def: $sgpr17
	s_cbranch_scc1 .LBB41_14
; %bb.12:
	s_andn2_b64 vcc, exec, s[20:21]
	s_cbranch_vccz .LBB41_17
.LBB41_13:
	s_andn2_b64 vcc, exec, s[0:1]
	s_cbranch_vccnz .LBB41_18
	s_branch .LBB41_22
.LBB41_14:
	s_add_i32 s26, s25, s7
	s_add_i32 s0, s26, s9
	s_lshl_b32 s0, s0, 1
	s_add_i32 s0, s0, s8
	s_mov_b32 s1, s4
	s_lshl_b64 s[0:1], s[0:1], 3
	s_add_u32 s20, s18, s0
	s_mul_hi_u32 s0, s16, s12
	s_addc_u32 s21, s19, s1
	s_add_i32 s0, s0, s16
	s_lshr_b32 s5, s0, s13
	s_mul_i32 s0, s5, s14
	s_cmp_eq_u32 s0, s16
	s_cselect_b64 s[0:1], -1, 0
	s_cmp_lt_u32 s5, s11
	s_cselect_b64 s[28:29], -1, 0
	s_or_b64 s[28:29], s[28:29], s[0:1]
	s_mov_b64 s[0:1], -1
	s_and_b64 vcc, exec, s[28:29]
	s_mov_b32 s5, s25
	s_mov_b32 s17, s10
	s_cbranch_vccnz .LBB41_16
; %bb.15:
	s_add_i32 s5, s25, -1
	s_mov_b64 s[0:1], 0
	s_mov_b32 s17, s16
.LBB41_16:
	v_lshl_add_u32 v8, s26, 9, v0
	v_ashrrev_i32_e32 v9, 31, v8
	v_lshlrev_b64 v[8:9], 2, v[8:9]
	v_mov_b32_e32 v10, s22
	v_add_co_u32_e32 v8, vcc, s15, v8
	v_addc_co_u32_e32 v9, vcc, v10, v9, vcc
	global_load_dword v10, v[8:9], off
	s_load_dwordx2 s[20:21], s[20:21], 0x0
	v_max_f32_e32 v8, v7, v7
	s_waitcnt lgkmcnt(0)
	v_max_f32_e64 v9, s20, s20
	v_max_f32_e32 v8, v8, v9
	v_sub_f32_e32 v9, v7, v8
	v_sub_f32_e32 v11, s20, v8
	v_mul_f32_e32 v12, 0x3fb8aa3b, v9
	v_mul_f32_e32 v13, 0x3fb8aa3b, v11
	v_fma_f32 v14, v9, s2, -v12
	v_rndne_f32_e32 v15, v12
	v_fma_f32 v16, v11, s2, -v13
	v_rndne_f32_e32 v17, v13
	v_fmac_f32_e32 v14, 0x32a5705f, v9
	v_sub_f32_e32 v12, v12, v15
	v_fmac_f32_e32 v16, 0x32a5705f, v11
	v_sub_f32_e32 v13, v13, v17
	v_add_f32_e32 v12, v12, v14
	v_cvt_i32_f32_e32 v15, v15
	v_add_f32_e32 v13, v13, v16
	v_exp_f32_e32 v12, v12
	v_cvt_i32_f32_e32 v17, v17
	v_exp_f32_e32 v13, v13
	v_cmp_ngt_f32_e32 vcc, s6, v9
	v_ldexp_f32 v12, v12, v15
	v_cndmask_b32_e32 v12, 0, v12, vcc
	v_ldexp_f32 v13, v13, v17
	v_cmp_ngt_f32_e32 vcc, s6, v11
	v_cndmask_b32_e32 v13, 0, v13, vcc
	v_cmp_nlt_f32_e32 vcc, s23, v9
	v_cndmask_b32_e32 v12, v5, v12, vcc
	v_cmp_nlt_f32_e32 vcc, s23, v11
	v_cndmask_b32_e32 v13, v5, v13, vcc
	v_cmp_le_f32_e32 vcc, s24, v9
	v_cndmask_b32_e32 v12, 0, v12, vcc
	v_cmp_le_f32_e32 vcc, s24, v11
	v_cndmask_b32_e32 v11, 0, v13, vcc
	v_mul_f32_e32 v9, s21, v11
	v_fmac_f32_e32 v9, v6, v12
	s_waitcnt vmcnt(0)
	v_mul_f32_e32 v10, v10, v11
	v_fmac_f32_e32 v10, v3, v12
	s_cbranch_execnz .LBB41_13
.LBB41_17:
	s_add_i32 s5, s25, -1
	s_mov_b32 s17, s10
	v_mov_b32_e32 v9, v6
	v_mov_b32_e32 v8, v7
	s_waitcnt vmcnt(0)
	v_mov_b32_e32 v10, v3
	s_cbranch_execz .LBB41_22
.LBB41_18:
	s_mov_b32 s10, s17
	s_mov_b32 s25, s5
	v_mov_b32_e32 v6, v9
	v_mov_b32_e32 v7, v8
	s_waitcnt vmcnt(0)
	v_mov_b32_e32 v3, v10
	s_mul_hi_i32 s5, s25, s3
	s_cmp_lg_u64 s[4:5], 0
	s_mul_i32 s20, s25, s3
	s_cbranch_scc1 .LBB41_9
.LBB41_19:
                                        ; implicit-def: $sgpr16_sgpr17
	s_branch .LBB41_10
.LBB41_20:
                                        ; implicit-def: $sgpr10_sgpr11
	s_load_dwordx4 s[12:15], s[4:5], 0x44
	s_branch .LBB41_2
.LBB41_21:
                                        ; implicit-def: $sgpr18_sgpr19
	s_branch .LBB41_5
.LBB41_22:
	v_div_scale_f32 v0, s[0:1], v9, v9, v10
	s_waitcnt vmcnt(0)
	v_div_scale_f32 v3, vcc, v10, v9, v10
	v_rcp_f32_e32 v4, v0
	v_fma_f32 v5, -v0, v4, 1.0
	v_fmac_f32_e32 v4, v5, v4
	v_mul_f32_e32 v5, v3, v4
	v_fma_f32 v6, -v0, v5, v3
	v_fmac_f32_e32 v5, v6, v4
	v_fma_f32 v0, -v0, v5, v3
	v_div_fmas_f32 v0, v0, v4, v5
	v_div_fixup_f32 v0, v0, v9, v10
	global_store_dword v[1:2], v0, off
.LBB41_23:
	s_endpgm
	.section	.rodata,"a",@progbits
	.p2align	6, 0x0
	.amdhsa_kernel _ZL33flash_attn_stream_k_fixup_generalILi256ELi1ELi2EEvPfPK15HIP_vector_typeIfLj2EEiiiiS1_IjLj3EES5_S5_S5_
		.amdhsa_group_segment_fixed_size 0
		.amdhsa_private_segment_fixed_size 0
		.amdhsa_kernarg_size 336
		.amdhsa_user_sgpr_count 6
		.amdhsa_user_sgpr_private_segment_buffer 1
		.amdhsa_user_sgpr_dispatch_ptr 0
		.amdhsa_user_sgpr_queue_ptr 0
		.amdhsa_user_sgpr_kernarg_segment_ptr 1
		.amdhsa_user_sgpr_dispatch_id 0
		.amdhsa_user_sgpr_flat_scratch_init 0
		.amdhsa_user_sgpr_private_segment_size 0
		.amdhsa_uses_dynamic_stack 0
		.amdhsa_system_sgpr_private_segment_wavefront_offset 0
		.amdhsa_system_sgpr_workgroup_id_x 1
		.amdhsa_system_sgpr_workgroup_id_y 1
		.amdhsa_system_sgpr_workgroup_id_z 1
		.amdhsa_system_sgpr_workgroup_info 0
		.amdhsa_system_vgpr_workitem_id 0
		.amdhsa_next_free_vgpr 18
		.amdhsa_next_free_sgpr 37
		.amdhsa_reserve_vcc 1
		.amdhsa_reserve_flat_scratch 0
		.amdhsa_float_round_mode_32 0
		.amdhsa_float_round_mode_16_64 0
		.amdhsa_float_denorm_mode_32 3
		.amdhsa_float_denorm_mode_16_64 3
		.amdhsa_dx10_clamp 1
		.amdhsa_ieee_mode 1
		.amdhsa_fp16_overflow 0
		.amdhsa_exception_fp_ieee_invalid_op 0
		.amdhsa_exception_fp_denorm_src 0
		.amdhsa_exception_fp_ieee_div_zero 0
		.amdhsa_exception_fp_ieee_overflow 0
		.amdhsa_exception_fp_ieee_underflow 0
		.amdhsa_exception_fp_ieee_inexact 0
		.amdhsa_exception_int_div_zero 0
	.end_amdhsa_kernel
	.section	.text._ZL33flash_attn_stream_k_fixup_generalILi256ELi1ELi2EEvPfPK15HIP_vector_typeIfLj2EEiiiiS1_IjLj3EES5_S5_S5_,"axG",@progbits,_ZL33flash_attn_stream_k_fixup_generalILi256ELi1ELi2EEvPfPK15HIP_vector_typeIfLj2EEiiiiS1_IjLj3EES5_S5_S5_,comdat
.Lfunc_end41:
	.size	_ZL33flash_attn_stream_k_fixup_generalILi256ELi1ELi2EEvPfPK15HIP_vector_typeIfLj2EEiiiiS1_IjLj3EES5_S5_S5_, .Lfunc_end41-_ZL33flash_attn_stream_k_fixup_generalILi256ELi1ELi2EEvPfPK15HIP_vector_typeIfLj2EEiiiiS1_IjLj3EES5_S5_S5_
                                        ; -- End function
	.set _ZL33flash_attn_stream_k_fixup_generalILi256ELi1ELi2EEvPfPK15HIP_vector_typeIfLj2EEiiiiS1_IjLj3EES5_S5_S5_.num_vgpr, 18
	.set _ZL33flash_attn_stream_k_fixup_generalILi256ELi1ELi2EEvPfPK15HIP_vector_typeIfLj2EEiiiiS1_IjLj3EES5_S5_S5_.num_agpr, 0
	.set _ZL33flash_attn_stream_k_fixup_generalILi256ELi1ELi2EEvPfPK15HIP_vector_typeIfLj2EEiiiiS1_IjLj3EES5_S5_S5_.numbered_sgpr, 37
	.set _ZL33flash_attn_stream_k_fixup_generalILi256ELi1ELi2EEvPfPK15HIP_vector_typeIfLj2EEiiiiS1_IjLj3EES5_S5_S5_.num_named_barrier, 0
	.set _ZL33flash_attn_stream_k_fixup_generalILi256ELi1ELi2EEvPfPK15HIP_vector_typeIfLj2EEiiiiS1_IjLj3EES5_S5_S5_.private_seg_size, 0
	.set _ZL33flash_attn_stream_k_fixup_generalILi256ELi1ELi2EEvPfPK15HIP_vector_typeIfLj2EEiiiiS1_IjLj3EES5_S5_S5_.uses_vcc, 1
	.set _ZL33flash_attn_stream_k_fixup_generalILi256ELi1ELi2EEvPfPK15HIP_vector_typeIfLj2EEiiiiS1_IjLj3EES5_S5_S5_.uses_flat_scratch, 0
	.set _ZL33flash_attn_stream_k_fixup_generalILi256ELi1ELi2EEvPfPK15HIP_vector_typeIfLj2EEiiiiS1_IjLj3EES5_S5_S5_.has_dyn_sized_stack, 0
	.set _ZL33flash_attn_stream_k_fixup_generalILi256ELi1ELi2EEvPfPK15HIP_vector_typeIfLj2EEiiiiS1_IjLj3EES5_S5_S5_.has_recursion, 0
	.set _ZL33flash_attn_stream_k_fixup_generalILi256ELi1ELi2EEvPfPK15HIP_vector_typeIfLj2EEiiiiS1_IjLj3EES5_S5_S5_.has_indirect_call, 0
	.section	.AMDGPU.csdata,"",@progbits
; Kernel info:
; codeLenInByte = 2920
; TotalNumSgprs: 41
; NumVgprs: 18
; ScratchSize: 0
; MemoryBound: 0
; FloatMode: 240
; IeeeMode: 1
; LDSByteSize: 0 bytes/workgroup (compile time only)
; SGPRBlocks: 5
; VGPRBlocks: 4
; NumSGPRsForWavesPerEU: 41
; NumVGPRsForWavesPerEU: 18
; Occupancy: 10
; WaveLimiterHint : 0
; COMPUTE_PGM_RSRC2:SCRATCH_EN: 0
; COMPUTE_PGM_RSRC2:USER_SGPR: 6
; COMPUTE_PGM_RSRC2:TRAP_HANDLER: 0
; COMPUTE_PGM_RSRC2:TGID_X_EN: 1
; COMPUTE_PGM_RSRC2:TGID_Y_EN: 1
; COMPUTE_PGM_RSRC2:TGID_Z_EN: 1
; COMPUTE_PGM_RSRC2:TIDIG_COMP_CNT: 0
	.section	.text._ZL15flash_attn_tileILi256ELi256ELi32ELi1ELb0EEvPKcS1_S1_S1_S1_PKiPfP15HIP_vector_typeIfLj2EEffffjfiS5_IjLj3EEiiiiiiiiiiiliiliiiiil,"axG",@progbits,_ZL15flash_attn_tileILi256ELi256ELi32ELi1ELb0EEvPKcS1_S1_S1_S1_PKiPfP15HIP_vector_typeIfLj2EEffffjfiS5_IjLj3EEiiiiiiiiiiiliiliiiiil,comdat
	.globl	_ZL15flash_attn_tileILi256ELi256ELi32ELi1ELb0EEvPKcS1_S1_S1_S1_PKiPfP15HIP_vector_typeIfLj2EEffffjfiS5_IjLj3EEiiiiiiiiiiiliiliiiiil ; -- Begin function _ZL15flash_attn_tileILi256ELi256ELi32ELi1ELb0EEvPKcS1_S1_S1_S1_PKiPfP15HIP_vector_typeIfLj2EEffffjfiS5_IjLj3EEiiiiiiiiiiiliiliiiiil
	.p2align	8
	.type	_ZL15flash_attn_tileILi256ELi256ELi32ELi1ELb0EEvPKcS1_S1_S1_S1_PKiPfP15HIP_vector_typeIfLj2EEffffjfiS5_IjLj3EEiiiiiiiiiiiliiliiiiil,@function
_ZL15flash_attn_tileILi256ELi256ELi32ELi1ELb0EEvPKcS1_S1_S1_S1_PKiPfP15HIP_vector_typeIfLj2EEffffjfiS5_IjLj3EEiiiiiiiiiiiliiliiiiil: ; @_ZL15flash_attn_tileILi256ELi256ELi32ELi1ELb0EEvPKcS1_S1_S1_S1_PKiPfP15HIP_vector_typeIfLj2EEffffjfiS5_IjLj3EEiiiiiiiiiiiliiliiiiil
; %bb.0:
	s_load_dwordx4 s[28:31], s[4:5], 0x5c
	s_load_dwordx2 s[42:43], s[4:5], 0x80
	s_add_u32 flat_scratch_lo, s6, s11
	s_addc_u32 flat_scratch_hi, s7, 0
	s_add_u32 s0, s0, s11
	s_waitcnt lgkmcnt(0)
	v_cvt_f32_u32_e32 v2, s31
	s_addc_u32 s1, s1, 0
	s_sub_i32 s6, 0, s31
	s_load_dwordx2 s[44:45], s[4:5], 0xb8
	v_rcp_iflag_f32_e32 v2, v2
	s_mov_b64 s[40:41], 0
	v_mul_f32_e32 v2, 0x4f7ffffe, v2
	v_cvt_u32_f32_e32 v2, v2
	v_readfirstlane_b32 s7, v2
	s_mul_i32 s6, s6, s7
	s_mul_hi_u32 s6, s7, s6
	s_add_i32 s7, s7, s6
	s_mul_hi_u32 s6, s10, s7
	s_mul_i32 s7, s6, s31
	s_sub_i32 s7, s10, s7
	s_add_i32 s11, s6, 1
	s_sub_i32 s12, s7, s31
	s_cmp_ge_u32 s7, s31
	s_cselect_b32 s6, s11, s6
	s_cselect_b32 s7, s12, s7
	s_add_i32 s11, s6, 1
	s_cmp_ge_u32 s7, s31
	s_cselect_b32 s33, s11, s6
	s_abs_i32 s6, s43
	v_cvt_f32_u32_e32 v2, s6
	s_mul_i32 s12, s33, s31
	s_sub_i32 s13, 0, s6
	s_sub_i32 s34, s10, s12
	v_rcp_iflag_f32_e32 v2, v2
	s_abs_i32 s11, s31
	s_xor_b32 s7, s31, s43
	s_ashr_i32 s7, s7, 31
	v_mul_f32_e32 v2, 0x4f7ffffe, v2
	v_cvt_u32_f32_e32 v2, v2
	v_readfirstlane_b32 s10, v2
	s_mul_i32 s13, s13, s10
	s_mul_hi_u32 s12, s10, s13
	s_add_i32 s10, s10, s12
	s_mul_hi_u32 s10, s11, s10
	s_mul_i32 s12, s10, s6
	s_sub_i32 s11, s11, s12
	s_add_i32 s13, s10, 1
	s_sub_i32 s12, s11, s6
	s_cmp_ge_u32 s11, s6
	s_cselect_b32 s10, s13, s10
	s_cselect_b32 s11, s12, s11
	s_add_i32 s12, s10, 1
	s_cmp_ge_u32 s11, s6
	s_cselect_b32 s6, s12, s10
	s_xor_b32 s6, s6, s7
	s_sub_i32 s47, s6, s7
	s_abs_i32 s43, s47
	v_cvt_f32_u32_e32 v2, s43
	s_load_dwordx16 s[12:27], s[4:5], 0x0
	s_sub_i32 s6, 0, s43
	s_abs_i32 s46, s34
	v_rcp_iflag_f32_e32 v2, v2
	v_mul_f32_e32 v2, 0x4f7ffffe, v2
	v_cvt_u32_f32_e32 v2, v2
	v_readfirstlane_b32 s7, v2
	s_mul_i32 s6, s6, s7
	s_mul_hi_u32 s6, s7, s6
	s_add_i32 s6, s7, s6
	s_waitcnt lgkmcnt(0)
	s_cmp_eq_u64 s[18:19], 0
	s_cbranch_scc1 .LBB42_2
; %bb.1:
	s_abs_i32 s7, s44
	v_cvt_f32_u32_e32 v2, s7
	s_sub_i32 s37, 0, s7
	s_abs_i32 s36, s33
	s_ashr_i32 s35, s33, 31
	v_rcp_iflag_f32_e32 v2, v2
	s_load_dwordx2 s[10:11], s[4:5], 0xc8
	v_mul_f32_e32 v2, 0x4f7ffffe, v2
	v_cvt_u32_f32_e32 v2, v2
	v_readfirstlane_b32 s38, v2
	s_mul_i32 s37, s37, s38
	s_mul_hi_u32 s37, s38, s37
	s_add_i32 s38, s38, s37
	s_mul_hi_u32 s37, s36, s38
	s_mul_i32 s37, s37, s7
	s_sub_i32 s36, s36, s37
	s_sub_i32 s37, s36, s7
	s_cmp_ge_u32 s36, s7
	s_cselect_b32 s36, s37, s36
	s_sub_i32 s37, s36, s7
	s_cmp_ge_u32 s36, s7
	s_cselect_b32 s7, s37, s36
	s_xor_b32 s7, s7, s35
	s_sub_i32 s7, s7, s35
	s_ashr_i32 s35, s7, 31
	s_waitcnt lgkmcnt(0)
	s_mul_hi_u32 s36, s10, s7
	s_mul_i32 s35, s10, s35
	s_mul_i32 s11, s11, s7
	s_add_i32 s35, s36, s35
	s_add_i32 s35, s35, s11
	s_mul_i32 s7, s10, s7
	s_add_u32 s40, s18, s7
	s_addc_u32 s41, s19, s35
.LBB42_2:
	s_load_dwordx4 s[36:39], s[4:5], 0x40
	s_mul_hi_u32 s44, s46, s6
	s_load_dword s6, s[4:5], 0x50
	v_mov_b32_e32 v27, 1.0
	s_waitcnt lgkmcnt(0)
	v_cmp_le_f32_e64 s[10:11], s37, 0
	s_and_b64 vcc, exec, s[10:11]
	s_cbranch_vccnz .LBB42_4
; %bb.3:
	v_mov_b32_e32 v2, s6
	v_sub_co_u32_e32 v2, vcc, s34, v2
	v_mov_b32_e32 v3, s39
	v_mov_b32_e32 v4, s38
	s_add_i32 s6, s34, 1
	v_lshlrev_b32_e32 v2, 1, v2
	v_cndmask_b32_e32 v3, v3, v4, vcc
	v_or_b32_e32 v2, 1, v2
	v_mov_b32_e32 v4, s6
	v_cndmask_b32_e32 v2, v2, v4, vcc
	v_cvt_f32_i32_e32 v2, v2
	v_cmp_neq_f32_e32 vcc, 1.0, v3
	s_mov_b32 s6, 0x3f2aaaab
	s_movk_i32 s10, 0x204
	v_cndmask_b32_e32 v4, 1.0, v2, vcc
	v_cmp_neq_f32_e32 vcc, 0, v4
	v_cndmask_b32_e32 v5, 1.0, v3, vcc
	v_frexp_mant_f32_e64 v2, |v5|
	v_cmp_gt_f32_e32 vcc, s6, v2
	v_cndmask_b32_e64 v3, 1.0, 2.0, vcc
	v_mul_f32_e32 v2, v2, v3
	v_add_f32_e32 v3, 1.0, v2
	v_rcp_f32_e32 v6, v3
	v_add_f32_e32 v7, -1.0, v2
	v_add_f32_e32 v8, -1.0, v3
	v_sub_f32_e32 v2, v2, v8
	v_mul_f32_e32 v8, v7, v6
	v_mul_f32_e32 v9, v3, v8
	v_fma_f32 v3, v8, v3, -v9
	v_fmac_f32_e32 v3, v8, v2
	v_add_f32_e32 v2, v9, v3
	v_sub_f32_e32 v10, v7, v2
	v_sub_f32_e32 v9, v2, v9
	;; [unrolled: 1-line block ×5, first 2 shown]
	v_add_f32_e32 v2, v3, v2
	v_add_f32_e32 v2, v10, v2
	v_mul_f32_e32 v2, v6, v2
	v_add_f32_e32 v6, v8, v2
	v_sub_f32_e32 v3, v6, v8
	v_sub_f32_e32 v7, v2, v3
	v_mul_f32_e32 v2, v6, v6
	v_fma_f32 v3, v6, v6, -v2
	v_add_f32_e32 v8, v7, v7
	v_fmac_f32_e32 v3, v6, v8
	v_add_f32_e32 v8, v2, v3
	v_mov_b32_e32 v9, 0x3e91f4c4
	v_sub_f32_e32 v2, v8, v2
	v_fmac_f32_e32 v9, 0x3e76c4e1, v8
	v_mov_b32_e32 v10, 0x3ecccdef
	v_sub_f32_e32 v2, v3, v2
	v_mul_f32_e32 v3, v6, v8
	v_fmac_f32_e32 v10, v8, v9
	v_fma_f32 v9, v8, v6, -v3
	v_fmac_f32_e32 v9, v8, v7
	v_fmac_f32_e32 v9, v2, v6
	v_add_f32_e32 v11, v3, v9
	v_sub_f32_e32 v3, v11, v3
	v_sub_f32_e32 v9, v9, v3
	v_mul_f32_e32 v3, v8, v10
	v_fma_f32 v8, v8, v10, -v3
	v_fmac_f32_e32 v8, v2, v10
	v_add_f32_e32 v10, v3, v8
	v_sub_f32_e32 v2, v10, v3
	v_sub_f32_e32 v8, v8, v2
	v_cvt_f64_f32_e64 v[2:3], |v5|
	v_add_f32_e32 v12, 0x3f2aaaaa, v10
	v_add_f32_e32 v13, 0xbf2aaaaa, v12
	v_add_f32_e32 v8, 0x31739010, v8
	v_frexp_exp_i32_f64_e32 v2, v[2:3]
	v_sub_f32_e32 v10, v10, v13
	v_add_f32_e32 v3, v8, v10
	v_add_f32_e32 v8, v12, v3
	v_sub_f32_e32 v10, v12, v8
	v_add_f32_e32 v3, v3, v10
	v_mul_f32_e32 v10, v11, v8
	v_fma_f32 v12, v11, v8, -v10
	v_subbrev_co_u32_e32 v2, vcc, 0, v2, vcc
	v_cvt_f32_i32_e32 v2, v2
	v_fmac_f32_e32 v12, v11, v3
	s_mov_b32 s6, 0x3f317218
	v_fmac_f32_e32 v12, v9, v8
	v_mul_f32_e32 v3, 0x3f317218, v2
	v_fma_f32 v8, v2, s6, -v3
	v_fmac_f32_e32 v8, 0xb102e308, v2
	v_ldexp_f32 v2, v7, 1
	v_add_f32_e32 v7, v3, v8
	v_sub_f32_e32 v3, v7, v3
	v_ldexp_f32 v6, v6, 1
	v_sub_f32_e32 v3, v8, v3
	v_add_f32_e32 v8, v10, v12
	v_sub_f32_e32 v9, v8, v10
	v_add_f32_e32 v10, v6, v8
	v_sub_f32_e32 v9, v12, v9
	v_sub_f32_e32 v6, v10, v6
	;; [unrolled: 1-line block ×3, first 2 shown]
	v_add_f32_e32 v2, v2, v9
	v_add_f32_e32 v2, v2, v6
	v_add_f32_e32 v6, v10, v2
	v_sub_f32_e32 v8, v6, v10
	v_sub_f32_e32 v2, v2, v8
	v_add_f32_e32 v8, v7, v6
	v_sub_f32_e32 v9, v8, v7
	v_sub_f32_e32 v10, v8, v9
	;; [unrolled: 1-line block ×4, first 2 shown]
	v_add_f32_e32 v6, v6, v7
	v_add_f32_e32 v7, v3, v2
	v_sub_f32_e32 v9, v7, v3
	v_sub_f32_e32 v10, v7, v9
	;; [unrolled: 1-line block ×4, first 2 shown]
	v_add_f32_e32 v2, v2, v3
	v_add_f32_e32 v3, v7, v6
	;; [unrolled: 1-line block ×3, first 2 shown]
	v_sub_f32_e32 v7, v6, v8
	v_sub_f32_e32 v3, v3, v7
	v_add_f32_e32 v2, v2, v3
	v_add_f32_e32 v3, v6, v2
	v_sub_f32_e32 v6, v3, v6
	v_sub_f32_e32 v2, v2, v6
	v_mul_f32_e32 v6, v4, v3
	v_fma_f32 v3, v4, v3, -v6
	v_fmac_f32_e32 v3, v4, v2
	v_add_f32_e32 v2, v6, v3
	v_cmp_class_f32_e64 vcc, v6, s10
	v_sub_f32_e32 v7, v2, v6
	v_cndmask_b32_e32 v2, v2, v6, vcc
	s_mov_b32 s7, 0x42b17218
	v_mov_b32_e32 v6, 0x37000000
	v_cmp_eq_f32_e32 vcc, s7, v2
	v_cndmask_b32_e32 v6, 0, v6, vcc
	v_sub_f32_e32 v3, v3, v7
	v_sub_f32_e32 v7, v2, v6
	s_mov_b32 s11, 0x3fb8aa3b
	v_mul_f32_e32 v8, 0x3fb8aa3b, v7
	v_fma_f32 v9, v7, s11, -v8
	v_rndne_f32_e32 v10, v8
	v_fmac_f32_e32 v9, 0x32a5705f, v7
	v_sub_f32_e32 v8, v8, v10
	v_add_f32_e32 v8, v8, v9
	v_exp_f32_e32 v8, v8
	v_cvt_i32_f32_e32 v9, v10
	s_mov_b32 s6, 0x7f800000
	v_cmp_neq_f32_e64 vcc, |v2|, s6
	s_mov_b32 s6, 0xc2ce8ed0
	v_cndmask_b32_e32 v2, 0, v3, vcc
	v_ldexp_f32 v3, v8, v9
	v_cmp_ngt_f32_e32 vcc, s6, v7
	v_add_f32_e32 v2, v6, v2
	v_cndmask_b32_e32 v3, 0, v3, vcc
	v_mov_b32_e32 v6, 0x7f800000
	v_cmp_nlt_f32_e32 vcc, s7, v7
	v_cndmask_b32_e32 v3, v6, v3, vcc
	v_fma_f32 v2, v3, v2, v3
	v_cmp_class_f32_e64 vcc, v3, s10
	v_cndmask_b32_e32 v2, v2, v3, vcc
	v_trunc_f32_e32 v3, v4
	v_cmp_eq_f32_e32 vcc, v3, v4
	v_mul_f32_e32 v3, 0.5, v4
	v_trunc_f32_e32 v8, v3
	v_cmp_neq_f32_e64 s[6:7], v8, v3
	s_and_b64 s[6:7], vcc, s[6:7]
	v_cndmask_b32_e64 v3, 1.0, v5, s[6:7]
	s_brev_b32 s35, -2
	v_mov_b32_e32 v7, 0x7fc00000
	v_bfi_b32 v2, s35, v2, v3
	v_cndmask_b32_e32 v3, v7, v2, vcc
	v_cmp_gt_f32_e32 vcc, 0, v5
	v_cndmask_b32_e32 v2, v2, v3, vcc
	v_cmp_class_f32_e64 s[18:19], v5, s10
	v_cmp_eq_f32_e32 vcc, 0, v5
	v_cmp_gt_f32_e64 s[10:11], 0, v4
	s_xor_b64 s[10:11], s[10:11], vcc
	v_cndmask_b32_e64 v3, v6, 0, s[10:11]
	v_cndmask_b32_e64 v4, 0, v5, s[6:7]
	v_bfi_b32 v3, s35, v3, v4
	s_or_b64 vcc, vcc, s[18:19]
	v_cndmask_b32_e32 v2, v2, v3, vcc
	v_cmp_o_f32_e32 vcc, v5, v5
	v_cndmask_b32_e32 v27, v7, v2, vcc
.LBB42_4:
	s_lshl_b32 s18, s8, 5
	v_lshlrev_b32_e32 v23, 2, v1
	s_load_dwordx4 s[48:51], s[4:5], 0x70
	v_add_u32_e32 v24, s18, v23
	v_mul_hi_u32 v2, v24, s28
	s_ashr_i32 s35, s34, 31
	s_ashr_i32 s10, s47, 31
	s_waitcnt lgkmcnt(0)
	s_mul_i32 s6, s33, s50
	v_add_u32_e32 v2, v24, v2
	s_ashr_i32 s7, s6, 31
	v_lshrrev_b32_e32 v2, s29, v2
	s_add_u32 s6, s12, s6
	s_mul_i32 s11, s34, s49
	v_mul_lo_u32 v2, v2, s30
	s_addc_u32 s7, s13, s7
	s_ashr_i32 s12, s11, 31
	s_add_u32 s11, s6, s11
	s_addc_u32 s19, s7, s12
	s_ashr_i32 s49, s48, 31
	s_lshr_b64 s[6:7], s[48:49], 2
	v_sub_u32_e32 v34, v24, v2
	v_mad_u64_u32 v[2:3], s[12:13], s6, v34, 0
	v_mov_b32_e32 v6, s19
	s_lshr_b32 s19, s49, 2
	v_mad_u64_u32 v[3:4], s[12:13], s19, v34, v[3:4]
	v_or_b32_e32 v21, 1, v23
	v_add_u32_e32 v22, s18, v21
	v_mul_hi_u32 v4, v22, s28
	v_lshlrev_b32_e32 v5, 4, v0
	v_add_co_u32_e32 v32, vcc, s11, v5
	v_lshlrev_b64 v[2:3], 2, v[2:3]
	v_addc_co_u32_e32 v33, vcc, 0, v6, vcc
	v_add_co_u32_e32 v6, vcc, v32, v2
	v_add_u32_e32 v2, v22, v4
	v_lshrrev_b32_e32 v2, s29, v2
	v_mul_lo_u32 v8, v2, s30
	v_or_b32_e32 v19, 2, v23
	v_add_u32_e32 v20, s18, v19
	v_addc_co_u32_e32 v7, vcc, v33, v3, vcc
	v_sub_u32_e32 v12, v22, v8
	v_mad_u64_u32 v[10:11], s[12:13], s6, v12, 0
	global_load_dwordx4 v[2:5], v[6:7], off
	v_lshlrev_b32_e32 v42, 11, v1
	v_mad_u64_u32 v[11:12], s[12:13], s19, v12, v[11:12]
	v_mul_hi_u32 v12, v20, s28
	v_mov_b32_e32 v47, 0
	v_lshlrev_b64 v[10:11], 2, v[10:11]
	s_cmp_eq_u64 s[22:23], 0
	v_add_u32_e32 v12, v20, v12
	v_lshrrev_b32_e32 v12, s29, v12
	v_mul_lo_u32 v16, v12, s30
	v_add_co_u32_e32 v14, vcc, v32, v10
	v_addc_co_u32_e32 v15, vcc, v33, v11, vcc
	v_sub_u32_e32 v18, v20, v16
	v_mad_u64_u32 v[16:17], s[12:13], s6, v18, 0
	global_load_dwordx4 v[10:13], v[14:15], off
	global_load_dwordx4 v[28:31], v[14:15], off offset:512
	v_mad_u64_u32 v[17:18], s[12:13], s19, v18, v[17:18]
	global_load_dwordx4 v[6:9], v[6:7], off offset:512
	v_lshlrev_b64 v[14:15], 2, v[16:17]
	v_or_b32_e32 v16, 3, v23
	v_add_u32_e32 v18, s18, v16
	v_mul_hi_u32 v17, v18, s28
	v_add_co_u32_e32 v14, vcc, v32, v14
	v_addc_co_u32_e32 v15, vcc, v33, v15, vcc
	v_add_u32_e32 v17, v18, v17
	v_lshrrev_b32_e32 v17, s29, v17
	v_mul_lo_u32 v17, v17, s30
	global_load_dwordx4 v[35:38], v[14:15], off
	global_load_dwordx4 v[43:46], v[14:15], off offset:512
	v_sub_u32_e32 v17, v18, v17
	v_mad_u64_u32 v[25:26], s[6:7], s6, v17, 0
	v_mov_b32_e32 v14, v26
	v_mad_u64_u32 v[14:15], s[6:7], s19, v17, v[14:15]
	v_lshlrev_b32_e32 v17, 2, v0
	v_mov_b32_e32 v26, v14
	v_lshlrev_b64 v[14:15], 2, v[25:26]
	v_lshlrev_b32_e32 v26, 3, v0
	v_add_co_u32_e32 v14, vcc, v32, v14
	v_addc_co_u32_e32 v15, vcc, v33, v15, vcc
	global_load_dwordx4 v[48:51], v[14:15], off
	global_load_dwordx4 v[52:55], v[14:15], off offset:512
	v_or_b32_e32 v25, v26, v42
	s_waitcnt vmcnt(7)
	v_fma_mixlo_f16 v2, s36, v2, 0
	v_fma_mixlo_f16 v3, s36, v3, 0
	v_lshlrev_b32_e32 v3, 16, v3
	v_and_b32_e32 v2, 0xffff, v2
	v_or_b32_e32 v2, v3, v2
	v_fma_mixlo_f16 v3, s36, v4, 0
	v_fma_mixlo_f16 v4, s36, v5, 0
	v_lshlrev_b32_e32 v4, 16, v4
	v_and_b32_e32 v3, 0xffff, v3
	v_or3_b32 v3, v4, v3, 0
	v_or3_b32 v2, 0, 0, v2
	s_waitcnt vmcnt(4)
	v_fma_mixlo_f16 v4, s36, v6, 0
	v_fma_mixlo_f16 v5, s36, v7, 0
	v_lshlrev_b32_e32 v5, 16, v5
	v_and_b32_e32 v4, 0xffff, v4
	v_or_b32_e32 v4, v5, v4
	v_fma_mixlo_f16 v5, s36, v8, 0
	v_fma_mixlo_f16 v6, s36, v9, 0
	v_lshlrev_b32_e32 v6, 16, v6
	v_and_b32_e32 v5, 0xffff, v5
	v_or3_b32 v5, v6, v5, 0
	v_or3_b32 v4, 0, 0, v4
	ds_write2_b64 v25, v[2:3], v[4:5] offset1:32
	v_fma_mixlo_f16 v2, s36, v10, 0
	v_fma_mixlo_f16 v3, s36, v11, 0
	v_lshlrev_b32_e32 v3, 16, v3
	v_and_b32_e32 v2, 0xffff, v2
	v_or_b32_e32 v2, v3, v2
	v_fma_mixlo_f16 v3, s36, v12, 0
	v_fma_mixlo_f16 v4, s36, v13, 0
	v_lshlrev_b32_e32 v4, 16, v4
	v_and_b32_e32 v3, 0xffff, v3
	v_or3_b32 v3, v4, v3, 0
	v_fma_mixlo_f16 v4, s36, v28, 0
	v_fma_mixlo_f16 v5, s36, v29, 0
	v_lshlrev_b32_e32 v5, 16, v5
	v_and_b32_e32 v4, 0xffff, v4
	v_or_b32_e32 v4, v5, v4
	v_fma_mixlo_f16 v5, s36, v30, 0
	v_fma_mixlo_f16 v7, s36, v31, 0
	v_lshlrev_b32_e32 v7, 16, v7
	v_and_b32_e32 v5, 0xffff, v5
	v_lshl_add_u32 v6, v21, 9, v26
	v_or3_b32 v2, 0, 0, v2
	v_or3_b32 v5, v7, v5, 0
	;; [unrolled: 1-line block ×3, first 2 shown]
	ds_write2_b64 v6, v[2:3], v[4:5] offset1:32
	s_waitcnt vmcnt(3)
	v_fma_mixlo_f16 v2, s36, v35, 0
	v_fma_mixlo_f16 v3, s36, v36, 0
	v_lshlrev_b32_e32 v3, 16, v3
	v_and_b32_e32 v2, 0xffff, v2
	v_or_b32_e32 v2, v3, v2
	v_fma_mixlo_f16 v3, s36, v37, 0
	v_fma_mixlo_f16 v4, s36, v38, 0
	v_lshlrev_b32_e32 v4, 16, v4
	v_and_b32_e32 v3, 0xffff, v3
	v_or3_b32 v3, v4, v3, 0
	s_waitcnt vmcnt(2)
	v_fma_mixlo_f16 v4, s36, v43, 0
	v_fma_mixlo_f16 v5, s36, v44, 0
	v_lshlrev_b32_e32 v5, 16, v5
	v_and_b32_e32 v4, 0xffff, v4
	v_or_b32_e32 v4, v5, v4
	v_fma_mixlo_f16 v5, s36, v45, 0
	v_fma_mixlo_f16 v7, s36, v46, 0
	v_lshlrev_b32_e32 v7, 16, v7
	v_and_b32_e32 v5, 0xffff, v5
	v_lshl_add_u32 v6, v19, 9, v26
	v_or3_b32 v2, 0, 0, v2
	v_or3_b32 v5, v7, v5, 0
	;; [unrolled: 1-line block ×3, first 2 shown]
	ds_write2_b64 v6, v[2:3], v[4:5] offset1:32
	s_waitcnt vmcnt(1)
	v_fma_mixlo_f16 v2, s36, v48, 0
	v_fma_mixlo_f16 v3, s36, v49, 0
	v_lshlrev_b32_e32 v3, 16, v3
	v_and_b32_e32 v2, 0xffff, v2
	v_or_b32_e32 v2, v3, v2
	v_fma_mixlo_f16 v3, s36, v50, 0
	v_fma_mixlo_f16 v4, s36, v51, 0
	v_lshlrev_b32_e32 v4, 16, v4
	v_and_b32_e32 v3, 0xffff, v3
	v_or3_b32 v3, v4, v3, 0
	s_waitcnt vmcnt(0)
	v_fma_mixlo_f16 v4, s36, v52, 0
	v_fma_mixlo_f16 v5, s36, v53, 0
	v_lshlrev_b32_e32 v5, 16, v5
	v_and_b32_e32 v4, 0xffff, v4
	v_or_b32_e32 v4, v5, v4
	v_fma_mixlo_f16 v5, s36, v54, 0
	v_fma_mixlo_f16 v7, s36, v55, 0
	v_lshlrev_b32_e32 v7, 16, v7
	v_and_b32_e32 v5, 0xffff, v5
	v_lshl_add_u32 v6, v16, 9, v26
	v_or3_b32 v2, 0, 0, v2
	v_or3_b32 v5, v7, v5, 0
	;; [unrolled: 1-line block ×3, first 2 shown]
	ds_write2_b64 v6, v[2:3], v[4:5] offset1:32
	s_waitcnt lgkmcnt(0)
	s_barrier
	s_cbranch_scc1 .LBB42_6
; %bb.5:
	s_load_dword s6, s[4:5], 0xd0
	s_mov_b32 s7, 0
	s_waitcnt lgkmcnt(0)
	s_mul_i32 s6, s6, s33
	s_add_i32 s6, s6, s8
	s_lshl_b64 s[6:7], s[6:7], 2
	s_add_u32 s6, s22, s6
	s_addc_u32 s7, s23, s7
	s_load_dword s42, s[6:7], 0x0
.LBB42_6:
	s_nop 0
	s_load_dwordx2 s[6:7], s[4:5], 0x8c
	s_load_dwordx4 s[36:39], s[4:5], 0x98
	s_load_dwordx2 s[48:49], s[4:5], 0xa8
	s_ashr_i32 s19, s45, 1
	v_lshrrev_b32_e32 v52, 4, v0
	s_waitcnt lgkmcnt(0)
	s_ashr_i32 s12, s6, 2
	s_ashr_i32 s6, s33, 31
	s_mul_hi_u32 s11, s36, s33
	s_mul_i32 s13, s36, s6
	s_add_i32 s11, s11, s13
	s_mul_i32 s13, s37, s33
	s_ashr_i32 s8, s38, 2
	s_add_i32 s11, s11, s13
	s_mul_i32 s13, s36, s33
	s_add_u32 s13, s14, s13
	s_mul_i32 s14, s44, s43
	s_addc_u32 s11, s15, s11
	s_sub_i32 s14, s46, s14
	s_xor_b32 s10, s35, s10
	s_add_i32 s15, s44, 1
	s_sub_i32 s22, s14, s43
	s_cmp_ge_u32 s14, s43
	s_cselect_b32 s15, s15, s44
	s_cselect_b32 s14, s22, s14
	s_add_i32 s22, s15, 1
	s_cmp_ge_u32 s14, s43
	s_cselect_b32 s14, s22, s15
	s_xor_b32 s14, s14, s10
	s_sub_i32 s10, s14, s10
	s_mul_i32 s7, s10, s7
	s_ashr_i32 s14, s7, 31
	s_add_u32 s13, s13, s7
	s_mul_hi_u32 s7, s48, s33
	s_mul_i32 s6, s48, s6
	s_addc_u32 s22, s11, s14
	s_add_i32 s6, s7, s6
	s_mul_i32 s7, s49, s33
	s_add_i32 s6, s6, s7
	s_mul_i32 s7, s48, s33
	s_add_u32 s7, s16, s7
	s_mul_i32 s10, s10, s39
	s_addc_u32 s6, s17, s6
	s_ashr_i32 s11, s10, 31
	v_mul_lo_u32 v14, s8, v1
	s_add_u32 s14, s7, s10
	s_addc_u32 s15, s6, s11
	s_lshl_b32 s16, s9, 5
	s_sub_i32 s17, s42, 32
	s_cmp_ge_i32 s16, s17
	v_and_b32_e32 v51, 60, v17
	v_lshlrev_b32_e32 v25, 2, v17
	v_mbcnt_lo_u32_b32 v43, -1, 0
	s_cbranch_scc1 .LBB42_19
; %bb.7:
	v_or_b32_e32 v7, 1, v24
	v_mul_hi_u32 v8, s28, v7
	s_movk_i32 s6, 0x110
	v_mov_b32_e32 v6, 0x4000
	v_mad_u32_u24 v55, v0, s6, v6
	v_add_u32_e32 v6, v7, v8
	v_lshrrev_b32_e32 v6, s29, v6
	v_mul_lo_u32 v6, v6, s30
	v_or_b32_e32 v8, 2, v24
	v_mul_hi_u32 v9, s28, v8
	v_lshl_add_u32 v3, v1, 1, v52
	v_sub_u32_e32 v6, v7, v6
	v_or_b32_e32 v7, 3, v24
	v_mul_hi_u32 v10, s28, v7
	v_add_u32_e32 v9, v8, v9
	v_lshrrev_b32_e32 v9, s29, v9
	v_mul_lo_u32 v9, v9, s30
	v_add_u32_e32 v10, v7, v10
	v_lshrrev_b32_e32 v10, s29, v10
	v_mul_lo_u32 v10, v10, s30
	v_mul_lo_u32 v2, s12, v3
	v_lshlrev_b32_e32 v4, 2, v51
	v_mul_lo_u32 v57, v6, s19
	v_sub_u32_e32 v6, v8, v9
	v_mad_u32_u24 v4, v3, s6, v4
	v_mul_lo_u32 v58, v6, s19
	v_sub_u32_e32 v6, v7, v10
	v_add_u32_e32 v53, 0x4000, v4
	v_add_u32_e32 v54, 0x5100, v4
	v_lshl_add_u32 v4, s12, 4, v2
	s_cmp_lg_u64 s[40:41], 0
	v_mul_lo_u32 v56, v34, s19
	v_mul_lo_u32 v59, v6, s19
	v_mov_b32_e32 v6, 0x6200
	v_lshl_add_u32 v12, s8, 3, v14
	v_ashrrev_i32_e32 v3, 31, v2
	v_ashrrev_i32_e32 v5, 31, v4
	s_cselect_b64 s[6:7], -1, 0
	v_lshl_add_u32 v60, v1, 8, v6
	v_lshl_add_u32 v6, v1, 9, v25
	v_ashrrev_i32_e32 v15, 31, v14
	v_ashrrev_i32_e32 v13, 31, v12
	v_add_u32_e32 v61, 0x4000, v6
	v_add_u32_e32 v62, 0x5000, v6
	s_add_u32 s10, s4, 0xd0
	v_lshlrev_b64 v[6:7], 2, v[2:3]
	v_lshlrev_b64 v[8:9], 2, v[4:5]
	v_cndmask_b32_e64 v2, 0, 1, s[6:7]
	v_lshlrev_b64 v[10:11], 2, v[14:15]
	v_lshlrev_b64 v[12:13], 2, v[12:13]
	v_mov_b32_e32 v28, 0
	s_addc_u32 s11, s5, 0
	v_mov_b32_e32 v72, 0xfeffffff
	v_lshlrev_b32_e32 v63, 2, v51
	s_mov_b32 s23, 0x3fb8aa3b
	s_mov_b32 s36, 0xc2ce8ed0
	;; [unrolled: 1-line block ×4, first 2 shown]
	v_cmp_ne_u32_e64 s[6:7], 1, v2
	v_mbcnt_hi_u32_b32 v15, -1, v43
	v_mov_b32_e32 v64, 0x7f800000
	v_mov_b32_e32 v29, 0
	v_mov_b32_e32 v31, 0
	v_mov_b32_e32 v30, 0
	v_mov_b32_e32 v35, 0
	v_mov_b32_e32 v33, 0
	v_mov_b32_e32 v36, 0
	v_mov_b32_e32 v32, 0
	v_mov_b32_e32 v40, 0
	v_mov_b32_e32 v39, 0
	v_mov_b32_e32 v41, 0
	v_mov_b32_e32 v37, 0
	v_mov_b32_e32 v45, 0
	v_mov_b32_e32 v44, 0
	v_mov_b32_e32 v46, 0
	v_mov_b32_e32 v38, 0
	v_mov_b32_e32 v70, 0xfeffffff
	v_mov_b32_e32 v68, 0xfeffffff
	v_mov_b32_e32 v66, 0xfeffffff
	v_mov_b32_e32 v71, 0
	v_mov_b32_e32 v69, 0
	v_mov_b32_e32 v67, 0
	v_mov_b32_e32 v65, 0
.LBB42_8:                               ; =>This Inner Loop Header: Depth=1
	s_mul_hi_i32 s45, s16, s12
	s_mul_i32 s44, s16, s12
	s_lshl_b64 s[44:45], s[44:45], 2
	s_add_u32 s39, s13, s44
	s_addc_u32 s43, s22, s45
	v_mov_b32_e32 v2, s43
	v_add_co_u32_e32 v3, vcc, s39, v6
	v_addc_co_u32_e32 v4, vcc, v2, v7, vcc
	v_add_co_u32_e32 v2, vcc, v3, v63
	v_addc_co_u32_e32 v3, vcc, 0, v4, vcc
	v_mov_b32_e32 v4, s43
	v_add_co_u32_e32 v5, vcc, s39, v8
	v_addc_co_u32_e32 v47, vcc, v4, v9, vcc
	v_add_co_u32_e32 v4, vcc, v5, v63
	v_addc_co_u32_e32 v5, vcc, 0, v47, vcc
	global_load_dwordx4 v[73:76], v[2:3], off
	global_load_dwordx4 v[77:80], v[4:5], off
	v_mov_b32_e32 v50, 0
	v_mov_b32_e32 v49, 0
	;; [unrolled: 1-line block ×4, first 2 shown]
	s_and_b64 vcc, exec, s[6:7]
	s_waitcnt vmcnt(1)
	ds_write_b128 v53, v[73:76]
	s_waitcnt vmcnt(0)
	ds_write_b128 v54, v[77:80]
	s_waitcnt lgkmcnt(0)
	s_barrier
	ds_read_b128 v[73:76], v55
	ds_read_b128 v[77:80], v42
	ds_read_b128 v[81:84], v42 offset:512
	ds_read_b128 v[85:88], v42 offset:1024
	ds_read_b128 v[89:92], v42 offset:1536
	s_waitcnt lgkmcnt(3)
	;;#ASMSTART
	v_dot2_f32_f16 v50, v73, v77, v50
	;;#ASMEND
	;;#ASMSTART
	v_dot2_f32_f16 v50, v74, v78, v50
	;;#ASMEND
	;;#ASMSTART
	v_dot2_f32_f16 v50, v75, v79, v50
	;;#ASMEND
	;;#ASMSTART
	v_dot2_f32_f16 v50, v76, v80, v50
	;;#ASMEND
	s_waitcnt lgkmcnt(2)
	;;#ASMSTART
	v_dot2_f32_f16 v49, v73, v81, v49
	;;#ASMEND
	;;#ASMSTART
	v_dot2_f32_f16 v49, v74, v82, v49
	;;#ASMEND
	;;#ASMSTART
	v_dot2_f32_f16 v49, v75, v83, v49
	;;#ASMEND
	;;#ASMSTART
	v_dot2_f32_f16 v49, v76, v84, v49
	;;#ASMEND
	s_waitcnt lgkmcnt(1)
	;;#ASMSTART
	v_dot2_f32_f16 v48, v73, v85, v48
	;;#ASMEND
	;;#ASMSTART
	v_dot2_f32_f16 v48, v74, v86, v48
	;;#ASMEND
	;;#ASMSTART
	v_dot2_f32_f16 v48, v75, v87, v48
	;;#ASMEND
	;;#ASMSTART
	v_dot2_f32_f16 v48, v76, v88, v48
	;;#ASMEND
	s_waitcnt lgkmcnt(0)
	;;#ASMSTART
	v_dot2_f32_f16 v47, v73, v89, v47
	;;#ASMEND
	;;#ASMSTART
	v_dot2_f32_f16 v47, v74, v90, v47
	;;#ASMEND
	;;#ASMSTART
	v_dot2_f32_f16 v47, v75, v91, v47
	;;#ASMEND
	;;#ASMSTART
	v_dot2_f32_f16 v47, v76, v92, v47
	;;#ASMEND
	ds_read_b128 v[73:76], v55 offset:16
	ds_read_b128 v[77:80], v42 offset:16
	ds_read_b128 v[81:84], v42 offset:528
	ds_read_b128 v[85:88], v42 offset:1040
	ds_read_b128 v[89:92], v42 offset:1552
	s_waitcnt lgkmcnt(3)
	;;#ASMSTART
	v_dot2_f32_f16 v50, v73, v77, v50
	;;#ASMEND
	;;#ASMSTART
	v_dot2_f32_f16 v50, v74, v78, v50
	;;#ASMEND
	;;#ASMSTART
	v_dot2_f32_f16 v50, v75, v79, v50
	;;#ASMEND
	;;#ASMSTART
	v_dot2_f32_f16 v50, v76, v80, v50
	;;#ASMEND
	s_waitcnt lgkmcnt(2)
	;;#ASMSTART
	v_dot2_f32_f16 v49, v73, v81, v49
	;;#ASMEND
	;;#ASMSTART
	v_dot2_f32_f16 v49, v74, v82, v49
	;;#ASMEND
	;;#ASMSTART
	v_dot2_f32_f16 v49, v75, v83, v49
	;;#ASMEND
	;;#ASMSTART
	v_dot2_f32_f16 v49, v76, v84, v49
	;;#ASMEND
	s_waitcnt lgkmcnt(1)
	;;#ASMSTART
	v_dot2_f32_f16 v48, v73, v85, v48
	;;#ASMEND
	;;#ASMSTART
	v_dot2_f32_f16 v48, v74, v86, v48
	;;#ASMEND
	;;#ASMSTART
	v_dot2_f32_f16 v48, v75, v87, v48
	;;#ASMEND
	;;#ASMSTART
	v_dot2_f32_f16 v48, v76, v88, v48
	;;#ASMEND
	s_waitcnt lgkmcnt(0)
	;;#ASMSTART
	v_dot2_f32_f16 v47, v73, v89, v47
	;;#ASMEND
	;;#ASMSTART
	v_dot2_f32_f16 v47, v74, v90, v47
	;;#ASMEND
	;;#ASMSTART
	v_dot2_f32_f16 v47, v75, v91, v47
	;;#ASMEND
	;;#ASMSTART
	v_dot2_f32_f16 v47, v76, v92, v47
	;;#ASMEND
	ds_read_b128 v[73:76], v55 offset:32
	ds_read_b128 v[77:80], v42 offset:32
	;; [unrolled: 57-line block ×15, first 2 shown]
	ds_read_b128 v[81:84], v42 offset:752
	ds_read_b128 v[85:88], v42 offset:1264
	ds_read_b128 v[89:92], v42 offset:1776
	s_waitcnt lgkmcnt(3)
	;;#ASMSTART
	v_dot2_f32_f16 v50, v73, v77, v50
	;;#ASMEND
	;;#ASMSTART
	v_dot2_f32_f16 v50, v74, v78, v50
	;;#ASMEND
	;;#ASMSTART
	v_dot2_f32_f16 v50, v75, v79, v50
	;;#ASMEND
	;;#ASMSTART
	v_dot2_f32_f16 v50, v76, v80, v50
	;;#ASMEND
	s_waitcnt lgkmcnt(2)
	;;#ASMSTART
	v_dot2_f32_f16 v49, v73, v81, v49
	;;#ASMEND
	;;#ASMSTART
	v_dot2_f32_f16 v49, v74, v82, v49
	;;#ASMEND
	;;#ASMSTART
	v_dot2_f32_f16 v49, v75, v83, v49
	;;#ASMEND
	;;#ASMSTART
	v_dot2_f32_f16 v49, v76, v84, v49
	;;#ASMEND
	s_waitcnt lgkmcnt(1)
	;;#ASMSTART
	v_dot2_f32_f16 v48, v73, v85, v48
	;;#ASMEND
	;;#ASMSTART
	v_dot2_f32_f16 v48, v74, v86, v48
	;;#ASMEND
	;;#ASMSTART
	v_dot2_f32_f16 v48, v75, v87, v48
	;;#ASMEND
	;;#ASMSTART
	v_dot2_f32_f16 v48, v76, v88, v48
	;;#ASMEND
	s_waitcnt lgkmcnt(0)
	;;#ASMSTART
	v_dot2_f32_f16 v47, v73, v89, v47
	;;#ASMEND
	;;#ASMSTART
	v_dot2_f32_f16 v47, v74, v90, v47
	;;#ASMEND
	;;#ASMSTART
	v_dot2_f32_f16 v47, v75, v91, v47
	;;#ASMEND
	;;#ASMSTART
	v_dot2_f32_f16 v47, v76, v92, v47
	;;#ASMEND
	s_barrier
	global_load_dwordx4 v[73:76], v[2:3], off offset:256
	s_nop 0
	global_load_dwordx4 v[2:5], v[4:5], off offset:256
	s_waitcnt vmcnt(1)
	ds_write_b128 v53, v[73:76]
	s_waitcnt vmcnt(0)
	ds_write_b128 v54, v[2:5]
	s_waitcnt lgkmcnt(0)
	s_barrier
	ds_read_b128 v[2:5], v55
	ds_read_b128 v[73:76], v42 offset:256
	ds_read_b128 v[77:80], v42 offset:768
	ds_read_b128 v[81:84], v42 offset:1280
	ds_read_b128 v[85:88], v42 offset:1792
	s_waitcnt lgkmcnt(3)
	;;#ASMSTART
	v_dot2_f32_f16 v50, v2, v73, v50
	;;#ASMEND
	;;#ASMSTART
	v_dot2_f32_f16 v50, v3, v74, v50
	;;#ASMEND
	;;#ASMSTART
	v_dot2_f32_f16 v50, v4, v75, v50
	;;#ASMEND
	;;#ASMSTART
	v_dot2_f32_f16 v50, v5, v76, v50
	;;#ASMEND
	s_waitcnt lgkmcnt(2)
	;;#ASMSTART
	v_dot2_f32_f16 v49, v2, v77, v49
	;;#ASMEND
	;;#ASMSTART
	v_dot2_f32_f16 v49, v3, v78, v49
	;;#ASMEND
	;;#ASMSTART
	v_dot2_f32_f16 v49, v4, v79, v49
	;;#ASMEND
	;;#ASMSTART
	v_dot2_f32_f16 v49, v5, v80, v49
	;;#ASMEND
	s_waitcnt lgkmcnt(1)
	;;#ASMSTART
	v_dot2_f32_f16 v48, v2, v81, v48
	;;#ASMEND
	;;#ASMSTART
	v_dot2_f32_f16 v48, v3, v82, v48
	;;#ASMEND
	;;#ASMSTART
	v_dot2_f32_f16 v48, v4, v83, v48
	;;#ASMEND
	;;#ASMSTART
	v_dot2_f32_f16 v48, v5, v84, v48
	;;#ASMEND
	s_waitcnt lgkmcnt(0)
	;;#ASMSTART
	v_dot2_f32_f16 v47, v2, v85, v47
	;;#ASMEND
	;;#ASMSTART
	v_dot2_f32_f16 v47, v3, v86, v47
	;;#ASMEND
	;;#ASMSTART
	v_dot2_f32_f16 v47, v4, v87, v47
	;;#ASMEND
	;;#ASMSTART
	v_dot2_f32_f16 v47, v5, v88, v47
	;;#ASMEND
	ds_read_b128 v[2:5], v55 offset:16
	ds_read_b128 v[73:76], v42 offset:272
	ds_read_b128 v[77:80], v42 offset:784
	ds_read_b128 v[81:84], v42 offset:1296
	ds_read_b128 v[85:88], v42 offset:1808
	s_waitcnt lgkmcnt(3)
	;;#ASMSTART
	v_dot2_f32_f16 v50, v2, v73, v50
	;;#ASMEND
	;;#ASMSTART
	v_dot2_f32_f16 v50, v3, v74, v50
	;;#ASMEND
	;;#ASMSTART
	v_dot2_f32_f16 v50, v4, v75, v50
	;;#ASMEND
	;;#ASMSTART
	v_dot2_f32_f16 v50, v5, v76, v50
	;;#ASMEND
	s_waitcnt lgkmcnt(2)
	;;#ASMSTART
	v_dot2_f32_f16 v49, v2, v77, v49
	;;#ASMEND
	;;#ASMSTART
	v_dot2_f32_f16 v49, v3, v78, v49
	;;#ASMEND
	;;#ASMSTART
	v_dot2_f32_f16 v49, v4, v79, v49
	;;#ASMEND
	;;#ASMSTART
	v_dot2_f32_f16 v49, v5, v80, v49
	;;#ASMEND
	s_waitcnt lgkmcnt(1)
	;;#ASMSTART
	v_dot2_f32_f16 v48, v2, v81, v48
	;;#ASMEND
	;;#ASMSTART
	v_dot2_f32_f16 v48, v3, v82, v48
	;;#ASMEND
	;;#ASMSTART
	v_dot2_f32_f16 v48, v4, v83, v48
	;;#ASMEND
	;;#ASMSTART
	v_dot2_f32_f16 v48, v5, v84, v48
	;;#ASMEND
	s_waitcnt lgkmcnt(0)
	;;#ASMSTART
	v_dot2_f32_f16 v47, v2, v85, v47
	;;#ASMEND
	;;#ASMSTART
	v_dot2_f32_f16 v47, v3, v86, v47
	;;#ASMEND
	;;#ASMSTART
	v_dot2_f32_f16 v47, v4, v87, v47
	;;#ASMEND
	;;#ASMSTART
	v_dot2_f32_f16 v47, v5, v88, v47
	;;#ASMEND
	ds_read_b128 v[2:5], v55 offset:32
	;; [unrolled: 57-line block ×15, first 2 shown]
	ds_read_b128 v[73:76], v42 offset:496
	ds_read_b128 v[77:80], v42 offset:1008
	;; [unrolled: 1-line block ×4, first 2 shown]
	s_waitcnt lgkmcnt(3)
	;;#ASMSTART
	v_dot2_f32_f16 v50, v2, v73, v50
	;;#ASMEND
	;;#ASMSTART
	v_dot2_f32_f16 v50, v3, v74, v50
	;;#ASMEND
	;;#ASMSTART
	v_dot2_f32_f16 v50, v4, v75, v50
	;;#ASMEND
	;;#ASMSTART
	v_dot2_f32_f16 v50, v5, v76, v50
	;;#ASMEND
	s_waitcnt lgkmcnt(2)
	;;#ASMSTART
	v_dot2_f32_f16 v49, v2, v77, v49
	;;#ASMEND
	;;#ASMSTART
	v_dot2_f32_f16 v49, v3, v78, v49
	;;#ASMEND
	;;#ASMSTART
	v_dot2_f32_f16 v49, v4, v79, v49
	;;#ASMEND
	;;#ASMSTART
	v_dot2_f32_f16 v49, v5, v80, v49
	;;#ASMEND
	;; [unrolled: 13-line block ×3, first 2 shown]
	s_waitcnt lgkmcnt(0)
	;;#ASMSTART
	v_dot2_f32_f16 v47, v2, v85, v47
	;;#ASMEND
	;;#ASMSTART
	v_dot2_f32_f16 v47, v3, v86, v47
	;;#ASMEND
	;; [unrolled: 3-line block ×3, first 2 shown]
	v_add_u32_e32 v3, s16, v0
	v_mov_b32_e32 v4, 0
	;;#ASMSTART
	v_dot2_f32_f16 v47, v5, v88, v47
	;;#ASMEND
	s_cbranch_vccnz .LBB42_10
; %bb.9:                                ;   in Loop: Header=BB42_8 Depth=1
	v_add_u32_e32 v4, v3, v56
	v_ashrrev_i32_e32 v5, 31, v4
	v_lshlrev_b64 v[4:5], 1, v[4:5]
	v_mov_b32_e32 v2, s41
	v_add_co_u32_e32 v4, vcc, s40, v4
	v_addc_co_u32_e32 v5, vcc, v2, v5, vcc
	global_load_ushort v2, v[4:5], off
	s_waitcnt vmcnt(0)
	v_cvt_f32_f16_e32 v2, v2
	v_mul_f32_e32 v4, v27, v2
.LBB42_10:                              ;   in Loop: Header=BB42_8 Depth=1
	v_and_b32_e32 v2, 0x60, v15
	v_add_u32_e32 v5, 32, v2
	v_xor_b32_e32 v2, 16, v15
	v_cmp_lt_i32_e32 vcc, v2, v5
	v_add_f32_e32 v73, v50, v4
	v_cndmask_b32_e32 v2, v15, v2, vcc
	v_add_f32_e32 v4, 0x40051340, v73
	v_max_f32_e32 v50, v72, v72
	v_lshlrev_b32_e32 v2, 2, v2
	v_max_f32_e32 v4, v50, v4
	ds_bpermute_b32 v50, v2, v4
	v_xor_b32_e32 v74, 8, v15
	v_cmp_lt_i32_e32 vcc, v74, v5
	v_cndmask_b32_e32 v74, v15, v74, vcc
	v_lshlrev_b32_e32 v76, 2, v74
	s_waitcnt lgkmcnt(0)
	v_max_f32_e32 v50, v50, v50
	v_max_f32_e32 v50, v4, v50
	ds_bpermute_b32 v74, v76, v50
	v_xor_b32_e32 v4, 4, v15
	v_cmp_lt_i32_e32 vcc, v4, v5
	v_cndmask_b32_e32 v4, v15, v4, vcc
	v_lshlrev_b32_e32 v4, 2, v4
	s_waitcnt lgkmcnt(0)
	v_max_f32_e32 v74, v74, v74
	;; [unrolled: 8-line block ×4, first 2 shown]
	v_max_f32_e32 v77, v50, v74
	ds_bpermute_b32 v78, v5, v77
	v_mov_b32_e32 v50, 0
	s_and_b64 vcc, exec, s[6:7]
	v_mov_b32_e32 v74, 0
	s_cbranch_vccnz .LBB42_12
; %bb.11:                               ;   in Loop: Header=BB42_8 Depth=1
	v_add_u32_e32 v79, v3, v57
	v_ashrrev_i32_e32 v80, 31, v79
	v_lshlrev_b64 v[79:80], 1, v[79:80]
	v_mov_b32_e32 v74, s41
	v_add_co_u32_e32 v79, vcc, s40, v79
	v_addc_co_u32_e32 v80, vcc, v74, v80, vcc
	global_load_ushort v74, v[79:80], off
	s_waitcnt vmcnt(0)
	v_cvt_f32_f16_e32 v74, v74
	v_mul_f32_e32 v74, v27, v74
.LBB42_12:                              ;   in Loop: Header=BB42_8 Depth=1
	v_add_f32_e32 v74, v49, v74
	v_add_f32_e32 v49, 0x40051340, v74
	v_max_f32_e32 v79, v70, v70
	v_max_f32_e32 v49, v79, v49
	ds_bpermute_b32 v79, v2, v49
	s_and_b64 vcc, exec, s[6:7]
	s_waitcnt lgkmcnt(0)
	v_max_f32_e32 v79, v79, v79
	v_max_f32_e32 v49, v49, v79
	ds_bpermute_b32 v79, v76, v49
	s_waitcnt lgkmcnt(0)
	v_max_f32_e32 v79, v79, v79
	v_max_f32_e32 v49, v49, v79
	ds_bpermute_b32 v79, v4, v49
	;; [unrolled: 4-line block ×4, first 2 shown]
	s_cbranch_vccnz .LBB42_14
; %bb.13:                               ;   in Loop: Header=BB42_8 Depth=1
	v_add_u32_e32 v80, v3, v58
	v_ashrrev_i32_e32 v81, 31, v80
	v_lshlrev_b64 v[80:81], 1, v[80:81]
	v_mov_b32_e32 v50, s41
	v_add_co_u32_e32 v80, vcc, s40, v80
	v_addc_co_u32_e32 v81, vcc, v50, v81, vcc
	global_load_ushort v50, v[80:81], off
	s_waitcnt vmcnt(0)
	v_cvt_f32_f16_e32 v50, v50
	v_mul_f32_e32 v50, v27, v50
.LBB42_14:                              ;   in Loop: Header=BB42_8 Depth=1
	v_add_f32_e32 v50, v48, v50
	v_add_f32_e32 v48, 0x40051340, v50
	v_max_f32_e32 v80, v68, v68
	v_max_f32_e32 v48, v80, v48
	ds_bpermute_b32 v80, v2, v48
	s_and_b64 vcc, exec, s[6:7]
	s_waitcnt lgkmcnt(0)
	v_max_f32_e32 v80, v80, v80
	v_max_f32_e32 v48, v48, v80
	ds_bpermute_b32 v80, v76, v48
	s_waitcnt lgkmcnt(0)
	v_max_f32_e32 v80, v80, v80
	v_max_f32_e32 v48, v48, v80
	ds_bpermute_b32 v80, v4, v48
	;; [unrolled: 4-line block ×4, first 2 shown]
	s_cbranch_vccnz .LBB42_16
; %bb.15:                               ;   in Loop: Header=BB42_8 Depth=1
	v_add_u32_e32 v81, v3, v59
	v_ashrrev_i32_e32 v82, 31, v81
	v_lshlrev_b64 v[81:82], 1, v[81:82]
	v_mov_b32_e32 v3, s41
	v_add_co_u32_e32 v81, vcc, s40, v81
	v_addc_co_u32_e32 v82, vcc, v3, v82, vcc
	global_load_ushort v3, v[81:82], off
	s_waitcnt vmcnt(0)
	v_cvt_f32_f16_e32 v3, v3
	v_mul_f32_e32 v3, v27, v3
	s_branch .LBB42_17
.LBB42_16:                              ;   in Loop: Header=BB42_8 Depth=1
	v_mov_b32_e32 v3, 0
.LBB42_17:                              ;   in Loop: Header=BB42_8 Depth=1
	v_add_f32_e32 v47, v47, v3
	v_add_f32_e32 v3, 0x40051340, v47
	v_max_f32_e32 v81, v66, v66
	v_max_f32_e32 v3, v81, v3
	ds_bpermute_b32 v2, v2, v3
	v_max_f32_e32 v79, v79, v79
	v_max_f32_e32 v49, v49, v49
	;; [unrolled: 1-line block ×3, first 2 shown]
	s_waitcnt lgkmcnt(1)
	v_max_f32_e32 v80, v80, v80
	s_waitcnt lgkmcnt(0)
	v_max_f32_e32 v2, v2, v2
	v_max_f32_e32 v2, v3, v2
	ds_bpermute_b32 v3, v76, v2
	v_max_f32_e32 v76, v78, v78
	v_max_f32_e32 v48, v48, v48
	s_mul_hi_i32 s45, s16, s8
	s_mul_i32 s44, s16, s8
	s_waitcnt lgkmcnt(0)
	v_max_f32_e32 v3, v3, v3
	v_max_f32_e32 v78, v2, v3
	ds_bpermute_b32 v81, v4, v78
	v_max_f32_e32 v3, v49, v79
	v_max_f32_e32 v2, v77, v76
	;; [unrolled: 1-line block ×3, first 2 shown]
	v_sub_f32_e32 v48, v72, v2
	s_waitcnt lgkmcnt(0)
	v_max_f32_e32 v49, v81, v81
	v_max_f32_e32 v49, v78, v49
	ds_bpermute_b32 v72, v75, v49
	v_mul_f32_e32 v75, 0x3fb8aa3b, v48
	v_fma_f32 v76, v48, s23, -v75
	v_rndne_f32_e32 v77, v75
	v_fmac_f32_e32 v76, 0x32a5705f, v48
	s_waitcnt lgkmcnt(0)
	v_max_f32_e32 v72, v72, v72
	v_max_f32_e32 v49, v49, v72
	ds_bpermute_b32 v5, v5, v49
	v_sub_f32_e32 v72, v75, v77
	v_add_f32_e32 v72, v72, v76
	v_cvt_i32_f32_e32 v75, v77
	v_exp_f32_e32 v72, v72
	s_waitcnt lgkmcnt(0)
	v_max_f32_e32 v5, v5, v5
	v_max_f32_e32 v5, v49, v5
	v_cmp_ngt_f32_e32 vcc, s36, v48
	v_ldexp_f32 v49, v72, v75
	v_sub_f32_e32 v72, v73, v2
	v_mul_f32_e32 v73, 0x3fb8aa3b, v72
	v_fma_f32 v75, v72, s23, -v73
	v_rndne_f32_e32 v76, v73
	v_fmac_f32_e32 v75, 0x32a5705f, v72
	v_sub_f32_e32 v73, v73, v76
	v_add_f32_e32 v73, v73, v75
	v_exp_f32_e32 v73, v73
	v_cvt_i32_f32_e32 v75, v76
	v_cndmask_b32_e32 v49, 0, v49, vcc
	v_cmp_nlt_f32_e32 vcc, s37, v48
	v_cndmask_b32_e32 v48, v64, v49, vcc
	v_ldexp_f32 v49, v73, v75
	v_cmp_ngt_f32_e32 vcc, s36, v72
	v_cndmask_b32_e32 v49, 0, v49, vcc
	v_cvt_f16_f32_e32 v73, v48
	v_cmp_nlt_f32_e32 vcc, s37, v72
	v_cndmask_b32_e32 v49, v64, v49, vcc
	v_cvt_f16_f32_e32 v80, v49
	v_fmac_f32_e32 v49, v71, v48
	v_sub_f32_e32 v48, v70, v3
	v_mul_f32_e32 v70, 0x3fb8aa3b, v48
	v_mul_u32_u24_e32 v71, 0x10001, v73
	v_fma_f32 v72, v48, s23, -v70
	v_rndne_f32_e32 v73, v70
	v_fmac_f32_e32 v72, 0x32a5705f, v48
	v_sub_f32_e32 v70, v70, v73
	v_add_f32_e32 v70, v70, v72
	v_exp_f32_e32 v70, v70
	v_cvt_i32_f32_e32 v72, v73
	v_pk_mul_f16 v88, v46, v71
	v_sub_f32_e32 v46, v74, v3
	v_pk_mul_f16 v89, v44, v71
	v_pk_mul_f16 v44, v45, v71
	v_ldexp_f32 v45, v70, v72
	v_mul_f32_e32 v70, 0x3fb8aa3b, v46
	v_fma_f32 v72, v46, s23, -v70
	v_rndne_f32_e32 v73, v70
	v_fmac_f32_e32 v72, 0x32a5705f, v46
	v_sub_f32_e32 v70, v70, v73
	v_add_f32_e32 v70, v70, v72
	v_exp_f32_e32 v70, v70
	v_cvt_i32_f32_e32 v72, v73
	v_cmp_ngt_f32_e32 vcc, s36, v48
	v_cndmask_b32_e32 v45, 0, v45, vcc
	v_cmp_nlt_f32_e32 vcc, s37, v48
	v_cndmask_b32_e32 v45, v64, v45, vcc
	v_ldexp_f32 v48, v70, v72
	v_cmp_ngt_f32_e32 vcc, s36, v46
	s_lshl_b64 s[44:45], s[44:45], 2
	v_cndmask_b32_e32 v48, 0, v48, vcc
	v_cmp_nlt_f32_e32 vcc, s37, v46
	s_add_u32 s39, s14, s44
	v_cndmask_b32_e32 v48, v64, v48, vcc
	s_addc_u32 s43, s15, s45
	v_cvt_f16_f32_e32 v70, v45
	v_cvt_f16_f32_e32 v81, v48
	v_fmac_f32_e32 v48, v69, v45
	v_mov_b32_e32 v45, s43
	v_add_co_u32_e32 v46, vcc, s39, v10
	v_addc_co_u32_e32 v69, vcc, v45, v11, vcc
	v_add_co_u32_e32 v45, vcc, v46, v25
	v_addc_co_u32_e32 v46, vcc, 0, v69, vcc
	v_mul_u32_u24_e32 v90, 0x10001, v70
	v_mov_b32_e32 v69, s43
	v_add_co_u32_e32 v70, vcc, s39, v12
	v_addc_co_u32_e32 v72, vcc, v69, v13, vcc
	v_add_co_u32_e32 v69, vcc, v70, v25
	s_barrier
	v_addc_co_u32_e32 v70, vcc, 0, v72, vcc
	global_load_dwordx4 v[72:75], v[45:46], off
	global_load_dwordx4 v[76:79], v[69:70], off
	v_sub_f32_e32 v45, v68, v4
	v_mul_f32_e32 v46, 0x3fb8aa3b, v45
	v_fma_f32 v68, v45, s23, -v46
	v_rndne_f32_e32 v69, v46
	v_fmac_f32_e32 v68, 0x32a5705f, v45
	v_sub_f32_e32 v46, v46, v69
	v_add_f32_e32 v46, v46, v68
	v_exp_f32_e32 v46, v46
	v_cvt_i32_f32_e32 v68, v69
	v_sub_f32_e32 v50, v50, v4
	v_cmp_ngt_f32_e32 vcc, s36, v45
	v_sub_f32_e32 v66, v66, v5
	v_ldexp_f32 v46, v46, v68
	v_mul_f32_e32 v68, 0x3fb8aa3b, v50
	v_fma_f32 v69, v50, s23, -v68
	v_rndne_f32_e32 v70, v68
	v_fmac_f32_e32 v69, 0x32a5705f, v50
	v_sub_f32_e32 v68, v68, v70
	v_add_f32_e32 v68, v68, v69
	v_exp_f32_e32 v68, v68
	v_cvt_i32_f32_e32 v69, v70
	v_cndmask_b32_e32 v46, 0, v46, vcc
	v_cmp_nlt_f32_e32 vcc, s37, v45
	v_cndmask_b32_e32 v45, v64, v46, vcc
	v_ldexp_f32 v46, v68, v69
	v_cmp_ngt_f32_e32 vcc, s36, v50
	v_cvt_f16_f32_e32 v68, v45
	v_cndmask_b32_e32 v46, 0, v46, vcc
	v_cmp_nlt_f32_e32 vcc, s37, v50
	v_cndmask_b32_e32 v50, v64, v46, vcc
	v_cvt_f16_f32_e32 v46, v50
	v_fmac_f32_e32 v50, v67, v45
	v_mul_f32_e32 v67, 0x3fb8aa3b, v66
	v_mul_u32_u24_e32 v45, 0x10001, v68
	v_fma_f32 v68, v66, s23, -v67
	v_rndne_f32_e32 v69, v67
	v_fmac_f32_e32 v68, 0x32a5705f, v66
	v_sub_f32_e32 v67, v67, v69
	v_add_f32_e32 v67, v67, v68
	v_exp_f32_e32 v67, v67
	v_cvt_i32_f32_e32 v68, v69
	v_sub_f32_e32 v47, v47, v5
	v_cmp_ngt_f32_e32 vcc, s36, v66
	v_pk_mul_f16 v41, v41, v90
	v_ldexp_f32 v67, v67, v68
	v_mul_f32_e32 v68, 0x3fb8aa3b, v47
	v_fma_f32 v69, v47, s23, -v68
	v_rndne_f32_e32 v70, v68
	v_fmac_f32_e32 v69, 0x32a5705f, v47
	v_sub_f32_e32 v68, v68, v70
	v_add_f32_e32 v68, v68, v69
	v_exp_f32_e32 v68, v68
	v_cvt_i32_f32_e32 v69, v70
	v_cndmask_b32_e32 v67, 0, v67, vcc
	v_cmp_nlt_f32_e32 vcc, s37, v66
	v_cndmask_b32_e32 v66, v64, v67, vcc
	v_ldexp_f32 v67, v68, v69
	v_cmp_ngt_f32_e32 vcc, s36, v47
	v_cndmask_b32_e32 v67, 0, v67, vcc
	v_cmp_nlt_f32_e32 vcc, s37, v47
	v_cvt_f16_f32_e32 v68, v66
	v_cndmask_b32_e32 v47, v64, v67, vcc
	v_cvt_f16_f32_e32 v67, v47
	v_fmac_f32_e32 v47, v65, v66
	v_mul_u32_u24_e32 v65, 0x10001, v68
	v_pk_mul_f16 v69, v30, v65
	v_pk_mul_f16 v70, v29, v65
	;; [unrolled: 1-line block ×3, first 2 shown]
	v_add_u32_e32 v30, v60, v26
	v_pack_b32_f16 v29, v46, v67
	v_pack_b32_f16 v28, v80, v81
	v_pk_mul_f16 v31, v31, v65
	ds_write_b64 v30, v[28:29]
	s_waitcnt vmcnt(1)
	ds_write_b128 v61, v[72:75]
	s_waitcnt vmcnt(0)
	ds_write_b128 v62, v[76:79]
	s_waitcnt lgkmcnt(0)
	s_barrier
	v_add_u32_e32 v30, 0x4000, v26
	ds_read_b128 v[65:68], v60
	ds_read2_b64 v[72:75], v30 offset1:32
	ds_read_b128 v[76:79], v60 offset:16
	ds_read_b128 v[80:83], v60 offset:32
	;; [unrolled: 1-line block ×3, first 2 shown]
	s_waitcnt lgkmcnt(4)
	v_mul_u32_u24_sdwa v28, v65, s38 dst_sel:DWORD dst_unused:UNUSED_PAD src0_sel:WORD_0 src1_sel:DWORD
	v_mul_u32_u24_sdwa v29, v65, s38 dst_sel:DWORD dst_unused:UNUSED_PAD src0_sel:WORD_1 src1_sel:DWORD
	v_mul_u32_u24_sdwa v46, v66, s38 dst_sel:DWORD dst_unused:UNUSED_PAD src0_sel:WORD_0 src1_sel:DWORD
	v_mul_u32_u24_sdwa v65, v66, s38 dst_sel:DWORD dst_unused:UNUSED_PAD src0_sel:WORD_1 src1_sel:DWORD
	s_waitcnt lgkmcnt(3)
	v_pk_mul_f16 v66, v72, v28
	v_pk_fma_f16 v66, v38, v71, v66
	v_pk_mul_f16 v38, v72, v29
	v_pk_mul_f16 v39, v39, v90
	v_pk_mul_f16 v40, v40, v90
	v_pk_mul_f16 v36, v36, v45
	v_pk_mul_f16 v35, v35, v45
	v_pk_fma_f16 v71, v37, v90, v38
	v_pk_mul_f16 v37, v72, v46
	v_pk_mul_f16 v33, v33, v45
	v_pk_fma_f16 v32, v32, v45, v37
	v_pk_fma_f16 v45, v72, v65, v69
	;; [unrolled: 1-line block ×7, first 2 shown]
	ds_read2_b64 v[35:38], v30 offset0:64 offset1:96
	v_pk_fma_f16 v69, v73, v28, v88
	v_pk_fma_f16 v31, v73, v65, v31
	v_pk_fma_f16 v73, v74, v28, v89
	v_pk_fma_f16 v33, v74, v46, v33
	v_pk_fma_f16 v70, v74, v65, v70
	v_pk_fma_f16 v28, v75, v28, v44
	v_pk_fma_f16 v44, v75, v65, v91
	v_mul_u32_u24_sdwa v46, v67, s38 dst_sel:DWORD dst_unused:UNUSED_PAD src0_sel:WORD_0 src1_sel:DWORD
	v_mul_u32_u24_sdwa v65, v67, s38 dst_sel:DWORD dst_unused:UNUSED_PAD src0_sel:WORD_1 src1_sel:DWORD
	v_mul_u32_u24_sdwa v67, v68, s38 dst_sel:DWORD dst_unused:UNUSED_PAD src0_sel:WORD_0 src1_sel:DWORD
	v_mul_u32_u24_sdwa v68, v68, s38 dst_sel:DWORD dst_unused:UNUSED_PAD src0_sel:WORD_1 src1_sel:DWORD
	s_waitcnt lgkmcnt(0)
	v_pk_fma_f16 v66, v35, v46, v66
	v_pk_fma_f16 v71, v35, v65, v71
	;; [unrolled: 1-line block ×16, first 2 shown]
	ds_read2_b64 v[35:38], v30 offset0:128 offset1:160
	v_mul_u32_u24_sdwa v46, v76, s38 dst_sel:DWORD dst_unused:UNUSED_PAD src0_sel:WORD_0 src1_sel:DWORD
	v_mul_u32_u24_sdwa v65, v76, s38 dst_sel:DWORD dst_unused:UNUSED_PAD src0_sel:WORD_1 src1_sel:DWORD
	v_mul_u32_u24_sdwa v67, v77, s38 dst_sel:DWORD dst_unused:UNUSED_PAD src0_sel:WORD_0 src1_sel:DWORD
	v_mul_u32_u24_sdwa v68, v77, s38 dst_sel:DWORD dst_unused:UNUSED_PAD src0_sel:WORD_1 src1_sel:DWORD
	s_waitcnt lgkmcnt(0)
	v_pk_fma_f16 v66, v35, v46, v66
	v_pk_fma_f16 v71, v35, v65, v71
	v_pk_fma_f16 v32, v35, v67, v32
	v_pk_fma_f16 v45, v35, v68, v45
	v_pk_fma_f16 v69, v36, v46, v69
	v_pk_fma_f16 v41, v36, v65, v41
	v_pk_fma_f16 v72, v36, v67, v72
	v_pk_fma_f16 v31, v36, v68, v31
	v_pk_fma_f16 v73, v37, v46, v73
	v_pk_fma_f16 v39, v37, v65, v39
	v_pk_fma_f16 v33, v37, v67, v33
	v_pk_fma_f16 v70, v37, v68, v70
	v_pk_fma_f16 v28, v38, v46, v28
	v_pk_fma_f16 v29, v38, v65, v29
	v_pk_fma_f16 v40, v38, v67, v40
	v_pk_fma_f16 v44, v38, v68, v44
	ds_read2_b64 v[35:38], v30 offset0:192 offset1:224
	v_mul_u32_u24_sdwa v68, v79, s38 dst_sel:DWORD dst_unused:UNUSED_PAD src0_sel:WORD_1 src1_sel:DWORD
	v_mul_u32_u24_sdwa v46, v78, s38 dst_sel:DWORD dst_unused:UNUSED_PAD src0_sel:WORD_0 src1_sel:DWORD
	v_mul_u32_u24_sdwa v65, v78, s38 dst_sel:DWORD dst_unused:UNUSED_PAD src0_sel:WORD_1 src1_sel:DWORD
	v_mul_u32_u24_sdwa v67, v79, s38 dst_sel:DWORD dst_unused:UNUSED_PAD src0_sel:WORD_0 src1_sel:DWORD
	s_waitcnt lgkmcnt(0)
	v_pk_fma_f16 v74, v36, v68, v31
	v_add_u32_e32 v31, 0x4800, v26
	v_pk_fma_f16 v66, v35, v46, v66
	v_pk_fma_f16 v71, v35, v65, v71
	;; [unrolled: 1-line block ×15, first 2 shown]
	ds_read2_b64 v[35:38], v31 offset1:32
	v_mul_u32_u24_sdwa v46, v80, s38 dst_sel:DWORD dst_unused:UNUSED_PAD src0_sel:WORD_0 src1_sel:DWORD
	v_mul_u32_u24_sdwa v65, v80, s38 dst_sel:DWORD dst_unused:UNUSED_PAD src0_sel:WORD_1 src1_sel:DWORD
	v_mul_u32_u24_sdwa v67, v81, s38 dst_sel:DWORD dst_unused:UNUSED_PAD src0_sel:WORD_0 src1_sel:DWORD
	v_mul_u32_u24_sdwa v68, v81, s38 dst_sel:DWORD dst_unused:UNUSED_PAD src0_sel:WORD_1 src1_sel:DWORD
	s_waitcnt lgkmcnt(0)
	v_pk_fma_f16 v66, v35, v46, v66
	v_pk_fma_f16 v71, v35, v65, v71
	v_pk_fma_f16 v32, v35, v67, v32
	v_pk_fma_f16 v45, v35, v68, v45
	v_pk_fma_f16 v69, v36, v46, v69
	v_pk_fma_f16 v41, v36, v65, v41
	v_pk_fma_f16 v72, v36, v67, v72
	v_pk_fma_f16 v74, v36, v68, v74
	v_pk_fma_f16 v73, v37, v46, v73
	v_pk_fma_f16 v39, v37, v65, v39
	v_pk_fma_f16 v33, v37, v67, v33
	v_pk_fma_f16 v70, v37, v68, v70
	v_pk_fma_f16 v28, v38, v46, v28
	v_pk_fma_f16 v29, v38, v65, v29
	v_pk_fma_f16 v40, v38, v67, v40
	v_pk_fma_f16 v44, v38, v68, v44
	ds_read2_b64 v[35:38], v31 offset0:64 offset1:96
	v_mul_u32_u24_sdwa v46, v82, s38 dst_sel:DWORD dst_unused:UNUSED_PAD src0_sel:WORD_0 src1_sel:DWORD
	v_mul_u32_u24_sdwa v65, v82, s38 dst_sel:DWORD dst_unused:UNUSED_PAD src0_sel:WORD_1 src1_sel:DWORD
	v_mul_u32_u24_sdwa v67, v83, s38 dst_sel:DWORD dst_unused:UNUSED_PAD src0_sel:WORD_0 src1_sel:DWORD
	v_mul_u32_u24_sdwa v68, v83, s38 dst_sel:DWORD dst_unused:UNUSED_PAD src0_sel:WORD_1 src1_sel:DWORD
	s_waitcnt lgkmcnt(0)
	v_pk_fma_f16 v66, v35, v46, v66
	v_pk_fma_f16 v71, v35, v65, v71
	v_pk_fma_f16 v32, v35, v67, v32
	v_pk_fma_f16 v45, v35, v68, v45
	v_pk_fma_f16 v69, v36, v46, v69
	v_pk_fma_f16 v41, v36, v65, v41
	v_pk_fma_f16 v72, v36, v67, v72
	v_pk_fma_f16 v74, v36, v68, v74
	v_pk_fma_f16 v73, v37, v46, v73
	v_pk_fma_f16 v39, v37, v65, v39
	v_pk_fma_f16 v33, v37, v67, v33
	v_pk_fma_f16 v70, v37, v68, v70
	v_pk_fma_f16 v28, v38, v46, v28
	v_pk_fma_f16 v29, v38, v65, v29
	v_pk_fma_f16 v40, v38, v67, v40
	v_pk_fma_f16 v44, v38, v68, v44
	ds_read2_b64 v[35:38], v31 offset0:128 offset1:160
	;; [unrolled: 22-line block ×3, first 2 shown]
	v_mul_u32_u24_sdwa v46, v86, s38 dst_sel:DWORD dst_unused:UNUSED_PAD src0_sel:WORD_0 src1_sel:DWORD
	v_mul_u32_u24_sdwa v65, v86, s38 dst_sel:DWORD dst_unused:UNUSED_PAD src0_sel:WORD_1 src1_sel:DWORD
	v_mul_u32_u24_sdwa v67, v87, s38 dst_sel:DWORD dst_unused:UNUSED_PAD src0_sel:WORD_0 src1_sel:DWORD
	v_mul_u32_u24_sdwa v75, v87, s38 dst_sel:DWORD dst_unused:UNUSED_PAD src0_sel:WORD_1 src1_sel:DWORD
	s_waitcnt lgkmcnt(0)
	v_pk_fma_f16 v76, v35, v46, v66
	v_pk_fma_f16 v77, v35, v65, v71
	;; [unrolled: 1-line block ×9, first 2 shown]
	ds_read_b128 v[65:68], v60 offset:64
	v_pk_fma_f16 v78, v36, v46, v69
	v_pk_fma_f16 v73, v37, v46, v73
	;; [unrolled: 1-line block ×3, first 2 shown]
	v_add_u32_e32 v28, 0x5000, v26
	v_pk_fma_f16 v45, v35, v75, v45
	v_pk_fma_f16 v74, v36, v75, v74
	;; [unrolled: 1-line block ×4, first 2 shown]
	ds_read2_b64 v[35:38], v28 offset1:32
	ds_read_b128 v[69:72], v60 offset:80
	s_waitcnt lgkmcnt(2)
	v_mul_u32_u24_sdwa v75, v65, s38 dst_sel:DWORD dst_unused:UNUSED_PAD src0_sel:WORD_0 src1_sel:DWORD
	v_mul_u32_u24_sdwa v65, v65, s38 dst_sel:DWORD dst_unused:UNUSED_PAD src0_sel:WORD_1 src1_sel:DWORD
	v_mul_u32_u24_sdwa v81, v66, s38 dst_sel:DWORD dst_unused:UNUSED_PAD src0_sel:WORD_0 src1_sel:DWORD
	v_mul_u32_u24_sdwa v66, v66, s38 dst_sel:DWORD dst_unused:UNUSED_PAD src0_sel:WORD_1 src1_sel:DWORD
	s_waitcnt lgkmcnt(1)
	v_pk_fma_f16 v76, v35, v75, v76
	v_pk_fma_f16 v77, v35, v65, v77
	v_pk_fma_f16 v32, v35, v81, v32
	v_pk_fma_f16 v45, v35, v66, v45
	v_pk_fma_f16 v78, v36, v75, v78
	v_pk_fma_f16 v41, v36, v65, v41
	v_pk_fma_f16 v79, v36, v81, v79
	v_pk_fma_f16 v74, v36, v66, v74
	v_pk_fma_f16 v73, v37, v75, v73
	v_pk_fma_f16 v39, v37, v65, v39
	v_pk_fma_f16 v33, v37, v81, v33
	v_pk_fma_f16 v80, v37, v66, v80
	v_pk_fma_f16 v46, v38, v75, v46
	v_pk_fma_f16 v29, v38, v65, v29
	v_pk_fma_f16 v40, v38, v81, v40
	v_pk_fma_f16 v44, v38, v66, v44
	ds_read2_b64 v[35:38], v28 offset0:64 offset1:96
	v_mul_u32_u24_sdwa v65, v67, s38 dst_sel:DWORD dst_unused:UNUSED_PAD src0_sel:WORD_0 src1_sel:DWORD
	v_mul_u32_u24_sdwa v66, v67, s38 dst_sel:DWORD dst_unused:UNUSED_PAD src0_sel:WORD_1 src1_sel:DWORD
	v_mul_u32_u24_sdwa v67, v68, s38 dst_sel:DWORD dst_unused:UNUSED_PAD src0_sel:WORD_0 src1_sel:DWORD
	v_mul_u32_u24_sdwa v68, v68, s38 dst_sel:DWORD dst_unused:UNUSED_PAD src0_sel:WORD_1 src1_sel:DWORD
	s_waitcnt lgkmcnt(0)
	v_pk_fma_f16 v75, v35, v65, v76
	v_pk_fma_f16 v76, v35, v66, v77
	v_pk_fma_f16 v32, v35, v67, v32
	v_pk_fma_f16 v45, v35, v68, v45
	v_pk_fma_f16 v77, v36, v65, v78
	v_pk_fma_f16 v41, v36, v66, v41
	v_pk_fma_f16 v78, v36, v67, v79
	v_pk_fma_f16 v74, v36, v68, v74
	v_pk_fma_f16 v73, v37, v65, v73
	v_pk_fma_f16 v39, v37, v66, v39
	v_pk_fma_f16 v33, v37, v67, v33
	v_pk_fma_f16 v79, v37, v68, v80
	v_pk_fma_f16 v46, v38, v65, v46
	v_pk_fma_f16 v29, v38, v66, v29
	v_pk_fma_f16 v40, v38, v67, v40
	v_pk_fma_f16 v44, v38, v68, v44
	ds_read2_b64 v[35:38], v28 offset0:128 offset1:160
	;; [unrolled: 22-line block ×3, first 2 shown]
	s_or_b32 s39, s16, 16
	s_mul_hi_i32 s45, s39, s8
	s_mul_i32 s44, s39, s8
	s_lshl_b64 s[44:45], s[44:45], 2
	s_add_u32 s39, s14, s44
	v_mul_u32_u24_sdwa v67, v72, s38 dst_sel:DWORD dst_unused:UNUSED_PAD src0_sel:WORD_0 src1_sel:DWORD
	s_addc_u32 s43, s15, s45
	v_mul_u32_u24_sdwa v66, v71, s38 dst_sel:DWORD dst_unused:UNUSED_PAD src0_sel:WORD_1 src1_sel:DWORD
	s_waitcnt lgkmcnt(0)
	v_pk_fma_f16 v95, v35, v67, v32
	v_pk_fma_f16 v101, v37, v67, v33
	v_mov_b32_e32 v32, s43
	v_add_co_u32_e32 v33, vcc, s39, v10
	v_pk_fma_f16 v100, v37, v66, v39
	v_addc_co_u32_e32 v39, vcc, v32, v11, vcc
	v_add_co_u32_e32 v32, vcc, v33, v25
	v_addc_co_u32_e32 v33, vcc, 0, v39, vcc
	v_pk_fma_f16 v104, v38, v67, v40
	v_mov_b32_e32 v39, s43
	v_add_co_u32_e32 v40, vcc, s39, v12
	v_addc_co_u32_e32 v85, vcc, v39, v13, vcc
	v_mul_u32_u24_sdwa v65, v71, s38 dst_sel:DWORD dst_unused:UNUSED_PAD src0_sel:WORD_0 src1_sel:DWORD
	v_mul_u32_u24_sdwa v71, v72, s38 dst_sel:DWORD dst_unused:UNUSED_PAD src0_sel:WORD_1 src1_sel:DWORD
	v_pk_fma_f16 v103, v38, v66, v29
	v_add_u32_e32 v29, 0x5800, v26
	v_add_co_u32_e32 v39, vcc, v40, v25
	v_pk_fma_f16 v93, v35, v65, v69
	v_pk_fma_f16 v94, v35, v66, v70
	;; [unrolled: 1-line block ×10, first 2 shown]
	ds_read_b128 v[65:68], v60 offset:96
	v_pk_fma_f16 v44, v38, v71, v44
	ds_read2_b64 v[35:38], v29 offset1:32
	ds_read_b128 v[69:72], v60 offset:112
	ds_read2_b64 v[73:76], v29 offset0:64 offset1:96
	ds_read2_b64 v[77:80], v29 offset0:128 offset1:160
	;; [unrolled: 1-line block ×3, first 2 shown]
	s_waitcnt lgkmcnt(0)
	s_barrier
	v_addc_co_u32_e32 v40, vcc, 0, v85, vcc
	global_load_dwordx4 v[85:88], v[32:33], off
	global_load_dwordx4 v[89:92], v[39:40], off
	v_mul_u32_u24_sdwa v105, v65, s38 dst_sel:DWORD dst_unused:UNUSED_PAD src0_sel:WORD_0 src1_sel:DWORD
	v_mul_u32_u24_sdwa v65, v65, s38 dst_sel:DWORD dst_unused:UNUSED_PAD src0_sel:WORD_1 src1_sel:DWORD
	v_mul_u32_u24_sdwa v32, v66, s38 dst_sel:DWORD dst_unused:UNUSED_PAD src0_sel:WORD_0 src1_sel:DWORD
	v_mul_u32_u24_sdwa v33, v66, s38 dst_sel:DWORD dst_unused:UNUSED_PAD src0_sel:WORD_1 src1_sel:DWORD
	v_pk_fma_f16 v39, v35, v105, v93
	v_pk_fma_f16 v40, v35, v65, v94
	v_pk_fma_f16 v66, v35, v32, v95
	v_pk_fma_f16 v35, v35, v33, v45
	v_pk_fma_f16 v45, v36, v105, v96
	v_pk_fma_f16 v41, v36, v65, v41
	v_pk_fma_f16 v93, v36, v32, v97
	v_pk_fma_f16 v36, v36, v33, v98
	v_pk_fma_f16 v94, v37, v105, v99
	v_pk_fma_f16 v95, v37, v65, v100
	v_pk_fma_f16 v96, v37, v32, v101
	v_pk_fma_f16 v37, v37, v33, v102
	v_pk_fma_f16 v46, v38, v105, v46
	v_pk_fma_f16 v65, v38, v65, v103
	v_pk_fma_f16 v32, v38, v32, v104
	v_pk_fma_f16 v33, v38, v33, v44
	v_mul_u32_u24_sdwa v38, v67, s38 dst_sel:DWORD dst_unused:UNUSED_PAD src0_sel:WORD_0 src1_sel:DWORD
	v_mul_u32_u24_sdwa v44, v67, s38 dst_sel:DWORD dst_unused:UNUSED_PAD src0_sel:WORD_1 src1_sel:DWORD
	v_mul_u32_u24_sdwa v67, v68, s38 dst_sel:DWORD dst_unused:UNUSED_PAD src0_sel:WORD_0 src1_sel:DWORD
	v_mul_u32_u24_sdwa v68, v68, s38 dst_sel:DWORD dst_unused:UNUSED_PAD src0_sel:WORD_1 src1_sel:DWORD
	v_pk_fma_f16 v39, v73, v38, v39
	v_pk_fma_f16 v40, v73, v44, v40
	v_pk_fma_f16 v66, v73, v67, v66
	v_pk_fma_f16 v35, v73, v68, v35
	v_pk_fma_f16 v45, v74, v38, v45
	v_pk_fma_f16 v41, v74, v44, v41
	v_pk_fma_f16 v73, v74, v67, v93
	v_pk_fma_f16 v36, v74, v68, v36
	v_pk_fma_f16 v74, v75, v38, v94
	v_pk_fma_f16 v93, v75, v44, v95
	v_pk_fma_f16 v94, v75, v67, v96
	v_pk_fma_f16 v37, v75, v68, v37
	v_pk_fma_f16 v38, v76, v38, v46
	v_pk_fma_f16 v44, v76, v44, v65
	v_pk_fma_f16 v32, v76, v67, v32
	v_pk_fma_f16 v33, v76, v68, v33
	;; [unrolled: 20-line block ×4, first 2 shown]
	s_waitcnt vmcnt(1)
	ds_write_b128 v61, v[85:88]
	s_waitcnt vmcnt(0)
	ds_write_b128 v62, v[89:92]
	s_waitcnt lgkmcnt(0)
	s_barrier
	ds_read_b128 v[35:38], v60 offset:128
	ds_read2_b64 v[65:68], v30 offset1:32
	ds_read_b128 v[69:72], v60 offset:144
	ds_read_b128 v[73:76], v60 offset:160
	;; [unrolled: 1-line block ×3, first 2 shown]
	s_waitcnt lgkmcnt(4)
	v_mul_u32_u24_sdwa v84, v35, s38 dst_sel:DWORD dst_unused:UNUSED_PAD src0_sel:WORD_0 src1_sel:DWORD
	v_mul_u32_u24_sdwa v35, v35, s38 dst_sel:DWORD dst_unused:UNUSED_PAD src0_sel:WORD_1 src1_sel:DWORD
	v_mul_u32_u24_sdwa v85, v36, s38 dst_sel:DWORD dst_unused:UNUSED_PAD src0_sel:WORD_0 src1_sel:DWORD
	v_mul_u32_u24_sdwa v36, v36, s38 dst_sel:DWORD dst_unused:UNUSED_PAD src0_sel:WORD_1 src1_sel:DWORD
	s_waitcnt lgkmcnt(3)
	v_pk_fma_f16 v39, v65, v84, v39
	v_pk_fma_f16 v40, v65, v35, v40
	;; [unrolled: 1-line block ×16, first 2 shown]
	ds_read2_b64 v[65:68], v30 offset0:64 offset1:96
	v_mul_u32_u24_sdwa v36, v37, s38 dst_sel:DWORD dst_unused:UNUSED_PAD src0_sel:WORD_0 src1_sel:DWORD
	v_mul_u32_u24_sdwa v37, v37, s38 dst_sel:DWORD dst_unused:UNUSED_PAD src0_sel:WORD_1 src1_sel:DWORD
	v_mul_u32_u24_sdwa v44, v38, s38 dst_sel:DWORD dst_unused:UNUSED_PAD src0_sel:WORD_0 src1_sel:DWORD
	v_mul_u32_u24_sdwa v38, v38, s38 dst_sel:DWORD dst_unused:UNUSED_PAD src0_sel:WORD_1 src1_sel:DWORD
	s_waitcnt lgkmcnt(0)
	v_pk_fma_f16 v39, v65, v36, v39
	v_pk_fma_f16 v40, v65, v37, v40
	;; [unrolled: 1-line block ×15, first 2 shown]
	ds_read2_b64 v[35:38], v30 offset0:128 offset1:160
	v_pk_fma_f16 v32, v68, v44, v32
	v_mul_u32_u24_sdwa v44, v69, s38 dst_sel:DWORD dst_unused:UNUSED_PAD src0_sel:WORD_0 src1_sel:DWORD
	v_mul_u32_u24_sdwa v68, v69, s38 dst_sel:DWORD dst_unused:UNUSED_PAD src0_sel:WORD_1 src1_sel:DWORD
	v_mul_u32_u24_sdwa v69, v70, s38 dst_sel:DWORD dst_unused:UNUSED_PAD src0_sel:WORD_0 src1_sel:DWORD
	v_mul_u32_u24_sdwa v70, v70, s38 dst_sel:DWORD dst_unused:UNUSED_PAD src0_sel:WORD_1 src1_sel:DWORD
	s_waitcnt lgkmcnt(0)
	v_pk_fma_f16 v39, v35, v44, v39
	v_pk_fma_f16 v40, v35, v68, v40
	;; [unrolled: 1-line block ×16, first 2 shown]
	ds_read2_b64 v[35:38], v30 offset0:192 offset1:224
	v_mul_u32_u24_sdwa v30, v71, s38 dst_sel:DWORD dst_unused:UNUSED_PAD src0_sel:WORD_0 src1_sel:DWORD
	v_mul_u32_u24_sdwa v68, v71, s38 dst_sel:DWORD dst_unused:UNUSED_PAD src0_sel:WORD_1 src1_sel:DWORD
	v_mul_u32_u24_sdwa v69, v72, s38 dst_sel:DWORD dst_unused:UNUSED_PAD src0_sel:WORD_0 src1_sel:DWORD
	v_mul_u32_u24_sdwa v70, v72, s38 dst_sel:DWORD dst_unused:UNUSED_PAD src0_sel:WORD_1 src1_sel:DWORD
	s_waitcnt lgkmcnt(0)
	v_pk_fma_f16 v39, v35, v30, v39
	v_pk_fma_f16 v40, v35, v68, v40
	;; [unrolled: 1-line block ×16, first 2 shown]
	ds_read2_b64 v[35:38], v31 offset1:32
	v_mul_u32_u24_sdwa v46, v73, s38 dst_sel:DWORD dst_unused:UNUSED_PAD src0_sel:WORD_0 src1_sel:DWORD
	v_mul_u32_u24_sdwa v68, v73, s38 dst_sel:DWORD dst_unused:UNUSED_PAD src0_sel:WORD_1 src1_sel:DWORD
	v_mul_u32_u24_sdwa v69, v74, s38 dst_sel:DWORD dst_unused:UNUSED_PAD src0_sel:WORD_0 src1_sel:DWORD
	v_mul_u32_u24_sdwa v70, v74, s38 dst_sel:DWORD dst_unused:UNUSED_PAD src0_sel:WORD_1 src1_sel:DWORD
	s_waitcnt lgkmcnt(0)
	v_pk_fma_f16 v39, v35, v46, v39
	v_pk_fma_f16 v40, v35, v68, v40
	v_pk_fma_f16 v71, v35, v69, v71
	v_pk_fma_f16 v65, v35, v70, v65
	v_pk_fma_f16 v45, v36, v46, v45
	v_pk_fma_f16 v41, v36, v68, v41
	v_pk_fma_f16 v72, v36, v69, v72
	v_pk_fma_f16 v66, v36, v70, v66
	v_pk_fma_f16 v73, v37, v46, v81
	v_pk_fma_f16 v74, v37, v68, v82
	v_pk_fma_f16 v81, v37, v69, v83
	v_pk_fma_f16 v67, v37, v70, v67
	v_pk_fma_f16 v30, v38, v46, v30
	v_pk_fma_f16 v44, v38, v68, v44
	v_pk_fma_f16 v32, v38, v69, v32
	v_pk_fma_f16 v33, v38, v70, v33
	ds_read2_b64 v[35:38], v31 offset0:64 offset1:96
	v_mul_u32_u24_sdwa v46, v75, s38 dst_sel:DWORD dst_unused:UNUSED_PAD src0_sel:WORD_0 src1_sel:DWORD
	v_mul_u32_u24_sdwa v68, v75, s38 dst_sel:DWORD dst_unused:UNUSED_PAD src0_sel:WORD_1 src1_sel:DWORD
	v_mul_u32_u24_sdwa v69, v76, s38 dst_sel:DWORD dst_unused:UNUSED_PAD src0_sel:WORD_0 src1_sel:DWORD
	v_mul_u32_u24_sdwa v70, v76, s38 dst_sel:DWORD dst_unused:UNUSED_PAD src0_sel:WORD_1 src1_sel:DWORD
	s_waitcnt lgkmcnt(0)
	v_pk_fma_f16 v39, v35, v46, v39
	v_pk_fma_f16 v40, v35, v68, v40
	v_pk_fma_f16 v71, v35, v69, v71
	v_pk_fma_f16 v65, v35, v70, v65
	v_pk_fma_f16 v45, v36, v46, v45
	v_pk_fma_f16 v41, v36, v68, v41
	v_pk_fma_f16 v72, v36, v69, v72
	v_pk_fma_f16 v66, v36, v70, v66
	v_pk_fma_f16 v73, v37, v46, v73
	v_pk_fma_f16 v74, v37, v68, v74
	v_pk_fma_f16 v75, v37, v69, v81
	v_pk_fma_f16 v67, v37, v70, v67
	v_pk_fma_f16 v30, v38, v46, v30
	v_pk_fma_f16 v44, v38, v68, v44
	v_pk_fma_f16 v32, v38, v69, v32
	v_pk_fma_f16 v33, v38, v70, v33
	ds_read2_b64 v[35:38], v31 offset0:128 offset1:160
	;; [unrolled: 22-line block ×3, first 2 shown]
	v_mul_u32_u24_sdwa v38, v79, s38 dst_sel:DWORD dst_unused:UNUSED_PAD src0_sel:WORD_0 src1_sel:DWORD
	v_mul_u32_u24_sdwa v74, v80, s38 dst_sel:DWORD dst_unused:UNUSED_PAD src0_sel:WORD_1 src1_sel:DWORD
	v_mul_u32_u24_sdwa v69, v79, s38 dst_sel:DWORD dst_unused:UNUSED_PAD src0_sel:WORD_1 src1_sel:DWORD
	v_mul_u32_u24_sdwa v70, v80, s38 dst_sel:DWORD dst_unused:UNUSED_PAD src0_sel:WORD_0 src1_sel:DWORD
	s_waitcnt lgkmcnt(0)
	v_pk_fma_f16 v39, v30, v38, v39
	v_pk_fma_f16 v75, v30, v74, v35
	;; [unrolled: 1-line block ×7, first 2 shown]
	ds_read_b128 v[35:38], v60 offset:192
	v_pk_fma_f16 v40, v30, v69, v40
	v_pk_fma_f16 v71, v30, v70, v71
	;; [unrolled: 1-line block ×9, first 2 shown]
	ds_read2_b64 v[30:33], v28 offset1:32
	ds_read_b128 v[65:68], v60 offset:208
	s_waitcnt lgkmcnt(2)
	v_mul_u32_u24_sdwa v74, v35, s38 dst_sel:DWORD dst_unused:UNUSED_PAD src0_sel:WORD_0 src1_sel:DWORD
	v_mul_u32_u24_sdwa v35, v35, s38 dst_sel:DWORD dst_unused:UNUSED_PAD src0_sel:WORD_1 src1_sel:DWORD
	v_mul_u32_u24_sdwa v80, v36, s38 dst_sel:DWORD dst_unused:UNUSED_PAD src0_sel:WORD_0 src1_sel:DWORD
	v_mul_u32_u24_sdwa v36, v36, s38 dst_sel:DWORD dst_unused:UNUSED_PAD src0_sel:WORD_1 src1_sel:DWORD
	s_waitcnt lgkmcnt(1)
	v_pk_fma_f16 v39, v30, v74, v39
	v_pk_fma_f16 v40, v30, v35, v40
	v_pk_fma_f16 v71, v30, v80, v71
	v_pk_fma_f16 v75, v30, v36, v75
	v_pk_fma_f16 v45, v31, v74, v45
	v_pk_fma_f16 v41, v31, v35, v41
	v_pk_fma_f16 v76, v31, v80, v76
	v_pk_fma_f16 v77, v31, v36, v77
	v_pk_fma_f16 v78, v32, v74, v78
	v_pk_fma_f16 v72, v32, v35, v72
	v_pk_fma_f16 v73, v32, v80, v73
	v_pk_fma_f16 v79, v32, v36, v79
	v_pk_fma_f16 v46, v33, v74, v46
	v_pk_fma_f16 v35, v33, v35, v44
	v_pk_fma_f16 v44, v33, v80, v69
	v_pk_fma_f16 v36, v33, v36, v70
	ds_read2_b64 v[30:33], v28 offset0:64 offset1:96
	v_mul_u32_u24_sdwa v69, v37, s38 dst_sel:DWORD dst_unused:UNUSED_PAD src0_sel:WORD_0 src1_sel:DWORD
	v_mul_u32_u24_sdwa v37, v37, s38 dst_sel:DWORD dst_unused:UNUSED_PAD src0_sel:WORD_1 src1_sel:DWORD
	v_mul_u32_u24_sdwa v70, v38, s38 dst_sel:DWORD dst_unused:UNUSED_PAD src0_sel:WORD_0 src1_sel:DWORD
	v_mul_u32_u24_sdwa v38, v38, s38 dst_sel:DWORD dst_unused:UNUSED_PAD src0_sel:WORD_1 src1_sel:DWORD
	s_waitcnt lgkmcnt(0)
	v_pk_fma_f16 v39, v30, v69, v39
	v_pk_fma_f16 v40, v30, v37, v40
	v_pk_fma_f16 v71, v30, v70, v71
	v_pk_fma_f16 v74, v30, v38, v75
	v_pk_fma_f16 v45, v31, v69, v45
	v_pk_fma_f16 v41, v31, v37, v41
	v_pk_fma_f16 v75, v31, v70, v76
	v_pk_fma_f16 v76, v31, v38, v77
	v_pk_fma_f16 v77, v32, v69, v78
	v_pk_fma_f16 v72, v32, v37, v72
	v_pk_fma_f16 v73, v32, v70, v73
	v_pk_fma_f16 v78, v32, v38, v79
	v_pk_fma_f16 v46, v33, v69, v46
	v_pk_fma_f16 v35, v33, v37, v35
	v_pk_fma_f16 v37, v33, v70, v44
	v_pk_fma_f16 v36, v33, v38, v36
	ds_read2_b64 v[30:33], v28 offset0:128 offset1:160
	;; [unrolled: 22-line block ×3, first 2 shown]
	v_mul_u32_u24_sdwa v28, v67, s38 dst_sel:DWORD dst_unused:UNUSED_PAD src0_sel:WORD_0 src1_sel:DWORD
	v_mul_u32_u24_sdwa v36, v67, s38 dst_sel:DWORD dst_unused:UNUSED_PAD src0_sel:WORD_1 src1_sel:DWORD
	v_mul_u32_u24_sdwa v65, v68, s38 dst_sel:DWORD dst_unused:UNUSED_PAD src0_sel:WORD_0 src1_sel:DWORD
	v_mul_u32_u24_sdwa v66, v68, s38 dst_sel:DWORD dst_unused:UNUSED_PAD src0_sel:WORD_1 src1_sel:DWORD
	s_waitcnt lgkmcnt(0)
	v_pk_fma_f16 v39, v30, v28, v39
	v_pk_fma_f16 v40, v30, v36, v40
	;; [unrolled: 1-line block ×8, first 2 shown]
	ds_read_b128 v[35:38], v60 offset:224
	v_pk_fma_f16 v69, v30, v65, v69
	v_pk_fma_f16 v70, v30, v66, v70
	;; [unrolled: 1-line block ×8, first 2 shown]
	ds_read2_b64 v[30:33], v29 offset1:32
	ds_read_b128 v[65:68], v60 offset:240
	s_waitcnt lgkmcnt(2)
	v_mul_u32_u24_sdwa v78, v35, s38 dst_sel:DWORD dst_unused:UNUSED_PAD src0_sel:WORD_0 src1_sel:DWORD
	v_mul_u32_u24_sdwa v35, v35, s38 dst_sel:DWORD dst_unused:UNUSED_PAD src0_sel:WORD_1 src1_sel:DWORD
	v_mul_u32_u24_sdwa v79, v36, s38 dst_sel:DWORD dst_unused:UNUSED_PAD src0_sel:WORD_0 src1_sel:DWORD
	v_mul_u32_u24_sdwa v36, v36, s38 dst_sel:DWORD dst_unused:UNUSED_PAD src0_sel:WORD_1 src1_sel:DWORD
	s_waitcnt lgkmcnt(1)
	v_pk_fma_f16 v39, v30, v78, v39
	v_pk_fma_f16 v40, v30, v35, v40
	;; [unrolled: 1-line block ×16, first 2 shown]
	ds_read2_b64 v[30:33], v29 offset0:64 offset1:96
	v_mul_u32_u24_sdwa v46, v37, s38 dst_sel:DWORD dst_unused:UNUSED_PAD src0_sel:WORD_0 src1_sel:DWORD
	v_mul_u32_u24_sdwa v37, v37, s38 dst_sel:DWORD dst_unused:UNUSED_PAD src0_sel:WORD_1 src1_sel:DWORD
	v_mul_u32_u24_sdwa v77, v38, s38 dst_sel:DWORD dst_unused:UNUSED_PAD src0_sel:WORD_0 src1_sel:DWORD
	v_mul_u32_u24_sdwa v38, v38, s38 dst_sel:DWORD dst_unused:UNUSED_PAD src0_sel:WORD_1 src1_sel:DWORD
	s_waitcnt lgkmcnt(0)
	v_pk_fma_f16 v39, v30, v46, v39
	v_pk_fma_f16 v40, v30, v37, v40
	;; [unrolled: 1-line block ×16, first 2 shown]
	ds_read2_b64 v[30:33], v29 offset0:128 offset1:160
	v_mul_u32_u24_sdwa v38, v65, s38 dst_sel:DWORD dst_unused:UNUSED_PAD src0_sel:WORD_0 src1_sel:DWORD
	v_mul_u32_u24_sdwa v44, v65, s38 dst_sel:DWORD dst_unused:UNUSED_PAD src0_sel:WORD_1 src1_sel:DWORD
	v_mul_u32_u24_sdwa v46, v66, s38 dst_sel:DWORD dst_unused:UNUSED_PAD src0_sel:WORD_0 src1_sel:DWORD
	v_mul_u32_u24_sdwa v65, v66, s38 dst_sel:DWORD dst_unused:UNUSED_PAD src0_sel:WORD_1 src1_sel:DWORD
	s_waitcnt lgkmcnt(0)
	v_pk_fma_f16 v39, v30, v38, v39
	v_pk_fma_f16 v40, v30, v44, v40
	;; [unrolled: 1-line block ×10, first 2 shown]
	ds_read2_b64 v[69:72], v29 offset0:192 offset1:224
	s_waitcnt lgkmcnt(0)
	s_barrier
	s_load_dword s39, s[10:11], 0x4
	v_pk_fma_f16 v73, v32, v46, v73
	v_pk_fma_f16 v76, v32, v65, v76
	v_pk_fma_f16 v28, v33, v38, v28
	v_pk_fma_f16 v35, v33, v44, v35
	s_waitcnt lgkmcnt(0)
	s_lshl_b32 s39, s39, 5
	v_pk_fma_f16 v78, v33, v46, v37
	v_pk_fma_f16 v65, v33, v65, v36
	v_mul_u32_u24_sdwa v79, v67, s38 dst_sel:DWORD dst_unused:UNUSED_PAD src0_sel:WORD_0 src1_sel:DWORD
	v_mul_u32_u24_sdwa v67, v67, s38 dst_sel:DWORD dst_unused:UNUSED_PAD src0_sel:WORD_1 src1_sel:DWORD
	v_mul_u32_u24_sdwa v80, v68, s38 dst_sel:DWORD dst_unused:UNUSED_PAD src0_sel:WORD_0 src1_sel:DWORD
	v_mul_u32_u24_sdwa v68, v68, s38 dst_sel:DWORD dst_unused:UNUSED_PAD src0_sel:WORD_1 src1_sel:DWORD
	s_add_i32 s16, s39, s16
	v_pk_fma_f16 v38, v69, v79, v39
	v_pk_fma_f16 v37, v69, v67, v40
	;; [unrolled: 1-line block ×15, first 2 shown]
	s_cmp_lt_i32 s16, s17
	v_pk_fma_f16 v28, v72, v68, v65
	s_cbranch_scc0 .LBB42_20
; %bb.18:                               ;   in Loop: Header=BB42_8 Depth=1
	v_mov_b32_e32 v72, v2
	v_mov_b32_e32 v70, v3
	;; [unrolled: 1-line block ×8, first 2 shown]
	s_branch .LBB42_8
.LBB42_19:
	v_mov_b32_e32 v2, 0xfeffffff
	v_mov_b32_e32 v3, v2
	;; [unrolled: 1-line block ×23, first 2 shown]
.LBB42_20:
	s_cmp_gt_i32 s42, s16
	s_cbranch_scc1 .LBB42_22
; %bb.21:
	v_mbcnt_hi_u32_b32 v55, -1, v43
	v_and_b32_e32 v6, 0x60, v55
	v_add_u32_e32 v56, 32, v6
	v_xor_b32_e32 v57, 16, v55
	v_xor_b32_e32 v58, 8, v55
	;; [unrolled: 1-line block ×5, first 2 shown]
	s_cbranch_execz .LBB42_23
	s_branch .LBB42_43
.LBB42_22:
                                        ; implicit-def: $vgpr55
                                        ; implicit-def: $vgpr56
                                        ; implicit-def: $vgpr57
                                        ; implicit-def: $vgpr58
                                        ; implicit-def: $vgpr59
                                        ; implicit-def: $vgpr60
                                        ; implicit-def: $vgpr61
.LBB42_23:
	v_lshl_add_u32 v12, v1, 1, v52
	v_mul_lo_u32 v10, s12, v12
	s_mul_hi_i32 s11, s16, s12
	s_mul_i32 s10, s16, s12
	s_sub_i32 s17, s42, s16
	s_lshl_b64 s[10:11], s[10:11], 2
	v_ashrrev_i32_e32 v11, 31, v10
	s_add_u32 s10, s13, s10
	v_lshlrev_b64 v[6:7], 2, v[10:11]
	s_addc_u32 s11, s22, s11
	v_mov_b32_e32 v8, s11
	v_add_co_u32_e32 v6, vcc, s10, v6
	v_lshlrev_b32_e32 v13, 2, v51
	v_addc_co_u32_e32 v7, vcc, v8, v7, vcc
	s_mov_b64 s[6:7], src_private_base
	v_add_co_u32_e32 v61, vcc, v6, v13
	v_mov_b32_e32 v55, 0
	v_addc_co_u32_e32 v62, vcc, 0, v7, vcc
	v_mov_b32_e32 v57, s7
	v_cmp_gt_i32_e64 s[6:7], s17, v12
	v_mov_b32_e32 v58, 0
	buffer_store_dword v55, off, s[0:3], 0
	buffer_store_dword v55, off, s[0:3], 0 offset:4
	buffer_store_dword v55, off, s[0:3], 0 offset:8
	;; [unrolled: 1-line block ×3, first 2 shown]
	v_cndmask_b32_e64 v7, v57, v62, s[6:7]
	v_cndmask_b32_e64 v6, v58, v61, s[6:7]
	flat_load_dwordx4 v[6:9], v[6:7]
	v_lshl_add_u32 v10, s12, 4, v10
	v_ashrrev_i32_e32 v11, 31, v10
	v_lshlrev_b64 v[10:11], 2, v[10:11]
	v_mov_b32_e32 v51, s11
	v_add_co_u32_e32 v10, vcc, s10, v10
	v_addc_co_u32_e32 v11, vcc, v51, v11, vcc
	s_movk_i32 s13, 0x110
	v_add_co_u32_e32 v59, vcc, v10, v13
	v_mad_u32_u24 v15, v12, s13, v13
	v_add_u32_e32 v12, 16, v12
	v_addc_co_u32_e32 v60, vcc, 0, v11, vcc
	v_cmp_gt_i32_e32 vcc, s17, v12
	buffer_store_dword v55, off, s[0:3], 0
	buffer_store_dword v55, off, s[0:3], 0 offset:4
	buffer_store_dword v55, off, s[0:3], 0 offset:8
	;; [unrolled: 1-line block ×3, first 2 shown]
	v_cndmask_b32_e32 v11, v57, v60, vcc
	v_cndmask_b32_e32 v10, v58, v59, vcc
	v_mul_u32_u24_e32 v56, 0x110, v0
	v_mov_b32_e32 v54, 0
	v_mov_b32_e32 v53, 0
	;; [unrolled: 1-line block ×4, first 2 shown]
	s_movk_i32 s12, 0x100
	s_cmp_lg_u64 s[40:41], 0
	s_waitcnt vmcnt(0) lgkmcnt(0)
	ds_write_b128 v15, v[6:9] offset:16384
	flat_load_dwordx4 v[6:9], v[10:11]
	s_waitcnt vmcnt(0) lgkmcnt(0)
	ds_write_b128 v15, v[6:9] offset:20736
	s_waitcnt lgkmcnt(0)
	s_barrier
	ds_read_b128 v[6:9], v56 offset:16384
	ds_read_b128 v[10:13], v42
	ds_read_b128 v[63:66], v42 offset:512
	ds_read_b128 v[67:70], v42 offset:1024
	ds_read_b128 v[71:74], v42 offset:1536
	s_waitcnt lgkmcnt(3)
	;;#ASMSTART
	v_dot2_f32_f16 v54, v6, v10, v54
	;;#ASMEND
	;;#ASMSTART
	v_dot2_f32_f16 v54, v7, v11, v54
	;;#ASMEND
	;;#ASMSTART
	v_dot2_f32_f16 v54, v8, v12, v54
	;;#ASMEND
	;;#ASMSTART
	v_dot2_f32_f16 v54, v9, v13, v54
	;;#ASMEND
	s_waitcnt lgkmcnt(2)
	;;#ASMSTART
	v_dot2_f32_f16 v53, v6, v63, v53
	;;#ASMEND
	;;#ASMSTART
	v_dot2_f32_f16 v53, v7, v64, v53
	;;#ASMEND
	;;#ASMSTART
	v_dot2_f32_f16 v53, v8, v65, v53
	;;#ASMEND
	;;#ASMSTART
	v_dot2_f32_f16 v53, v9, v66, v53
	;;#ASMEND
	s_waitcnt lgkmcnt(1)
	;;#ASMSTART
	v_dot2_f32_f16 v52, v6, v67, v52
	;;#ASMEND
	;;#ASMSTART
	v_dot2_f32_f16 v52, v7, v68, v52
	;;#ASMEND
	;;#ASMSTART
	v_dot2_f32_f16 v52, v8, v69, v52
	;;#ASMEND
	;;#ASMSTART
	v_dot2_f32_f16 v52, v9, v70, v52
	;;#ASMEND
	s_waitcnt lgkmcnt(0)
	;;#ASMSTART
	v_dot2_f32_f16 v51, v6, v71, v51
	;;#ASMEND
	;;#ASMSTART
	v_dot2_f32_f16 v51, v7, v72, v51
	;;#ASMEND
	;;#ASMSTART
	v_dot2_f32_f16 v51, v8, v73, v51
	;;#ASMEND
	;;#ASMSTART
	v_dot2_f32_f16 v51, v9, v74, v51
	;;#ASMEND
	ds_read_b128 v[6:9], v56 offset:16400
	ds_read_b128 v[10:13], v42 offset:16
	ds_read_b128 v[63:66], v42 offset:528
	ds_read_b128 v[67:70], v42 offset:1040
	ds_read_b128 v[71:74], v42 offset:1552
	s_waitcnt lgkmcnt(3)
	;;#ASMSTART
	v_dot2_f32_f16 v54, v6, v10, v54
	;;#ASMEND
	;;#ASMSTART
	v_dot2_f32_f16 v54, v7, v11, v54
	;;#ASMEND
	;;#ASMSTART
	v_dot2_f32_f16 v54, v8, v12, v54
	;;#ASMEND
	;;#ASMSTART
	v_dot2_f32_f16 v54, v9, v13, v54
	;;#ASMEND
	s_waitcnt lgkmcnt(2)
	;;#ASMSTART
	v_dot2_f32_f16 v53, v6, v63, v53
	;;#ASMEND
	;;#ASMSTART
	v_dot2_f32_f16 v53, v7, v64, v53
	;;#ASMEND
	;;#ASMSTART
	v_dot2_f32_f16 v53, v8, v65, v53
	;;#ASMEND
	;;#ASMSTART
	v_dot2_f32_f16 v53, v9, v66, v53
	;;#ASMEND
	s_waitcnt lgkmcnt(1)
	;;#ASMSTART
	v_dot2_f32_f16 v52, v6, v67, v52
	;;#ASMEND
	;;#ASMSTART
	v_dot2_f32_f16 v52, v7, v68, v52
	;;#ASMEND
	;;#ASMSTART
	v_dot2_f32_f16 v52, v8, v69, v52
	;;#ASMEND
	;;#ASMSTART
	v_dot2_f32_f16 v52, v9, v70, v52
	;;#ASMEND
	s_waitcnt lgkmcnt(0)
	;;#ASMSTART
	v_dot2_f32_f16 v51, v6, v71, v51
	;;#ASMEND
	;;#ASMSTART
	v_dot2_f32_f16 v51, v7, v72, v51
	;;#ASMEND
	;;#ASMSTART
	v_dot2_f32_f16 v51, v8, v73, v51
	;;#ASMEND
	;;#ASMSTART
	v_dot2_f32_f16 v51, v9, v74, v51
	;;#ASMEND
	ds_read_b128 v[6:9], v56 offset:16416
	ds_read_b128 v[10:13], v42 offset:32
	;; [unrolled: 57-line block ×13, first 2 shown]
	v_add_co_u32_e64 v73, s[10:11], s12, v61
	v_addc_co_u32_e64 v74, s[10:11], 0, v62, s[10:11]
	ds_read_b128 v[61:64], v42 offset:720
	ds_read_b128 v[65:68], v42 offset:1232
	;; [unrolled: 1-line block ×3, first 2 shown]
	s_waitcnt lgkmcnt(3)
	;;#ASMSTART
	v_dot2_f32_f16 v54, v6, v10, v54
	;;#ASMEND
	;;#ASMSTART
	v_dot2_f32_f16 v54, v7, v11, v54
	;;#ASMEND
	;;#ASMSTART
	v_dot2_f32_f16 v54, v8, v12, v54
	;;#ASMEND
	;;#ASMSTART
	v_dot2_f32_f16 v54, v9, v13, v54
	;;#ASMEND
	s_waitcnt lgkmcnt(2)
	;;#ASMSTART
	v_dot2_f32_f16 v53, v6, v61, v53
	;;#ASMEND
	;;#ASMSTART
	v_dot2_f32_f16 v53, v7, v62, v53
	;;#ASMEND
	;;#ASMSTART
	v_dot2_f32_f16 v53, v8, v63, v53
	;;#ASMEND
	;;#ASMSTART
	v_dot2_f32_f16 v53, v9, v64, v53
	;;#ASMEND
	;; [unrolled: 13-line block ×4, first 2 shown]
	ds_read_b128 v[6:9], v56 offset:16608
	ds_read_b128 v[10:13], v42 offset:224
	;; [unrolled: 1-line block ×5, first 2 shown]
	s_waitcnt lgkmcnt(3)
	;;#ASMSTART
	v_dot2_f32_f16 v54, v6, v10, v54
	;;#ASMEND
	;;#ASMSTART
	v_dot2_f32_f16 v54, v7, v11, v54
	;;#ASMEND
	;;#ASMSTART
	v_dot2_f32_f16 v54, v8, v12, v54
	;;#ASMEND
	;;#ASMSTART
	v_dot2_f32_f16 v54, v9, v13, v54
	;;#ASMEND
	s_waitcnt lgkmcnt(2)
	;;#ASMSTART
	v_dot2_f32_f16 v53, v6, v61, v53
	;;#ASMEND
	;;#ASMSTART
	v_dot2_f32_f16 v53, v7, v62, v53
	;;#ASMEND
	;;#ASMSTART
	v_dot2_f32_f16 v53, v8, v63, v53
	;;#ASMEND
	;;#ASMSTART
	v_dot2_f32_f16 v53, v9, v64, v53
	;;#ASMEND
	s_waitcnt lgkmcnt(1)
	;;#ASMSTART
	v_dot2_f32_f16 v52, v6, v65, v52
	;;#ASMEND
	;;#ASMSTART
	v_dot2_f32_f16 v52, v7, v66, v52
	;;#ASMEND
	;;#ASMSTART
	v_dot2_f32_f16 v52, v8, v67, v52
	;;#ASMEND
	;;#ASMSTART
	v_dot2_f32_f16 v52, v9, v68, v52
	;;#ASMEND
	s_waitcnt lgkmcnt(0)
	;;#ASMSTART
	v_dot2_f32_f16 v51, v6, v69, v51
	;;#ASMEND
	;;#ASMSTART
	v_dot2_f32_f16 v51, v7, v70, v51
	;;#ASMEND
	;;#ASMSTART
	v_dot2_f32_f16 v51, v8, v71, v51
	;;#ASMEND
	;;#ASMSTART
	v_dot2_f32_f16 v51, v9, v72, v51
	;;#ASMEND
	ds_read_b128 v[6:9], v56 offset:16624
	ds_read_b128 v[10:13], v42 offset:240
	;; [unrolled: 1-line block ×5, first 2 shown]
	s_waitcnt lgkmcnt(3)
	;;#ASMSTART
	v_dot2_f32_f16 v54, v6, v10, v54
	;;#ASMEND
	;;#ASMSTART
	v_dot2_f32_f16 v54, v7, v11, v54
	;;#ASMEND
	;;#ASMSTART
	v_dot2_f32_f16 v54, v8, v12, v54
	;;#ASMEND
	;;#ASMSTART
	v_dot2_f32_f16 v54, v9, v13, v54
	;;#ASMEND
	s_waitcnt lgkmcnt(2)
	;;#ASMSTART
	v_dot2_f32_f16 v53, v6, v61, v53
	;;#ASMEND
	;;#ASMSTART
	v_dot2_f32_f16 v53, v7, v62, v53
	;;#ASMEND
	;;#ASMSTART
	v_dot2_f32_f16 v53, v8, v63, v53
	;;#ASMEND
	;;#ASMSTART
	v_dot2_f32_f16 v53, v9, v64, v53
	;;#ASMEND
	;; [unrolled: 13-line block ×3, first 2 shown]
	s_waitcnt lgkmcnt(0)
	;;#ASMSTART
	v_dot2_f32_f16 v51, v6, v69, v51
	;;#ASMEND
	;;#ASMSTART
	v_dot2_f32_f16 v51, v7, v70, v51
	;;#ASMEND
	;; [unrolled: 3-line block ×3, first 2 shown]
	v_cndmask_b32_e64 v74, v57, v74, s[6:7]
	v_cndmask_b32_e64 v73, v58, v73, s[6:7]
	;;#ASMSTART
	v_dot2_f32_f16 v51, v9, v72, v51
	;;#ASMEND
	s_barrier
	buffer_store_dword v55, off, s[0:3], 0
	buffer_store_dword v55, off, s[0:3], 0 offset:4
	buffer_store_dword v55, off, s[0:3], 0 offset:8
	;; [unrolled: 1-line block ×3, first 2 shown]
	flat_load_dwordx4 v[6:9], v[73:74]
	v_add_co_u32_e64 v10, s[6:7], s12, v59
	v_addc_co_u32_e64 v11, s[6:7], 0, v60, s[6:7]
	v_cndmask_b32_e32 v11, v57, v11, vcc
	v_cndmask_b32_e32 v10, v58, v10, vcc
	buffer_store_dword v55, off, s[0:3], 0
	buffer_store_dword v55, off, s[0:3], 0 offset:4
	buffer_store_dword v55, off, s[0:3], 0 offset:8
	;; [unrolled: 1-line block ×3, first 2 shown]
	s_cselect_b64 s[10:11], -1, 0
	v_cmp_gt_i32_e64 s[6:7], s17, v0
	s_waitcnt vmcnt(0) lgkmcnt(0)
	ds_write_b128 v15, v[6:9] offset:16384
	flat_load_dwordx4 v[6:9], v[10:11]
	s_waitcnt vmcnt(0) lgkmcnt(0)
	ds_write_b128 v15, v[6:9] offset:20736
	s_waitcnt lgkmcnt(0)
	s_barrier
	ds_read_b128 v[6:9], v56 offset:16384
	ds_read_b128 v[10:13], v42 offset:256
	ds_read_b128 v[57:60], v42 offset:768
	ds_read_b128 v[61:64], v42 offset:1280
	ds_read_b128 v[65:68], v42 offset:1792
	s_waitcnt lgkmcnt(3)
	;;#ASMSTART
	v_dot2_f32_f16 v54, v6, v10, v54
	;;#ASMEND
	;;#ASMSTART
	v_dot2_f32_f16 v54, v7, v11, v54
	;;#ASMEND
	;;#ASMSTART
	v_dot2_f32_f16 v54, v8, v12, v54
	;;#ASMEND
	;;#ASMSTART
	v_dot2_f32_f16 v54, v9, v13, v54
	;;#ASMEND
	s_waitcnt lgkmcnt(2)
	;;#ASMSTART
	v_dot2_f32_f16 v53, v6, v57, v53
	;;#ASMEND
	;;#ASMSTART
	v_dot2_f32_f16 v53, v7, v58, v53
	;;#ASMEND
	;;#ASMSTART
	v_dot2_f32_f16 v53, v8, v59, v53
	;;#ASMEND
	;;#ASMSTART
	v_dot2_f32_f16 v53, v9, v60, v53
	;;#ASMEND
	s_waitcnt lgkmcnt(1)
	;;#ASMSTART
	v_dot2_f32_f16 v52, v6, v61, v52
	;;#ASMEND
	;;#ASMSTART
	v_dot2_f32_f16 v52, v7, v62, v52
	;;#ASMEND
	;;#ASMSTART
	v_dot2_f32_f16 v52, v8, v63, v52
	;;#ASMEND
	;;#ASMSTART
	v_dot2_f32_f16 v52, v9, v64, v52
	;;#ASMEND
	s_waitcnt lgkmcnt(0)
	;;#ASMSTART
	v_dot2_f32_f16 v51, v6, v65, v51
	;;#ASMEND
	;;#ASMSTART
	v_dot2_f32_f16 v51, v7, v66, v51
	;;#ASMEND
	;;#ASMSTART
	v_dot2_f32_f16 v51, v8, v67, v51
	;;#ASMEND
	;;#ASMSTART
	v_dot2_f32_f16 v51, v9, v68, v51
	;;#ASMEND
	ds_read_b128 v[6:9], v56 offset:16400
	ds_read_b128 v[10:13], v42 offset:272
	ds_read_b128 v[57:60], v42 offset:784
	ds_read_b128 v[61:64], v42 offset:1296
	ds_read_b128 v[65:68], v42 offset:1808
	s_waitcnt lgkmcnt(3)
	;;#ASMSTART
	v_dot2_f32_f16 v54, v6, v10, v54
	;;#ASMEND
	;;#ASMSTART
	v_dot2_f32_f16 v54, v7, v11, v54
	;;#ASMEND
	;;#ASMSTART
	v_dot2_f32_f16 v54, v8, v12, v54
	;;#ASMEND
	;;#ASMSTART
	v_dot2_f32_f16 v54, v9, v13, v54
	;;#ASMEND
	s_waitcnt lgkmcnt(2)
	;;#ASMSTART
	v_dot2_f32_f16 v53, v6, v57, v53
	;;#ASMEND
	;;#ASMSTART
	v_dot2_f32_f16 v53, v7, v58, v53
	;;#ASMEND
	;;#ASMSTART
	v_dot2_f32_f16 v53, v8, v59, v53
	;;#ASMEND
	;;#ASMSTART
	v_dot2_f32_f16 v53, v9, v60, v53
	;;#ASMEND
	s_waitcnt lgkmcnt(1)
	;;#ASMSTART
	v_dot2_f32_f16 v52, v6, v61, v52
	;;#ASMEND
	;;#ASMSTART
	v_dot2_f32_f16 v52, v7, v62, v52
	;;#ASMEND
	;;#ASMSTART
	v_dot2_f32_f16 v52, v8, v63, v52
	;;#ASMEND
	;;#ASMSTART
	v_dot2_f32_f16 v52, v9, v64, v52
	;;#ASMEND
	s_waitcnt lgkmcnt(0)
	;;#ASMSTART
	v_dot2_f32_f16 v51, v6, v65, v51
	;;#ASMEND
	;;#ASMSTART
	v_dot2_f32_f16 v51, v7, v66, v51
	;;#ASMEND
	;;#ASMSTART
	v_dot2_f32_f16 v51, v8, v67, v51
	;;#ASMEND
	;;#ASMSTART
	v_dot2_f32_f16 v51, v9, v68, v51
	;;#ASMEND
	;; [unrolled: 57-line block ×15, first 2 shown]
	ds_read_b128 v[10:13], v56 offset:16624
	ds_read_b128 v[56:59], v42 offset:496
	;; [unrolled: 1-line block ×5, first 2 shown]
	s_waitcnt lgkmcnt(3)
	;;#ASMSTART
	v_dot2_f32_f16 v54, v10, v56, v54
	;;#ASMEND
	;;#ASMSTART
	v_dot2_f32_f16 v54, v11, v57, v54
	;;#ASMEND
	;; [unrolled: 3-line block ×4, first 2 shown]
	s_waitcnt lgkmcnt(2)
	;;#ASMSTART
	v_dot2_f32_f16 v53, v10, v60, v53
	;;#ASMEND
	;;#ASMSTART
	v_dot2_f32_f16 v53, v11, v61, v53
	;;#ASMEND
	;; [unrolled: 3-line block ×4, first 2 shown]
	s_waitcnt lgkmcnt(1)
	;;#ASMSTART
	v_dot2_f32_f16 v52, v10, v64, v52
	;;#ASMEND
	;;#ASMSTART
	v_dot2_f32_f16 v52, v11, v65, v52
	;;#ASMEND
	v_mov_b32_e32 v9, v5
	;;#ASMSTART
	v_dot2_f32_f16 v52, v12, v66, v52
	;;#ASMEND
	v_mov_b32_e32 v6, v2
	;;#ASMSTART
	v_dot2_f32_f16 v52, v13, v67, v52
	;;#ASMEND
	s_waitcnt lgkmcnt(0)
	;;#ASMSTART
	v_dot2_f32_f16 v51, v10, v68, v51
	;;#ASMEND
	v_cndmask_b32_e64 v6, 0, 1, s[10:11]
	;;#ASMSTART
	v_dot2_f32_f16 v51, v11, v69, v51
	;;#ASMEND
	v_add_u32_e32 v15, s16, v0
	v_mov_b32_e32 v8, v4
	v_mov_b32_e32 v7, v3
	v_cmp_ne_u32_e64 s[10:11], 1, v6
	;;#ASMSTART
	v_dot2_f32_f16 v51, v12, v70, v51
	;;#ASMEND
	v_mov_b32_e32 v10, v2
	;;#ASMSTART
	v_dot2_f32_f16 v51, v13, v71, v51
	;;#ASMEND
	s_and_saveexec_b64 s[12:13], s[6:7]
	s_cbranch_execz .LBB42_27
; %bb.24:
	s_and_b64 vcc, exec, s[10:11]
	s_cbranch_vccnz .LBB42_26
; %bb.25:
	v_mad_u64_u32 v[6:7], s[22:23], v34, s19, v[15:16]
	v_mov_b32_e32 v8, s41
	v_ashrrev_i32_e32 v7, 31, v6
	v_lshlrev_b64 v[6:7], 1, v[6:7]
	v_add_co_u32_e32 v6, vcc, s40, v6
	v_addc_co_u32_e32 v7, vcc, v8, v7, vcc
	global_load_ushort v6, v[6:7], off
	s_waitcnt vmcnt(0)
	v_cvt_f32_f16_e32 v6, v6
	v_mul_f32_e32 v55, v27, v6
.LBB42_26:
	v_add_f32_e32 v54, v54, v55
	v_add_f32_e32 v6, 0x40051340, v54
	v_max_f32_e32 v7, v2, v2
	v_max_f32_e32 v10, v7, v6
	v_mov_b32_e32 v9, v5
	v_mov_b32_e32 v8, v4
	;; [unrolled: 1-line block ×4, first 2 shown]
.LBB42_27:
	s_or_b64 exec, exec, s[12:13]
	v_mbcnt_hi_u32_b32 v55, -1, v43
	v_and_b32_e32 v6, 0x60, v55
	v_add_u32_e32 v56, 32, v6
	v_xor_b32_e32 v57, 16, v55
	v_cmp_lt_i32_e32 vcc, v57, v56
	v_cndmask_b32_e32 v6, v55, v57, vcc
	v_lshlrev_b32_e32 v13, 2, v6
	ds_bpermute_b32 v6, v13, v10
	v_xor_b32_e32 v58, 8, v55
	v_cmp_lt_i32_e32 vcc, v58, v56
	v_cndmask_b32_e32 v11, v55, v58, vcc
	v_max_f32_e32 v10, v10, v10
	s_waitcnt lgkmcnt(0)
	v_max_f32_e32 v6, v6, v6
	v_lshlrev_b32_e32 v34, 2, v11
	v_max_f32_e32 v6, v10, v6
	ds_bpermute_b32 v10, v34, v6
	v_xor_b32_e32 v59, 4, v55
	v_cmp_lt_i32_e32 vcc, v59, v56
	v_cndmask_b32_e32 v11, v55, v59, vcc
	v_lshlrev_b32_e32 v12, 2, v11
	s_waitcnt lgkmcnt(0)
	v_max_f32_e32 v10, v10, v10
	v_max_f32_e32 v6, v6, v10
	ds_bpermute_b32 v10, v12, v6
	v_xor_b32_e32 v60, 2, v55
	v_cmp_lt_i32_e32 vcc, v60, v56
	v_cndmask_b32_e32 v11, v55, v60, vcc
	v_lshlrev_b32_e32 v11, 2, v11
	s_waitcnt lgkmcnt(0)
	v_max_f32_e32 v10, v10, v10
	;; [unrolled: 8-line block ×3, first 2 shown]
	v_max_f32_e32 v6, v6, v42
	ds_bpermute_b32 v42, v10, v6
	s_waitcnt lgkmcnt(0)
	v_max_f32_e32 v42, v42, v42
	v_max_f32_e32 v6, v6, v42
	s_and_saveexec_b64 s[12:13], s[6:7]
	s_cbranch_execz .LBB42_32
; %bb.28:
	s_and_b64 vcc, exec, s[10:11]
	s_cbranch_vccnz .LBB42_30
; %bb.29:
	v_or_b32_e32 v42, 1, v24
	v_mul_hi_u32 v43, s28, v42
	v_mov_b32_e32 v62, s41
	v_add_u32_e32 v43, v42, v43
	v_lshrrev_b32_e32 v43, s29, v43
	v_mul_lo_u32 v43, v43, s30
	v_sub_u32_e32 v42, v42, v43
	v_mad_u64_u32 v[42:43], s[22:23], v42, s19, v[15:16]
	v_ashrrev_i32_e32 v43, 31, v42
	v_lshlrev_b64 v[42:43], 1, v[42:43]
	v_add_co_u32_e32 v42, vcc, s40, v42
	v_addc_co_u32_e32 v43, vcc, v62, v43, vcc
	global_load_ushort v42, v[42:43], off
	s_waitcnt vmcnt(0)
	v_cvt_f32_f16_e32 v42, v42
	v_mul_f32_e32 v42, v27, v42
	s_branch .LBB42_31
.LBB42_30:
	v_mov_b32_e32 v42, 0
.LBB42_31:
	v_add_f32_e32 v53, v53, v42
	v_add_f32_e32 v42, 0x40051340, v53
	v_max_f32_e32 v7, v7, v7
	v_max_f32_e32 v7, v7, v42
.LBB42_32:
	s_or_b64 exec, exec, s[12:13]
	ds_bpermute_b32 v42, v13, v7
	v_max_f32_e32 v7, v7, v7
	s_waitcnt lgkmcnt(0)
	v_max_f32_e32 v42, v42, v42
	v_max_f32_e32 v7, v7, v42
	ds_bpermute_b32 v42, v34, v7
	s_waitcnt lgkmcnt(0)
	v_max_f32_e32 v42, v42, v42
	v_max_f32_e32 v7, v7, v42
	ds_bpermute_b32 v42, v12, v7
	s_waitcnt lgkmcnt(0)
	v_max_f32_e32 v42, v42, v42
	v_max_f32_e32 v7, v7, v42
	ds_bpermute_b32 v42, v11, v7
	s_waitcnt lgkmcnt(0)
	v_max_f32_e32 v42, v42, v42
	v_max_f32_e32 v7, v7, v42
	ds_bpermute_b32 v42, v10, v7
	s_waitcnt lgkmcnt(0)
	v_max_f32_e32 v42, v42, v42
	v_max_f32_e32 v7, v7, v42
	s_and_saveexec_b64 s[12:13], s[6:7]
	s_cbranch_execz .LBB42_37
; %bb.33:
	s_and_b64 vcc, exec, s[10:11]
	s_cbranch_vccnz .LBB42_35
; %bb.34:
	v_or_b32_e32 v42, 2, v24
	v_mul_hi_u32 v43, s28, v42
	v_mov_b32_e32 v62, s41
	v_add_u32_e32 v43, v42, v43
	v_lshrrev_b32_e32 v43, s29, v43
	v_mul_lo_u32 v43, v43, s30
	v_sub_u32_e32 v42, v42, v43
	v_mad_u64_u32 v[42:43], s[22:23], v42, s19, v[15:16]
	v_ashrrev_i32_e32 v43, 31, v42
	v_lshlrev_b64 v[42:43], 1, v[42:43]
	v_add_co_u32_e32 v42, vcc, s40, v42
	v_addc_co_u32_e32 v43, vcc, v62, v43, vcc
	global_load_ushort v42, v[42:43], off
	s_waitcnt vmcnt(0)
	v_cvt_f32_f16_e32 v42, v42
	v_mul_f32_e32 v42, v27, v42
	s_branch .LBB42_36
.LBB42_35:
	v_mov_b32_e32 v42, 0
.LBB42_36:
	v_add_f32_e32 v52, v52, v42
	v_add_f32_e32 v42, 0x40051340, v52
	v_max_f32_e32 v8, v8, v8
	v_max_f32_e32 v8, v8, v42
.LBB42_37:
	s_or_b64 exec, exec, s[12:13]
	ds_bpermute_b32 v42, v13, v8
	v_max_f32_e32 v8, v8, v8
	s_waitcnt lgkmcnt(0)
	v_max_f32_e32 v42, v42, v42
	v_max_f32_e32 v8, v8, v42
	ds_bpermute_b32 v42, v34, v8
	s_waitcnt lgkmcnt(0)
	v_max_f32_e32 v42, v42, v42
	v_max_f32_e32 v8, v8, v42
	ds_bpermute_b32 v42, v12, v8
	;; [unrolled: 4-line block ×4, first 2 shown]
	s_waitcnt lgkmcnt(0)
	v_max_f32_e32 v42, v42, v42
	v_max_f32_e32 v8, v8, v42
	s_and_saveexec_b64 s[12:13], s[6:7]
	s_cbranch_execz .LBB42_42
; %bb.38:
	s_and_b64 vcc, exec, s[10:11]
	s_cbranch_vccnz .LBB42_40
; %bb.39:
	v_or_b32_e32 v42, 3, v24
	v_mul_hi_u32 v43, s28, v42
	v_add_u32_e32 v43, v42, v43
	v_lshrrev_b32_e32 v43, s29, v43
	v_mul_lo_u32 v43, v43, s30
	v_sub_u32_e32 v42, v42, v43
	v_mad_u64_u32 v[42:43], s[6:7], v42, s19, v[15:16]
	v_mov_b32_e32 v15, s41
	v_ashrrev_i32_e32 v43, 31, v42
	v_lshlrev_b64 v[42:43], 1, v[42:43]
	v_add_co_u32_e32 v42, vcc, s40, v42
	v_addc_co_u32_e32 v43, vcc, v15, v43, vcc
	global_load_ushort v15, v[42:43], off
	s_waitcnt vmcnt(0)
	v_cvt_f32_f16_e32 v15, v15
	v_mul_f32_e32 v15, v27, v15
	s_branch .LBB42_41
.LBB42_40:
	v_mov_b32_e32 v15, 0
.LBB42_41:
	v_add_f32_e32 v51, v51, v15
	v_add_f32_e32 v15, 0x40051340, v51
	v_max_f32_e32 v9, v9, v9
	v_max_f32_e32 v9, v9, v15
.LBB42_42:
	s_or_b64 exec, exec, s[12:13]
	ds_bpermute_b32 v13, v13, v9
	v_max_f32_e32 v9, v9, v9
	s_mov_b64 s[10:11], src_private_base
	v_sub_f32_e32 v15, v54, v6
	s_mov_b32 s10, 0x3fb8aa3b
	s_waitcnt lgkmcnt(0)
	v_max_f32_e32 v13, v13, v13
	v_max_f32_e32 v9, v9, v13
	ds_bpermute_b32 v13, v34, v9
	s_mov_b32 s13, 0xc2ce8ed0
	v_cmp_ngt_f32_e32 vcc, s13, v15
	s_mov_b32 s12, 0x42b17218
	v_mov_b32_e32 v63, 0x7f800000
	s_waitcnt lgkmcnt(0)
	v_max_f32_e32 v13, v13, v13
	v_max_f32_e32 v9, v9, v13
	ds_bpermute_b32 v12, v12, v9
	v_mul_f32_e32 v13, 0x3fb8aa3b, v15
	v_fma_f32 v27, v15, s10, -v13
	v_rndne_f32_e32 v42, v13
	v_fmac_f32_e32 v27, 0x32a5705f, v15
	s_waitcnt lgkmcnt(0)
	v_max_f32_e32 v12, v12, v12
	v_max_f32_e32 v9, v9, v12
	ds_bpermute_b32 v11, v11, v9
	v_sub_f32_e32 v12, v13, v42
	v_add_f32_e32 v12, v12, v27
	v_cvt_i32_f32_e32 v13, v42
	v_exp_f32_e32 v12, v12
	s_waitcnt lgkmcnt(0)
	v_max_f32_e32 v11, v11, v11
	v_max_f32_e32 v9, v9, v11
	ds_bpermute_b32 v10, v10, v9
	v_ldexp_f32 v11, v12, v13
	v_lshlrev_b32_e32 v34, 8, v1
	s_waitcnt lgkmcnt(0)
	s_barrier
	v_max_f32_e32 v10, v10, v10
	v_max_f32_e32 v9, v9, v10
	v_cndmask_b32_e32 v10, 0, v11, vcc
	v_sub_f32_e32 v11, v53, v7
	v_mul_f32_e32 v12, 0x3fb8aa3b, v11
	v_cmp_nlt_f32_e32 vcc, s12, v15
	v_fma_f32 v13, v11, s10, -v12
	v_rndne_f32_e32 v15, v12
	v_fmac_f32_e32 v13, 0x32a5705f, v11
	v_sub_f32_e32 v12, v12, v15
	v_add_f32_e32 v12, v12, v13
	v_exp_f32_e32 v12, v12
	v_cvt_i32_f32_e32 v13, v15
	v_cmp_ngt_f32_e64 s[6:7], s13, v11
	v_cndmask_b32_e32 v10, v63, v10, vcc
	v_cmp_gt_u32_e32 vcc, s17, v0
	v_ldexp_f32 v12, v12, v13
	v_sub_f32_e32 v13, v52, v8
	v_mul_f32_e32 v15, 0x3fb8aa3b, v13
	v_fma_f32 v42, v13, s10, -v15
	v_rndne_f32_e32 v43, v15
	v_fmac_f32_e32 v42, 0x32a5705f, v13
	v_sub_f32_e32 v15, v15, v43
	v_add_f32_e32 v15, v15, v42
	v_exp_f32_e32 v15, v15
	v_cvt_i32_f32_e32 v43, v43
	v_cndmask_b32_e64 v12, 0, v12, s[6:7]
	v_cmp_nlt_f32_e64 s[6:7], s12, v11
	v_cndmask_b32_e64 v11, v63, v12, s[6:7]
	v_sub_f32_e32 v12, v51, v9
	v_cndmask_b32_e32 v42, 0, v11, vcc
	v_ldexp_f32 v11, v15, v43
	v_mul_f32_e32 v15, 0x3fb8aa3b, v12
	v_fma_f32 v43, v12, s10, -v15
	v_rndne_f32_e32 v51, v15
	v_fmac_f32_e32 v43, 0x32a5705f, v12
	v_sub_f32_e32 v15, v15, v51
	v_add_f32_e32 v15, v15, v43
	v_exp_f32_e32 v15, v15
	v_cvt_i32_f32_e32 v51, v51
	v_cmp_ngt_f32_e64 s[6:7], s13, v13
	v_cndmask_b32_e64 v11, 0, v11, s[6:7]
	v_cmp_nlt_f32_e64 s[6:7], s12, v13
	v_cndmask_b32_e64 v11, v63, v11, s[6:7]
	v_ldexp_f32 v13, v15, v51
	v_cmp_ngt_f32_e64 s[6:7], s13, v12
	v_cndmask_b32_e64 v13, 0, v13, s[6:7]
	v_cmp_nlt_f32_e64 s[6:7], s12, v12
	v_cndmask_b32_e64 v12, v63, v13, s[6:7]
	v_cndmask_b32_e32 v27, 0, v10, vcc
	v_cndmask_b32_e32 v43, 0, v11, vcc
	;; [unrolled: 1-line block ×3, first 2 shown]
	v_cvt_f16_f32_e32 v10, v27
	v_cvt_f16_f32_e32 v11, v43
	;; [unrolled: 1-line block ×4, first 2 shown]
	s_movk_i32 s6, 0x6200
	v_add3_u32 v15, v34, s6, v26
	v_pack_b32_f16 v11, v11, v12
	v_pack_b32_f16 v10, v10, v13
	s_mul_hi_i32 s7, s16, s8
	s_mul_i32 s6, s16, s8
	ds_write_b64 v15, v[10:11]
	v_ashrrev_i32_e32 v15, 31, v14
	s_lshl_b64 s[6:7], s[6:7], 2
	s_add_u32 s6, s14, s6
	v_lshlrev_b64 v[12:13], 2, v[14:15]
	s_addc_u32 s7, s15, s7
	v_mov_b32_e32 v10, s7
	v_add_co_u32_e32 v11, vcc, s6, v12
	v_addc_co_u32_e32 v10, vcc, v10, v13, vcc
	v_add_co_u32_e32 v54, vcc, v11, v25
	v_addc_co_u32_e32 v10, vcc, 0, v10, vcc
	v_mov_b32_e32 v52, 0
	v_mov_b32_e32 v15, s11
	v_cmp_gt_i32_e32 vcc, s17, v1
	v_mov_b32_e32 v53, 0
	buffer_store_dword v52, off, s[0:3], 0
	buffer_store_dword v52, off, s[0:3], 0 offset:4
	buffer_store_dword v52, off, s[0:3], 0 offset:8
	;; [unrolled: 1-line block ×3, first 2 shown]
	v_cndmask_b32_e32 v11, v15, v10, vcc
	v_cndmask_b32_e32 v10, v53, v54, vcc
	flat_load_dwordx4 v[64:67], v[10:11]
	v_lshl_add_u32 v10, s8, 3, v14
	v_ashrrev_i32_e32 v11, 31, v10
	v_lshlrev_b64 v[10:11], 2, v[10:11]
	v_lshl_add_u32 v62, v1, 9, v25
	v_add_u32_e32 v54, 8, v1
	buffer_store_dword v52, off, s[0:3], 0
	v_sub_f32_e32 v2, v2, v6
	v_mul_f32_e32 v14, 0x3fb8aa3b, v2
	v_fma_f32 v68, v2, s10, -v14
	v_rndne_f32_e32 v69, v14
	v_fmac_f32_e32 v68, 0x32a5705f, v2
	v_sub_f32_e32 v14, v14, v69
	v_add_f32_e32 v14, v14, v68
	v_exp_f32_e32 v14, v14
	v_cvt_i32_f32_e32 v68, v69
	v_sub_f32_e32 v3, v3, v7
	v_sub_f32_e32 v4, v4, v8
	;; [unrolled: 1-line block ×3, first 2 shown]
	v_ldexp_f32 v14, v14, v68
	s_waitcnt vmcnt(0) lgkmcnt(0)
	ds_write_b128 v62, v[64:67] offset:16384
	v_mov_b32_e32 v64, s7
	v_add_co_u32_e32 v65, vcc, s6, v10
	v_addc_co_u32_e32 v64, vcc, v64, v11, vcc
	v_add_co_u32_e32 v66, vcc, v65, v25
	v_addc_co_u32_e32 v64, vcc, 0, v64, vcc
	v_cmp_gt_i32_e32 vcc, s17, v54
	buffer_store_dword v52, off, s[0:3], 0 offset:4
	buffer_store_dword v52, off, s[0:3], 0 offset:8
	;; [unrolled: 1-line block ×3, first 2 shown]
	v_cndmask_b32_e32 v65, v15, v64, vcc
	v_cndmask_b32_e32 v64, v53, v66, vcc
	flat_load_dwordx4 v[64:67], v[64:65]
	v_cmp_ngt_f32_e32 vcc, s13, v2
	v_cndmask_b32_e32 v14, 0, v14, vcc
	v_cmp_nlt_f32_e32 vcc, s12, v2
	v_cndmask_b32_e32 v2, v63, v14, vcc
	v_mul_f32_e32 v14, 0x3fb8aa3b, v3
	v_fmac_f32_e32 v27, v49, v2
	v_fma_f32 v49, v3, s10, -v14
	v_rndne_f32_e32 v68, v14
	v_fmac_f32_e32 v49, 0x32a5705f, v3
	v_sub_f32_e32 v14, v14, v68
	v_add_f32_e32 v14, v14, v49
	v_exp_f32_e32 v14, v14
	v_cvt_i32_f32_e32 v49, v68
	v_cmp_ngt_f32_e32 vcc, s13, v3
	v_cvt_f16_f32_e32 v2, v2
	s_mov_b32 s6, 0x10001
	v_ldexp_f32 v14, v14, v49
	v_cndmask_b32_e32 v14, 0, v14, vcc
	v_cmp_nlt_f32_e32 vcc, s12, v3
	v_cndmask_b32_e32 v3, v63, v14, vcc
	v_cvt_f16_f32_e32 v14, v3
	v_mul_u32_u24_e32 v2, 0x10001, v2
	v_fmac_f32_e32 v42, v48, v3
	v_pk_mul_f16 v49, v44, v2
	v_mul_u32_u24_e32 v3, 0x10001, v14
	v_mul_f32_e32 v14, 0x3fb8aa3b, v4
	v_pk_mul_f16 v76, v45, v2
	v_fma_f32 v44, v4, s10, -v14
	v_rndne_f32_e32 v45, v14
	v_fmac_f32_e32 v44, 0x32a5705f, v4
	v_sub_f32_e32 v14, v14, v45
	v_add_f32_e32 v14, v14, v44
	v_exp_f32_e32 v14, v14
	v_cvt_i32_f32_e32 v44, v45
	v_pk_mul_f16 v75, v46, v2
	v_cmp_ngt_f32_e32 vcc, s13, v4
	v_pk_mul_f16 v41, v41, v3
	v_ldexp_f32 v14, v14, v44
	v_mul_f32_e32 v44, 0x3fb8aa3b, v5
	v_fma_f32 v45, v5, s10, -v44
	v_rndne_f32_e32 v46, v44
	v_fmac_f32_e32 v45, 0x32a5705f, v5
	v_sub_f32_e32 v44, v44, v46
	v_add_f32_e32 v44, v44, v45
	v_exp_f32_e32 v44, v44
	v_cvt_i32_f32_e32 v45, v46
	v_cndmask_b32_e32 v14, 0, v14, vcc
	v_cmp_nlt_f32_e32 vcc, s12, v4
	v_cndmask_b32_e32 v4, v63, v14, vcc
	v_cvt_f16_f32_e32 v14, v4
	v_fmac_f32_e32 v43, v50, v4
	v_ldexp_f32 v4, v44, v45
	v_cmp_ngt_f32_e32 vcc, s13, v5
	v_cndmask_b32_e32 v4, 0, v4, vcc
	v_cmp_nlt_f32_e32 vcc, s12, v5
	v_cndmask_b32_e32 v4, v63, v4, vcc
	v_cvt_f16_f32_e32 v5, v4
	v_mul_u32_u24_e32 v48, 0x10001, v14
	v_fmac_f32_e32 v51, v47, v4
	v_lshl_add_u32 v14, v54, 9, v25
	v_mul_u32_u24_e32 v4, 0x10001, v5
	v_pk_mul_f16 v5, v30, v4
	v_pk_mul_f16 v50, v31, v4
	v_pk_mul_f16 v77, v29, v4
	v_pk_mul_f16 v78, v28, v4
	v_add_u32_e32 v4, 0x4000, v26
	v_pk_mul_f16 v39, v39, v3
	v_pk_mul_f16 v40, v40, v3
	;; [unrolled: 1-line block ×5, first 2 shown]
	s_or_b32 s7, s16, 16
	s_mul_hi_i32 s11, s7, s8
	s_mul_i32 s10, s7, s8
	s_lshl_b64 s[10:11], s[10:11], 2
	s_add_u32 s7, s14, s10
	s_addc_u32 s8, s15, s11
	v_add_co_u32_e32 v12, vcc, s7, v12
	s_waitcnt vmcnt(0) lgkmcnt(0)
	ds_write_b128 v14, v[64:67] offset:16384
	s_waitcnt lgkmcnt(0)
	s_barrier
	ds_read_b128 v[28:31], v34 offset:25088
	ds_read2_b64 v[44:47], v4 offset1:32
	ds_read_b128 v[63:66], v34 offset:25104
	ds_read_b128 v[67:70], v34 offset:25120
	;; [unrolled: 1-line block ×3, first 2 shown]
	s_waitcnt lgkmcnt(4)
	v_mul_u32_u24_sdwa v79, v28, s6 dst_sel:DWORD dst_unused:UNUSED_PAD src0_sel:WORD_0 src1_sel:DWORD
	v_mul_u32_u24_sdwa v28, v28, s6 dst_sel:DWORD dst_unused:UNUSED_PAD src0_sel:WORD_1 src1_sel:DWORD
	s_waitcnt lgkmcnt(3)
	v_pk_mul_f16 v81, v44, v79
	v_mul_u32_u24_sdwa v80, v29, s6 dst_sel:DWORD dst_unused:UNUSED_PAD src0_sel:WORD_0 src1_sel:DWORD
	v_pk_fma_f16 v2, v38, v2, v81
	v_pk_mul_f16 v38, v44, v28
	v_pk_fma_f16 v3, v37, v3, v38
	v_pk_mul_f16 v37, v44, v80
	v_pk_fma_f16 v32, v32, v48, v37
	v_pk_fma_f16 v41, v45, v28, v41
	;; [unrolled: 1-line block ×6, first 2 shown]
	ds_read2_b64 v[35:38], v4 offset0:64 offset1:96
	v_mul_u32_u24_sdwa v29, v29, s6 dst_sel:DWORD dst_unused:UNUSED_PAD src0_sel:WORD_1 src1_sel:DWORD
	v_pk_fma_f16 v5, v44, v29, v5
	v_pk_fma_f16 v44, v45, v79, v75
	;; [unrolled: 1-line block ×8, first 2 shown]
	v_mul_u32_u24_sdwa v47, v30, s6 dst_sel:DWORD dst_unused:UNUSED_PAD src0_sel:WORD_0 src1_sel:DWORD
	v_mul_u32_u24_sdwa v30, v30, s6 dst_sel:DWORD dst_unused:UNUSED_PAD src0_sel:WORD_1 src1_sel:DWORD
	v_mul_u32_u24_sdwa v75, v31, s6 dst_sel:DWORD dst_unused:UNUSED_PAD src0_sel:WORD_0 src1_sel:DWORD
	v_mul_u32_u24_sdwa v31, v31, s6 dst_sel:DWORD dst_unused:UNUSED_PAD src0_sel:WORD_1 src1_sel:DWORD
	s_waitcnt lgkmcnt(0)
	v_pk_fma_f16 v2, v35, v47, v2
	v_pk_fma_f16 v3, v35, v30, v3
	;; [unrolled: 1-line block ×16, first 2 shown]
	ds_read2_b64 v[28:31], v4 offset0:128 offset1:160
	v_mul_u32_u24_sdwa v48, v63, s6 dst_sel:DWORD dst_unused:UNUSED_PAD src0_sel:WORD_0 src1_sel:DWORD
	v_mul_u32_u24_sdwa v49, v63, s6 dst_sel:DWORD dst_unused:UNUSED_PAD src0_sel:WORD_1 src1_sel:DWORD
	v_mul_u32_u24_sdwa v50, v64, s6 dst_sel:DWORD dst_unused:UNUSED_PAD src0_sel:WORD_0 src1_sel:DWORD
	v_mul_u32_u24_sdwa v63, v64, s6 dst_sel:DWORD dst_unused:UNUSED_PAD src0_sel:WORD_1 src1_sel:DWORD
	s_waitcnt lgkmcnt(0)
	v_pk_fma_f16 v2, v28, v48, v2
	v_pk_fma_f16 v3, v28, v49, v3
	;; [unrolled: 1-line block ×16, first 2 shown]
	ds_read2_b64 v[28:31], v4 offset0:192 offset1:224
	v_mul_u32_u24_sdwa v63, v66, s6 dst_sel:DWORD dst_unused:UNUSED_PAD src0_sel:WORD_1 src1_sel:DWORD
	v_mul_u32_u24_sdwa v48, v65, s6 dst_sel:DWORD dst_unused:UNUSED_PAD src0_sel:WORD_0 src1_sel:DWORD
	v_mul_u32_u24_sdwa v49, v65, s6 dst_sel:DWORD dst_unused:UNUSED_PAD src0_sel:WORD_1 src1_sel:DWORD
	v_mul_u32_u24_sdwa v50, v66, s6 dst_sel:DWORD dst_unused:UNUSED_PAD src0_sel:WORD_0 src1_sel:DWORD
	s_waitcnt lgkmcnt(0)
	v_pk_fma_f16 v64, v28, v63, v5
	v_add_u32_e32 v5, 0x4800, v26
	v_pk_fma_f16 v2, v28, v48, v2
	v_pk_fma_f16 v3, v28, v49, v3
	;; [unrolled: 1-line block ×15, first 2 shown]
	ds_read2_b64 v[28:31], v5 offset1:32
	v_mul_u32_u24_sdwa v48, v67, s6 dst_sel:DWORD dst_unused:UNUSED_PAD src0_sel:WORD_0 src1_sel:DWORD
	v_mul_u32_u24_sdwa v49, v67, s6 dst_sel:DWORD dst_unused:UNUSED_PAD src0_sel:WORD_1 src1_sel:DWORD
	v_mul_u32_u24_sdwa v50, v68, s6 dst_sel:DWORD dst_unused:UNUSED_PAD src0_sel:WORD_0 src1_sel:DWORD
	v_mul_u32_u24_sdwa v63, v68, s6 dst_sel:DWORD dst_unused:UNUSED_PAD src0_sel:WORD_1 src1_sel:DWORD
	s_waitcnt lgkmcnt(0)
	v_pk_fma_f16 v2, v28, v48, v2
	v_pk_fma_f16 v3, v28, v49, v3
	v_pk_fma_f16 v32, v28, v50, v32
	v_pk_fma_f16 v64, v28, v63, v64
	v_pk_fma_f16 v35, v29, v48, v35
	v_pk_fma_f16 v41, v29, v49, v41
	v_pk_fma_f16 v44, v29, v50, v44
	v_pk_fma_f16 v36, v29, v63, v36
	v_pk_fma_f16 v45, v30, v48, v45
	v_pk_fma_f16 v39, v30, v49, v39
	v_pk_fma_f16 v33, v30, v50, v33
	v_pk_fma_f16 v37, v30, v63, v37
	v_pk_fma_f16 v46, v31, v48, v46
	v_pk_fma_f16 v47, v31, v49, v47
	v_pk_fma_f16 v40, v31, v50, v40
	v_pk_fma_f16 v38, v31, v63, v38
	ds_read2_b64 v[28:31], v5 offset0:64 offset1:96
	v_mul_u32_u24_sdwa v48, v69, s6 dst_sel:DWORD dst_unused:UNUSED_PAD src0_sel:WORD_0 src1_sel:DWORD
	v_mul_u32_u24_sdwa v49, v69, s6 dst_sel:DWORD dst_unused:UNUSED_PAD src0_sel:WORD_1 src1_sel:DWORD
	v_mul_u32_u24_sdwa v50, v70, s6 dst_sel:DWORD dst_unused:UNUSED_PAD src0_sel:WORD_0 src1_sel:DWORD
	v_mul_u32_u24_sdwa v63, v70, s6 dst_sel:DWORD dst_unused:UNUSED_PAD src0_sel:WORD_1 src1_sel:DWORD
	s_waitcnt lgkmcnt(0)
	v_pk_fma_f16 v2, v28, v48, v2
	v_pk_fma_f16 v3, v28, v49, v3
	v_pk_fma_f16 v32, v28, v50, v32
	v_pk_fma_f16 v64, v28, v63, v64
	v_pk_fma_f16 v35, v29, v48, v35
	v_pk_fma_f16 v41, v29, v49, v41
	v_pk_fma_f16 v44, v29, v50, v44
	v_pk_fma_f16 v36, v29, v63, v36
	v_pk_fma_f16 v45, v30, v48, v45
	v_pk_fma_f16 v39, v30, v49, v39
	v_pk_fma_f16 v33, v30, v50, v33
	v_pk_fma_f16 v37, v30, v63, v37
	v_pk_fma_f16 v46, v31, v48, v46
	v_pk_fma_f16 v47, v31, v49, v47
	v_pk_fma_f16 v40, v31, v50, v40
	v_pk_fma_f16 v38, v31, v63, v38
	ds_read2_b64 v[28:31], v5 offset0:128 offset1:160
	;; [unrolled: 22-line block ×3, first 2 shown]
	v_mul_u32_u24_sdwa v38, v73, s6 dst_sel:DWORD dst_unused:UNUSED_PAD src0_sel:WORD_0 src1_sel:DWORD
	v_mul_u32_u24_sdwa v49, v73, s6 dst_sel:DWORD dst_unused:UNUSED_PAD src0_sel:WORD_1 src1_sel:DWORD
	s_add_i32 s17, s17, -16
	v_mul_u32_u24_sdwa v50, v74, s6 dst_sel:DWORD dst_unused:UNUSED_PAD src0_sel:WORD_0 src1_sel:DWORD
	s_waitcnt lgkmcnt(0)
	v_pk_fma_f16 v103, v28, v38, v2
	v_pk_fma_f16 v104, v28, v49, v3
	v_add_u32_e32 v3, 0x5000, v26
	v_add_u32_e32 v2, 0x5800, v26
	v_mov_b32_e32 v26, s8
	v_addc_co_u32_e32 v13, vcc, v26, v13, vcc
	v_add_co_u32_e32 v12, vcc, v12, v25
	v_addc_co_u32_e32 v13, vcc, 0, v13, vcc
	v_mul_u32_u24_sdwa v63, v74, s6 dst_sel:DWORD dst_unused:UNUSED_PAD src0_sel:WORD_1 src1_sel:DWORD
	v_cmp_gt_i32_e32 vcc, s17, v1
	v_pk_fma_f16 v32, v28, v50, v32
	v_pk_fma_f16 v105, v28, v63, v64
	;; [unrolled: 1-line block ×13, first 2 shown]
	ds_read_b128 v[35:38], v34 offset:25152
	v_pk_fma_f16 v48, v31, v63, v48
	ds_read2_b64 v[28:31], v3 offset1:32
	ds_read_b128 v[44:47], v34 offset:25168
	ds_read2_b64 v[63:66], v3 offset0:64 offset1:96
	ds_read2_b64 v[67:70], v3 offset0:128 offset1:160
	;; [unrolled: 1-line block ×3, first 2 shown]
	ds_read2_b64 v[75:78], v2 offset1:32
	ds_read2_b64 v[79:82], v2 offset0:64 offset1:96
	ds_read2_b64 v[83:86], v2 offset0:128 offset1:160
	ds_read_b128 v[87:90], v34 offset:25184
	ds_read_b128 v[91:94], v34 offset:25200
	ds_read2_b64 v[95:98], v2 offset0:192 offset1:224
	s_waitcnt lgkmcnt(0)
	s_barrier
	buffer_store_dword v52, off, s[0:3], 0
	buffer_store_dword v52, off, s[0:3], 0 offset:4
	buffer_store_dword v52, off, s[0:3], 0 offset:8
	;; [unrolled: 1-line block ×3, first 2 shown]
	v_cndmask_b32_e32 v13, v15, v13, vcc
	v_cndmask_b32_e32 v12, v53, v12, vcc
	flat_load_dwordx4 v[99:102], v[12:13]
	v_mul_u32_u24_sdwa v50, v35, s6 dst_sel:DWORD dst_unused:UNUSED_PAD src0_sel:WORD_0 src1_sel:DWORD
	v_mul_u32_u24_sdwa v35, v35, s6 dst_sel:DWORD dst_unused:UNUSED_PAD src0_sel:WORD_1 src1_sel:DWORD
	v_mul_u32_u24_sdwa v1, v36, s6 dst_sel:DWORD dst_unused:UNUSED_PAD src0_sel:WORD_0 src1_sel:DWORD
	v_mul_u32_u24_sdwa v12, v36, s6 dst_sel:DWORD dst_unused:UNUSED_PAD src0_sel:WORD_1 src1_sel:DWORD
	v_pk_fma_f16 v13, v28, v50, v103
	v_pk_fma_f16 v26, v28, v35, v104
	;; [unrolled: 1-line block ×16, first 2 shown]
	v_mul_u32_u24_sdwa v31, v37, s6 dst_sel:DWORD dst_unused:UNUSED_PAD src0_sel:WORD_0 src1_sel:DWORD
	v_mul_u32_u24_sdwa v37, v37, s6 dst_sel:DWORD dst_unused:UNUSED_PAD src0_sel:WORD_1 src1_sel:DWORD
	v_mul_u32_u24_sdwa v40, v38, s6 dst_sel:DWORD dst_unused:UNUSED_PAD src0_sel:WORD_0 src1_sel:DWORD
	v_mul_u32_u24_sdwa v38, v38, s6 dst_sel:DWORD dst_unused:UNUSED_PAD src0_sel:WORD_1 src1_sel:DWORD
	v_pk_fma_f16 v13, v63, v31, v13
	v_pk_fma_f16 v26, v63, v37, v26
	;; [unrolled: 1-line block ×16, first 2 shown]
	v_mul_u32_u24_sdwa v37, v44, s6 dst_sel:DWORD dst_unused:UNUSED_PAD src0_sel:WORD_0 src1_sel:DWORD
	v_mul_u32_u24_sdwa v38, v44, s6 dst_sel:DWORD dst_unused:UNUSED_PAD src0_sel:WORD_1 src1_sel:DWORD
	v_mul_u32_u24_sdwa v40, v45, s6 dst_sel:DWORD dst_unused:UNUSED_PAD src0_sel:WORD_0 src1_sel:DWORD
	v_mul_u32_u24_sdwa v44, v45, s6 dst_sel:DWORD dst_unused:UNUSED_PAD src0_sel:WORD_1 src1_sel:DWORD
	v_pk_fma_f16 v13, v67, v37, v13
	v_pk_fma_f16 v28, v67, v44, v28
	;; [unrolled: 1-line block ×9, first 2 shown]
	v_mul_u32_u24_sdwa v37, v46, s6 dst_sel:DWORD dst_unused:UNUSED_PAD src0_sel:WORD_0 src1_sel:DWORD
	v_mul_u32_u24_sdwa v44, v47, s6 dst_sel:DWORD dst_unused:UNUSED_PAD src0_sel:WORD_1 src1_sel:DWORD
	v_pk_fma_f16 v26, v67, v38, v26
	v_pk_fma_f16 v32, v67, v40, v32
	;; [unrolled: 1-line block ×7, first 2 shown]
	v_mul_u32_u24_sdwa v38, v46, s6 dst_sel:DWORD dst_unused:UNUSED_PAD src0_sel:WORD_1 src1_sel:DWORD
	v_mul_u32_u24_sdwa v40, v47, s6 dst_sel:DWORD dst_unused:UNUSED_PAD src0_sel:WORD_0 src1_sel:DWORD
	v_pk_fma_f16 v46, v71, v37, v13
	v_pk_fma_f16 v36, v72, v37, v36
	;; [unrolled: 1-line block ×5, first 2 shown]
	v_mov_b32_e32 v12, s8
	v_add_co_u32_e32 v10, vcc, s7, v10
	v_addc_co_u32_e32 v11, vcc, v12, v11, vcc
	v_add_co_u32_e32 v10, vcc, v10, v25
	v_addc_co_u32_e32 v11, vcc, 0, v11, vcc
	v_cmp_gt_i32_e32 vcc, s17, v54
	s_waitcnt vmcnt(0) lgkmcnt(0)
	ds_write_b128 v62, v[99:102] offset:16384
	buffer_store_dword v52, off, s[0:3], 0
	buffer_store_dword v52, off, s[0:3], 0 offset:4
	buffer_store_dword v52, off, s[0:3], 0 offset:8
	;; [unrolled: 1-line block ×3, first 2 shown]
	v_cndmask_b32_e32 v11, v15, v11, vcc
	v_cndmask_b32_e32 v10, v53, v10, vcc
	flat_load_dwordx4 v[10:13], v[10:11]
	v_pk_fma_f16 v26, v71, v38, v26
	v_pk_fma_f16 v32, v71, v40, v32
	v_pk_fma_f16 v28, v71, v44, v28
	v_pk_fma_f16 v41, v72, v38, v41
	v_pk_fma_f16 v45, v72, v40, v45
	v_pk_fma_f16 v29, v72, v44, v29
	v_pk_fma_f16 v39, v73, v38, v39
	v_pk_fma_f16 v33, v73, v40, v33
	v_pk_fma_f16 v30, v73, v44, v30
	v_pk_fma_f16 v35, v74, v38, v35
	v_pk_fma_f16 v1, v74, v40, v1
	v_mul_u32_u24_sdwa v38, v87, s6 dst_sel:DWORD dst_unused:UNUSED_PAD src0_sel:WORD_0 src1_sel:DWORD
	v_mul_u32_u24_sdwa v15, v87, s6 dst_sel:DWORD dst_unused:UNUSED_PAD src0_sel:WORD_1 src1_sel:DWORD
	v_mul_u32_u24_sdwa v25, v88, s6 dst_sel:DWORD dst_unused:UNUSED_PAD src0_sel:WORD_0 src1_sel:DWORD
	v_mul_u32_u24_sdwa v40, v88, s6 dst_sel:DWORD dst_unused:UNUSED_PAD src0_sel:WORD_1 src1_sel:DWORD
	v_pk_fma_f16 v44, v75, v38, v46
	v_pk_fma_f16 v26, v75, v15, v26
	v_pk_fma_f16 v32, v75, v25, v32
	v_pk_fma_f16 v28, v75, v40, v28
	v_pk_fma_f16 v36, v76, v38, v36
	v_pk_fma_f16 v41, v76, v15, v41
	v_pk_fma_f16 v45, v76, v25, v45
	v_pk_fma_f16 v29, v76, v40, v29
	v_pk_fma_f16 v46, v77, v38, v47
	v_pk_fma_f16 v39, v77, v15, v39
	v_pk_fma_f16 v33, v77, v25, v33
	v_pk_fma_f16 v30, v77, v40, v30
	v_pk_fma_f16 v31, v78, v38, v31
	v_pk_fma_f16 v15, v78, v15, v35
	v_pk_fma_f16 v1, v78, v25, v1
	v_pk_fma_f16 v25, v78, v40, v37
	v_mul_u32_u24_sdwa v35, v89, s6 dst_sel:DWORD dst_unused:UNUSED_PAD src0_sel:WORD_0 src1_sel:DWORD
	v_mul_u32_u24_sdwa v37, v89, s6 dst_sel:DWORD dst_unused:UNUSED_PAD src0_sel:WORD_1 src1_sel:DWORD
	v_mul_u32_u24_sdwa v38, v90, s6 dst_sel:DWORD dst_unused:UNUSED_PAD src0_sel:WORD_0 src1_sel:DWORD
	v_mul_u32_u24_sdwa v40, v90, s6 dst_sel:DWORD dst_unused:UNUSED_PAD src0_sel:WORD_1 src1_sel:DWORD
	v_pk_fma_f16 v44, v79, v35, v44
	v_pk_fma_f16 v26, v79, v37, v26
	v_pk_fma_f16 v32, v79, v38, v32
	v_pk_fma_f16 v28, v79, v40, v28
	v_pk_fma_f16 v36, v80, v35, v36
	;; [unrolled: 20-line block ×4, first 2 shown]
	v_pk_fma_f16 v41, v96, v37, v41
	v_pk_fma_f16 v52, v96, v38, v45
	;; [unrolled: 1-line block ×10, first 2 shown]
	s_waitcnt vmcnt(0) lgkmcnt(0)
	ds_write_b128 v14, v[10:13] offset:16384
	s_waitcnt lgkmcnt(0)
	s_barrier
	ds_read_b128 v[10:13], v34 offset:25216
	ds_read2_b64 v[28:31], v4 offset1:32
	ds_read_b128 v[35:38], v34 offset:25232
	ds_read_b128 v[44:47], v34 offset:25248
	;; [unrolled: 1-line block ×3, first 2 shown]
	v_pk_fma_f16 v25, v98, v40, v25
	s_waitcnt lgkmcnt(4)
	v_mul_u32_u24_sdwa v14, v10, s6 dst_sel:DWORD dst_unused:UNUSED_PAD src0_sel:WORD_0 src1_sel:DWORD
	v_mul_u32_u24_sdwa v10, v10, s6 dst_sel:DWORD dst_unused:UNUSED_PAD src0_sel:WORD_1 src1_sel:DWORD
	v_mul_u32_u24_sdwa v40, v11, s6 dst_sel:DWORD dst_unused:UNUSED_PAD src0_sel:WORD_0 src1_sel:DWORD
	v_mul_u32_u24_sdwa v11, v11, s6 dst_sel:DWORD dst_unused:UNUSED_PAD src0_sel:WORD_1 src1_sel:DWORD
	s_waitcnt lgkmcnt(3)
	v_pk_fma_f16 v48, v28, v14, v48
	v_pk_fma_f16 v26, v28, v10, v26
	v_pk_fma_f16 v32, v28, v40, v32
	v_pk_fma_f16 v49, v28, v11, v49
	v_pk_fma_f16 v50, v29, v14, v50
	v_pk_fma_f16 v41, v29, v10, v41
	v_pk_fma_f16 v52, v29, v40, v52
	v_pk_fma_f16 v53, v29, v11, v53
	v_pk_fma_f16 v54, v30, v14, v54
	v_pk_fma_f16 v39, v30, v10, v39
	v_pk_fma_f16 v33, v30, v40, v33
	v_pk_fma_f16 v66, v30, v11, v66
	v_pk_fma_f16 v14, v31, v14, v67
	v_pk_fma_f16 v10, v31, v10, v15
	v_pk_fma_f16 v1, v31, v40, v1
	v_pk_fma_f16 v11, v31, v11, v25
	ds_read2_b64 v[28:31], v4 offset0:64 offset1:96
	v_mul_u32_u24_sdwa v15, v12, s6 dst_sel:DWORD dst_unused:UNUSED_PAD src0_sel:WORD_0 src1_sel:DWORD
	v_mul_u32_u24_sdwa v12, v12, s6 dst_sel:DWORD dst_unused:UNUSED_PAD src0_sel:WORD_1 src1_sel:DWORD
	v_mul_u32_u24_sdwa v25, v13, s6 dst_sel:DWORD dst_unused:UNUSED_PAD src0_sel:WORD_0 src1_sel:DWORD
	v_mul_u32_u24_sdwa v13, v13, s6 dst_sel:DWORD dst_unused:UNUSED_PAD src0_sel:WORD_1 src1_sel:DWORD
	s_waitcnt lgkmcnt(0)
	v_pk_fma_f16 v40, v28, v15, v48
	v_pk_fma_f16 v26, v28, v12, v26
	v_pk_fma_f16 v32, v28, v25, v32
	v_pk_fma_f16 v28, v28, v13, v49
	v_pk_fma_f16 v48, v29, v15, v50
	v_pk_fma_f16 v41, v29, v12, v41
	v_pk_fma_f16 v49, v29, v25, v52
	v_pk_fma_f16 v29, v29, v13, v53
	v_pk_fma_f16 v50, v30, v15, v54
	v_pk_fma_f16 v39, v30, v12, v39
	v_pk_fma_f16 v33, v30, v25, v33
	v_pk_fma_f16 v30, v30, v13, v66
	v_pk_fma_f16 v14, v31, v15, v14
	v_pk_fma_f16 v15, v31, v12, v10
	v_pk_fma_f16 v1, v31, v25, v1
	v_pk_fma_f16 v25, v31, v13, v11
	ds_read2_b64 v[10:13], v4 offset0:128 offset1:160
	;; [unrolled: 22-line block ×3, first 2 shown]
	v_mul_u32_u24_sdwa v4, v37, s6 dst_sel:DWORD dst_unused:UNUSED_PAD src0_sel:WORD_0 src1_sel:DWORD
	v_mul_u32_u24_sdwa v31, v37, s6 dst_sel:DWORD dst_unused:UNUSED_PAD src0_sel:WORD_1 src1_sel:DWORD
	v_mul_u32_u24_sdwa v35, v38, s6 dst_sel:DWORD dst_unused:UNUSED_PAD src0_sel:WORD_0 src1_sel:DWORD
	v_mul_u32_u24_sdwa v36, v38, s6 dst_sel:DWORD dst_unused:UNUSED_PAD src0_sel:WORD_1 src1_sel:DWORD
	s_waitcnt lgkmcnt(0)
	v_pk_fma_f16 v37, v10, v4, v40
	v_pk_fma_f16 v26, v10, v31, v26
	;; [unrolled: 1-line block ×16, first 2 shown]
	ds_read2_b64 v[10:13], v5 offset1:32
	v_mul_u32_u24_sdwa v25, v44, s6 dst_sel:DWORD dst_unused:UNUSED_PAD src0_sel:WORD_0 src1_sel:DWORD
	v_mul_u32_u24_sdwa v31, v44, s6 dst_sel:DWORD dst_unused:UNUSED_PAD src0_sel:WORD_1 src1_sel:DWORD
	v_mul_u32_u24_sdwa v35, v45, s6 dst_sel:DWORD dst_unused:UNUSED_PAD src0_sel:WORD_0 src1_sel:DWORD
	v_mul_u32_u24_sdwa v36, v45, s6 dst_sel:DWORD dst_unused:UNUSED_PAD src0_sel:WORD_1 src1_sel:DWORD
	s_waitcnt lgkmcnt(0)
	v_pk_fma_f16 v37, v10, v25, v37
	v_pk_fma_f16 v26, v10, v31, v26
	v_pk_fma_f16 v32, v10, v35, v32
	v_pk_fma_f16 v28, v10, v36, v28
	v_pk_fma_f16 v38, v11, v25, v38
	v_pk_fma_f16 v40, v11, v31, v40
	v_pk_fma_f16 v41, v11, v35, v41
	v_pk_fma_f16 v29, v11, v36, v29
	v_pk_fma_f16 v44, v12, v25, v48
	v_pk_fma_f16 v39, v12, v31, v39
	v_pk_fma_f16 v33, v12, v35, v33
	v_pk_fma_f16 v30, v12, v36, v30
	v_pk_fma_f16 v4, v13, v25, v4
	v_pk_fma_f16 v14, v13, v31, v14
	v_pk_fma_f16 v1, v13, v35, v1
	v_pk_fma_f16 v15, v13, v36, v15
	ds_read2_b64 v[10:13], v5 offset0:64 offset1:96
	v_mul_u32_u24_sdwa v25, v46, s6 dst_sel:DWORD dst_unused:UNUSED_PAD src0_sel:WORD_0 src1_sel:DWORD
	v_mul_u32_u24_sdwa v31, v46, s6 dst_sel:DWORD dst_unused:UNUSED_PAD src0_sel:WORD_1 src1_sel:DWORD
	v_mul_u32_u24_sdwa v35, v47, s6 dst_sel:DWORD dst_unused:UNUSED_PAD src0_sel:WORD_0 src1_sel:DWORD
	v_mul_u32_u24_sdwa v36, v47, s6 dst_sel:DWORD dst_unused:UNUSED_PAD src0_sel:WORD_1 src1_sel:DWORD
	s_waitcnt lgkmcnt(0)
	v_pk_fma_f16 v37, v10, v25, v37
	v_pk_fma_f16 v26, v10, v31, v26
	v_pk_fma_f16 v32, v10, v35, v32
	v_pk_fma_f16 v28, v10, v36, v28
	v_pk_fma_f16 v38, v11, v25, v38
	v_pk_fma_f16 v40, v11, v31, v40
	v_pk_fma_f16 v41, v11, v35, v41
	v_pk_fma_f16 v29, v11, v36, v29
	v_pk_fma_f16 v44, v12, v25, v44
	v_pk_fma_f16 v39, v12, v31, v39
	v_pk_fma_f16 v33, v12, v35, v33
	v_pk_fma_f16 v30, v12, v36, v30
	v_pk_fma_f16 v4, v13, v25, v4
	v_pk_fma_f16 v14, v13, v31, v14
	v_pk_fma_f16 v1, v13, v35, v1
	v_pk_fma_f16 v15, v13, v36, v15
	ds_read2_b64 v[10:13], v5 offset0:128 offset1:160
	;; [unrolled: 22-line block ×3, first 2 shown]
	v_mul_u32_u24_sdwa v36, v65, s6 dst_sel:DWORD dst_unused:UNUSED_PAD src0_sel:WORD_1 src1_sel:DWORD
	v_mul_u32_u24_sdwa v5, v64, s6 dst_sel:DWORD dst_unused:UNUSED_PAD src0_sel:WORD_0 src1_sel:DWORD
	v_mul_u32_u24_sdwa v25, v64, s6 dst_sel:DWORD dst_unused:UNUSED_PAD src0_sel:WORD_1 src1_sel:DWORD
	v_mul_u32_u24_sdwa v35, v65, s6 dst_sel:DWORD dst_unused:UNUSED_PAD src0_sel:WORD_0 src1_sel:DWORD
	s_waitcnt lgkmcnt(0)
	v_pk_fma_f16 v46, v10, v36, v28
	v_pk_fma_f16 v48, v11, v36, v29
	;; [unrolled: 1-line block ×3, first 2 shown]
	ds_read_b128 v[28:31], v34 offset:25280
	v_pk_fma_f16 v45, v10, v5, v37
	v_pk_fma_f16 v26, v10, v25, v26
	;; [unrolled: 1-line block ×13, first 2 shown]
	ds_read2_b64 v[10:13], v3 offset1:32
	ds_read_b128 v[35:38], v34 offset:25296
	s_waitcnt lgkmcnt(2)
	v_mul_u32_u24_sdwa v15, v28, s6 dst_sel:DWORD dst_unused:UNUSED_PAD src0_sel:WORD_0 src1_sel:DWORD
	v_mul_u32_u24_sdwa v25, v28, s6 dst_sel:DWORD dst_unused:UNUSED_PAD src0_sel:WORD_1 src1_sel:DWORD
	v_mul_u32_u24_sdwa v28, v29, s6 dst_sel:DWORD dst_unused:UNUSED_PAD src0_sel:WORD_0 src1_sel:DWORD
	v_mul_u32_u24_sdwa v29, v29, s6 dst_sel:DWORD dst_unused:UNUSED_PAD src0_sel:WORD_1 src1_sel:DWORD
	s_waitcnt lgkmcnt(1)
	v_pk_fma_f16 v45, v10, v15, v45
	v_pk_fma_f16 v26, v10, v25, v26
	v_pk_fma_f16 v32, v10, v28, v32
	v_pk_fma_f16 v46, v10, v29, v46
	v_pk_fma_f16 v47, v11, v15, v47
	v_pk_fma_f16 v40, v11, v25, v40
	v_pk_fma_f16 v41, v11, v28, v41
	v_pk_fma_f16 v48, v11, v29, v48
	v_pk_fma_f16 v44, v12, v15, v44
	v_pk_fma_f16 v39, v12, v25, v39
	v_pk_fma_f16 v33, v12, v28, v33
	v_pk_fma_f16 v49, v12, v29, v49
	v_pk_fma_f16 v4, v13, v15, v4
	v_pk_fma_f16 v5, v13, v25, v5
	v_pk_fma_f16 v1, v13, v28, v1
	v_pk_fma_f16 v14, v13, v29, v14
	ds_read2_b64 v[10:13], v3 offset0:64 offset1:96
	v_mul_u32_u24_sdwa v15, v30, s6 dst_sel:DWORD dst_unused:UNUSED_PAD src0_sel:WORD_0 src1_sel:DWORD
	v_mul_u32_u24_sdwa v25, v30, s6 dst_sel:DWORD dst_unused:UNUSED_PAD src0_sel:WORD_1 src1_sel:DWORD
	v_mul_u32_u24_sdwa v28, v31, s6 dst_sel:DWORD dst_unused:UNUSED_PAD src0_sel:WORD_0 src1_sel:DWORD
	v_mul_u32_u24_sdwa v29, v31, s6 dst_sel:DWORD dst_unused:UNUSED_PAD src0_sel:WORD_1 src1_sel:DWORD
	s_waitcnt lgkmcnt(0)
	v_pk_fma_f16 v30, v10, v15, v45
	v_pk_fma_f16 v26, v10, v25, v26
	v_pk_fma_f16 v31, v10, v28, v32
	v_pk_fma_f16 v32, v10, v29, v46
	v_pk_fma_f16 v45, v11, v15, v47
	v_pk_fma_f16 v40, v11, v25, v40
	v_pk_fma_f16 v41, v11, v28, v41
	v_pk_fma_f16 v46, v11, v29, v48
	v_pk_fma_f16 v44, v12, v15, v44
	v_pk_fma_f16 v39, v12, v25, v39
	v_pk_fma_f16 v33, v12, v28, v33
	v_pk_fma_f16 v47, v12, v29, v49
	v_pk_fma_f16 v4, v13, v15, v4
	v_pk_fma_f16 v5, v13, v25, v5
	v_pk_fma_f16 v1, v13, v28, v1
	v_pk_fma_f16 v14, v13, v29, v14
	ds_read2_b64 v[10:13], v3 offset0:128 offset1:160
	;; [unrolled: 22-line block ×3, first 2 shown]
	v_mul_u32_u24_sdwa v3, v37, s6 dst_sel:DWORD dst_unused:UNUSED_PAD src0_sel:WORD_0 src1_sel:DWORD
	v_mul_u32_u24_sdwa v25, v38, s6 dst_sel:DWORD dst_unused:UNUSED_PAD src0_sel:WORD_0 src1_sel:DWORD
	v_mul_u32_u24_sdwa v15, v37, s6 dst_sel:DWORD dst_unused:UNUSED_PAD src0_sel:WORD_1 src1_sel:DWORD
	v_mul_u32_u24_sdwa v37, v38, s6 dst_sel:DWORD dst_unused:UNUSED_PAD src0_sel:WORD_1 src1_sel:DWORD
	s_waitcnt lgkmcnt(0)
	v_pk_fma_f16 v38, v10, v3, v30
	v_pk_fma_f16 v46, v10, v25, v31
	ds_read_b128 v[28:31], v34 offset:25312
	v_pk_fma_f16 v26, v10, v15, v26
	v_pk_fma_f16 v47, v10, v37, v32
	v_pk_fma_f16 v48, v11, v3, v35
	v_pk_fma_f16 v36, v11, v15, v36
	v_pk_fma_f16 v40, v11, v25, v40
	v_pk_fma_f16 v41, v11, v37, v41
	v_pk_fma_f16 v44, v12, v3, v44
	v_pk_fma_f16 v39, v12, v15, v39
	v_pk_fma_f16 v49, v12, v25, v33
	v_pk_fma_f16 v45, v12, v37, v45
	v_pk_fma_f16 v3, v13, v3, v4
	v_pk_fma_f16 v4, v13, v15, v5
	v_pk_fma_f16 v1, v13, v25, v1
	v_pk_fma_f16 v5, v13, v37, v14
	ds_read2_b64 v[10:13], v2 offset1:32
	ds_read_b128 v[32:35], v34 offset:25328
	s_waitcnt lgkmcnt(2)
	v_mul_u32_u24_sdwa v14, v28, s6 dst_sel:DWORD dst_unused:UNUSED_PAD src0_sel:WORD_0 src1_sel:DWORD
	v_mul_u32_u24_sdwa v15, v28, s6 dst_sel:DWORD dst_unused:UNUSED_PAD src0_sel:WORD_1 src1_sel:DWORD
	v_mul_u32_u24_sdwa v25, v29, s6 dst_sel:DWORD dst_unused:UNUSED_PAD src0_sel:WORD_0 src1_sel:DWORD
	v_mul_u32_u24_sdwa v28, v29, s6 dst_sel:DWORD dst_unused:UNUSED_PAD src0_sel:WORD_1 src1_sel:DWORD
	s_waitcnt lgkmcnt(1)
	v_pk_fma_f16 v29, v10, v14, v38
	v_pk_fma_f16 v26, v10, v15, v26
	;; [unrolled: 1-line block ×16, first 2 shown]
	ds_read2_b64 v[10:13], v2 offset0:64 offset1:96
	v_mul_u32_u24_sdwa v14, v30, s6 dst_sel:DWORD dst_unused:UNUSED_PAD src0_sel:WORD_0 src1_sel:DWORD
	v_mul_u32_u24_sdwa v15, v30, s6 dst_sel:DWORD dst_unused:UNUSED_PAD src0_sel:WORD_1 src1_sel:DWORD
	v_mul_u32_u24_sdwa v25, v31, s6 dst_sel:DWORD dst_unused:UNUSED_PAD src0_sel:WORD_0 src1_sel:DWORD
	v_mul_u32_u24_sdwa v28, v31, s6 dst_sel:DWORD dst_unused:UNUSED_PAD src0_sel:WORD_1 src1_sel:DWORD
	s_waitcnt lgkmcnt(0)
	v_pk_fma_f16 v29, v10, v14, v29
	v_pk_fma_f16 v26, v10, v15, v26
	;; [unrolled: 1-line block ×16, first 2 shown]
	ds_read2_b64 v[10:13], v2 offset0:128 offset1:160
	v_mul_u32_u24_sdwa v14, v32, s6 dst_sel:DWORD dst_unused:UNUSED_PAD src0_sel:WORD_0 src1_sel:DWORD
	v_mul_u32_u24_sdwa v15, v32, s6 dst_sel:DWORD dst_unused:UNUSED_PAD src0_sel:WORD_1 src1_sel:DWORD
	v_mul_u32_u24_sdwa v25, v33, s6 dst_sel:DWORD dst_unused:UNUSED_PAD src0_sel:WORD_0 src1_sel:DWORD
	v_mul_u32_u24_sdwa v28, v33, s6 dst_sel:DWORD dst_unused:UNUSED_PAD src0_sel:WORD_1 src1_sel:DWORD
	s_waitcnt lgkmcnt(0)
	v_pk_fma_f16 v29, v10, v14, v29
	v_pk_fma_f16 v26, v10, v15, v26
	;; [unrolled: 1-line block ×14, first 2 shown]
	ds_read2_b64 v[1:4], v2 offset0:192 offset1:224
	v_pk_fma_f16 v12, v12, v28, v45
	v_pk_fma_f16 v5, v13, v28, v5
	v_mul_u32_u24_sdwa v13, v34, s6 dst_sel:DWORD dst_unused:UNUSED_PAD src0_sel:WORD_0 src1_sel:DWORD
	v_mul_u32_u24_sdwa v28, v34, s6 dst_sel:DWORD dst_unused:UNUSED_PAD src0_sel:WORD_1 src1_sel:DWORD
	v_mul_u32_u24_sdwa v34, v35, s6 dst_sel:DWORD dst_unused:UNUSED_PAD src0_sel:WORD_0 src1_sel:DWORD
	v_mul_u32_u24_sdwa v48, v35, s6 dst_sel:DWORD dst_unused:UNUSED_PAD src0_sel:WORD_1 src1_sel:DWORD
	s_waitcnt lgkmcnt(0)
	v_pk_fma_f16 v38, v1, v13, v29
	v_pk_fma_f16 v37, v1, v28, v26
	;; [unrolled: 1-line block ×14, first 2 shown]
	v_mov_b32_e32 v2, v6
	v_pk_fma_f16 v32, v1, v34, v30
	v_pk_fma_f16 v30, v1, v48, v10
	v_mov_b32_e32 v47, v51
	v_mov_b32_e32 v50, v43
	;; [unrolled: 1-line block ×7, first 2 shown]
	s_barrier
.LBB42_43:
	v_cmp_lt_i32_e32 vcc, v57, v56
	v_cndmask_b32_e32 v1, v55, v57, vcc
	v_lshlrev_b32_e32 v1, 2, v1
	ds_bpermute_b32 v6, v1, v49
	ds_bpermute_b32 v12, v1, v48
	ds_bpermute_b32 v13, v1, v50
	ds_bpermute_b32 v1, v1, v47
	v_cmp_lt_i32_e32 vcc, v58, v56
	v_cndmask_b32_e32 v7, v55, v58, vcc
	v_lshlrev_b32_e32 v7, 2, v7
	s_waitcnt lgkmcnt(3)
	v_add_f32_e32 v6, v49, v6
	s_waitcnt lgkmcnt(2)
	v_add_f32_e32 v12, v48, v12
	s_waitcnt lgkmcnt(1)
	v_add_f32_e32 v13, v50, v13
	s_waitcnt lgkmcnt(0)
	v_add_f32_e32 v1, v47, v1
	ds_bpermute_b32 v8, v7, v6
	ds_bpermute_b32 v14, v7, v12
	ds_bpermute_b32 v15, v7, v13
	ds_bpermute_b32 v7, v7, v1
	v_cmp_lt_i32_e32 vcc, v59, v56
	v_cndmask_b32_e32 v9, v55, v59, vcc
	v_lshlrev_b32_e32 v9, 2, v9
	s_waitcnt lgkmcnt(3)
	v_add_f32_e32 v6, v6, v8
	s_waitcnt lgkmcnt(2)
	v_add_f32_e32 v12, v12, v14
	s_waitcnt lgkmcnt(1)
	v_add_f32_e32 v13, v13, v15
	s_waitcnt lgkmcnt(0)
	v_add_f32_e32 v1, v1, v7
	;; [unrolled: 15-line block ×4, first 2 shown]
	ds_bpermute_b32 v8, v11, v6
	ds_bpermute_b32 v10, v11, v9
	;; [unrolled: 1-line block ×4, first 2 shown]
	s_cmp_eq_u64 s[20:21], 0
	s_cselect_b64 s[6:7], -1, 0
	s_cmp_lg_u32 s9, 0
	s_cselect_b64 s[10:11], -1, 0
	s_or_b64 s[6:7], s[10:11], s[6:7]
	s_waitcnt lgkmcnt(3)
	v_add_f32_e32 v6, v6, v8
	s_waitcnt lgkmcnt(2)
	v_add_f32_e32 v7, v9, v10
	;; [unrolled: 2-line block ×4, first 2 shown]
	s_and_b64 vcc, exec, s[6:7]
	s_cbranch_vccnz .LBB42_46
; %bb.44:
	s_lshl_b64 s[6:7], s[34:35], 2
	s_add_u32 s6, s20, s6
	s_addc_u32 s7, s21, s7
	v_mov_b32_e32 v1, 0
	global_load_dword v1, v1, s[6:7]
	v_max_f32_e32 v10, v2, v2
	v_max_f32_e32 v11, v3, v3
	s_mov_b32 s8, 0x3fb8aa3b
	s_mov_b32 s7, 0xc2ce8ed0
	;; [unrolled: 1-line block ×3, first 2 shown]
	v_max_f32_e32 v12, v4, v4
	v_mov_b32_e32 v13, 0x7f800000
	s_waitcnt vmcnt(0)
	v_max_f32_e32 v14, v1, v1
	v_max_f32_e32 v47, v10, v14
	v_sub_f32_e32 v2, v2, v47
	v_max_f32_e32 v48, v11, v14
	v_sub_f32_e32 v10, v1, v47
	v_mul_f32_e32 v15, 0x3fb8aa3b, v2
	v_sub_f32_e32 v3, v3, v48
	v_mul_f32_e32 v25, 0x3fb8aa3b, v10
	v_fma_f32 v43, v2, s8, -v15
	v_rndne_f32_e32 v50, v15
	v_sub_f32_e32 v11, v1, v48
	v_mul_f32_e32 v26, 0x3fb8aa3b, v3
	v_fma_f32 v51, v10, s8, -v25
	v_rndne_f32_e32 v52, v25
	v_fmac_f32_e32 v43, 0x32a5705f, v2
	v_sub_f32_e32 v15, v15, v50
	v_mul_f32_e32 v27, 0x3fb8aa3b, v11
	v_fma_f32 v53, v3, s8, -v26
	v_rndne_f32_e32 v54, v26
	v_fmac_f32_e32 v51, 0x32a5705f, v10
	v_sub_f32_e32 v25, v25, v52
	v_add_f32_e32 v15, v15, v43
	v_fma_f32 v55, v11, s8, -v27
	v_rndne_f32_e32 v56, v27
	v_cvt_i32_f32_e32 v50, v50
	v_fmac_f32_e32 v53, 0x32a5705f, v3
	v_sub_f32_e32 v26, v26, v54
	v_add_f32_e32 v25, v25, v51
	v_exp_f32_e32 v15, v15
	v_cvt_i32_f32_e32 v52, v52
	v_fmac_f32_e32 v55, 0x32a5705f, v11
	v_sub_f32_e32 v27, v27, v56
	v_add_f32_e32 v26, v26, v53
	v_exp_f32_e32 v25, v25
	v_cvt_i32_f32_e32 v54, v54
	v_add_f32_e32 v27, v27, v55
	v_exp_f32_e32 v26, v26
	v_cvt_i32_f32_e32 v56, v56
	v_exp_f32_e32 v27, v27
	v_ldexp_f32 v15, v15, v50
	v_cmp_ngt_f32_e32 vcc, s7, v2
	v_ldexp_f32 v25, v25, v52
	v_cndmask_b32_e32 v15, 0, v15, vcc
	v_cmp_ngt_f32_e32 vcc, s7, v10
	v_ldexp_f32 v26, v26, v54
	v_cndmask_b32_e32 v25, 0, v25, vcc
	;; [unrolled: 3-line block ×3, first 2 shown]
	v_cmp_ngt_f32_e32 vcc, s7, v11
	v_max_f32_e32 v49, v12, v14
	v_cndmask_b32_e32 v27, 0, v27, vcc
	v_cmp_nlt_f32_e32 vcc, s6, v2
	v_sub_f32_e32 v4, v4, v49
	v_cndmask_b32_e32 v2, v13, v15, vcc
	v_cmp_nlt_f32_e32 vcc, s6, v10
	v_mul_f32_e32 v34, 0x3fb8aa3b, v4
	v_cndmask_b32_e32 v10, v13, v25, vcc
	v_cmp_nlt_f32_e32 vcc, s6, v3
	v_fma_f32 v57, v4, s8, -v34
	v_rndne_f32_e32 v58, v34
	v_cndmask_b32_e32 v3, v13, v26, vcc
	v_sub_f32_e32 v12, v1, v49
	v_fmac_f32_e32 v57, 0x32a5705f, v4
	v_sub_f32_e32 v34, v34, v58
	v_cvt_f16_f32_e32 v15, v2
	v_cvt_f16_f32_e32 v25, v3
	v_mul_f32_e32 v42, 0x3fb8aa3b, v12
	v_add_f32_e32 v34, v34, v57
	v_fma_f32 v59, v12, s8, -v42
	v_rndne_f32_e32 v60, v42
	v_cvt_i32_f32_e32 v58, v58
	v_exp_f32_e32 v34, v34
	v_cmp_nlt_f32_e32 vcc, s6, v11
	v_fmac_f32_e32 v59, 0x32a5705f, v12
	v_sub_f32_e32 v42, v42, v60
	v_cndmask_b32_e32 v11, v13, v27, vcc
	v_add_f32_e32 v42, v42, v59
	v_fmac_f32_e32 v10, v6, v2
	v_fmac_f32_e32 v11, v7, v3
	v_mul_u32_u24_e32 v2, 0x10001, v15
	v_mul_u32_u24_e32 v3, 0x10001, v25
	v_pk_mul_f16 v38, v38, v2
	v_pk_mul_f16 v46, v46, v2
	;; [unrolled: 1-line block ×8, first 2 shown]
	v_exp_f32_e32 v2, v42
	v_cvt_i32_f32_e32 v3, v60
	v_ldexp_f32 v34, v34, v58
	v_cmp_ngt_f32_e32 vcc, s7, v4
	v_cndmask_b32_e32 v6, 0, v34, vcc
	v_cmp_nlt_f32_e32 vcc, s6, v4
	v_cndmask_b32_e32 v4, v13, v6, vcc
	v_ldexp_f32 v2, v2, v3
	v_cvt_f16_f32_e32 v3, v4
	v_cmp_ngt_f32_e32 vcc, s7, v12
	v_cndmask_b32_e32 v2, 0, v2, vcc
	v_cmp_nlt_f32_e32 vcc, s6, v12
	v_cndmask_b32_e32 v12, v13, v2, vcc
	v_mul_u32_u24_e32 v2, 0x10001, v3
	v_max_f32_e32 v3, v5, v5
	v_max_f32_e32 v50, v3, v14
	v_sub_f32_e32 v3, v5, v50
	v_fmac_f32_e32 v12, v8, v4
	v_mul_f32_e32 v4, 0x3fb8aa3b, v3
	v_fma_f32 v5, v3, s8, -v4
	v_rndne_f32_e32 v6, v4
	v_fmac_f32_e32 v5, 0x32a5705f, v3
	v_sub_f32_e32 v4, v4, v6
	v_add_f32_e32 v4, v4, v5
	v_exp_f32_e32 v4, v4
	v_cvt_i32_f32_e32 v5, v6
	v_sub_f32_e32 v1, v1, v50
	v_pk_mul_f16 v32, v32, v2
	v_pk_mul_f16 v36, v36, v2
	;; [unrolled: 1-line block ×4, first 2 shown]
	v_ldexp_f32 v2, v4, v5
	v_mul_f32_e32 v4, 0x3fb8aa3b, v1
	v_fma_f32 v5, v1, s8, -v4
	v_rndne_f32_e32 v6, v4
	v_fmac_f32_e32 v5, 0x32a5705f, v1
	v_sub_f32_e32 v4, v4, v6
	v_add_f32_e32 v4, v4, v5
	v_exp_f32_e32 v4, v4
	v_cvt_i32_f32_e32 v5, v6
	v_cmp_ngt_f32_e32 vcc, s7, v3
	v_cndmask_b32_e32 v2, 0, v2, vcc
	v_cmp_nlt_f32_e32 vcc, s6, v3
	v_cndmask_b32_e32 v2, v13, v2, vcc
	v_ldexp_f32 v3, v4, v5
	v_cvt_f16_f32_e32 v4, v2
	v_cmp_ngt_f32_e32 vcc, s7, v1
	v_cndmask_b32_e32 v3, 0, v3, vcc
	v_cmp_nlt_f32_e32 vcc, s6, v1
	v_cndmask_b32_e32 v13, v13, v3, vcc
	v_fmac_f32_e32 v13, v9, v2
	v_mul_u32_u24_e32 v1, 0x10001, v4
	v_mov_b32_e32 v6, v10
	v_mov_b32_e32 v2, v47
	v_pk_mul_f16 v30, v30, v1
	v_pk_mul_f16 v31, v31, v1
	;; [unrolled: 1-line block ×4, first 2 shown]
	v_mov_b32_e32 v7, v11
	v_mov_b32_e32 v8, v12
	;; [unrolled: 1-line block ×6, first 2 shown]
	v_cmp_gt_i32_e32 vcc, s30, v24
	s_and_saveexec_b64 s[6:7], vcc
	s_cbranch_execnz .LBB42_47
.LBB42_45:
	s_endpgm
.LBB42_46:
	v_mov_b32_e32 v10, v6
	v_mov_b32_e32 v11, v7
	;; [unrolled: 1-line block ×4, first 2 shown]
	v_cmp_gt_i32_e32 vcc, s30, v24
	s_and_saveexec_b64 s[6:7], vcc
	s_cbranch_execz .LBB42_45
.LBB42_47:
	s_load_dword s8, s[4:5], 0xd4
	v_mov_b32_e32 v1, 1.0
	s_waitcnt lgkmcnt(0)
	s_cmp_lg_u32 s8, 1
	s_cselect_b64 s[6:7], -1, 0
	s_cmp_eq_u32 s8, 1
	s_cselect_b64 s[10:11], -1, 0
	s_and_b64 vcc, exec, s[6:7]
	s_cbranch_vccnz .LBB42_49
; %bb.48:
	v_div_scale_f32 v1, s[4:5], v10, v10, 1.0
	v_div_scale_f32 v14, vcc, 1.0, v10, 1.0
	v_rcp_f32_e32 v15, v1
	v_fma_f32 v24, -v1, v15, 1.0
	v_fmac_f32_e32 v15, v24, v15
	v_mul_f32_e32 v24, v14, v15
	v_fma_f32 v25, -v1, v24, v14
	v_fmac_f32_e32 v24, v25, v15
	v_fma_f32 v1, -v1, v24, v14
	v_div_fmas_f32 v1, v1, v15, v24
	v_div_fixup_f32 v1, v1, v10, 1.0
.LBB42_49:
	s_mul_i32 s12, s33, s30
	s_add_i32 s12, s12, s18
	v_add_u32_e32 v10, s12, v23
	v_mul_lo_u32 v10, v10, s31
	v_cmp_eq_u32_e32 vcc, 0, v0
	v_cvt_f32_f16_sdwa v0, v46 dst_sel:DWORD dst_unused:UNUSED_PAD src0_sel:WORD_1
	v_cvt_f32_f16_e32 v15, v46
	v_add_u32_e32 v10, s34, v10
	v_mul_lo_u32 v10, s8, v10
	v_mul_f32_e32 v26, v1, v0
	v_cvt_f32_f16_sdwa v23, v38 dst_sel:DWORD dst_unused:UNUSED_PAD src0_sel:WORD_1
	v_cvt_f32_f16_e32 v27, v38
	v_add_u32_e32 v0, s9, v10
	v_lshl_add_u32 v14, v0, 8, v17
	v_mul_f32_e32 v25, v1, v15
	v_mov_b32_e32 v15, 0
	v_lshlrev_b64 v[42:43], 2, v[14:15]
	v_mov_b32_e32 v10, s25
	v_add_co_u32_e64 v42, s[4:5], s24, v42
	v_mul_f32_e32 v24, v1, v23
	v_mul_f32_e32 v23, v1, v27
	v_addc_co_u32_e64 v43, s[4:5], v10, v43, s[4:5]
	global_store_dwordx4 v[42:43], v[23:26], off
	v_cvt_f32_f16_sdwa v10, v45 dst_sel:DWORD dst_unused:UNUSED_PAD src0_sel:WORD_1
	v_cvt_f32_f16_e32 v23, v45
	v_cvt_f32_f16_sdwa v24, v44 dst_sel:DWORD dst_unused:UNUSED_PAD src0_sel:WORD_1
	v_cvt_f32_f16_e32 v27, v44
	v_add_u32_e32 v14, 0x80, v14
	v_lshlrev_b64 v[14:15], 2, v[14:15]
	v_mul_f32_e32 v26, v1, v10
	v_mul_f32_e32 v25, v1, v23
	;; [unrolled: 1-line block ×4, first 2 shown]
	v_mov_b32_e32 v1, s25
	v_add_co_u32_e64 v14, s[4:5], s24, v14
	v_addc_co_u32_e64 v15, s[4:5], v1, v15, s[4:5]
	s_and_b64 s[6:7], vcc, s[6:7]
	global_store_dwordx4 v[14:15], v[23:26], off
	s_and_saveexec_b64 s[4:5], s[6:7]
	s_cbranch_execz .LBB42_51
; %bb.50:
	v_ashrrev_i32_e32 v1, 31, v0
	v_lshlrev_b64 v[0:1], 3, v[0:1]
	v_mov_b32_e32 v10, s27
	v_add_co_u32_e32 v0, vcc, s26, v0
	v_addc_co_u32_e32 v1, vcc, v10, v1, vcc
	v_mov_b32_e32 v14, v2
	v_mov_b32_e32 v15, v6
	global_store_dwordx2 v[0:1], v[14:15], off
.LBB42_51:
	s_or_b64 exec, exec, s[4:5]
	v_cmp_gt_i32_e32 vcc, s30, v22
	s_and_b64 exec, exec, vcc
	s_cbranch_execz .LBB42_45
; %bb.52:
	v_cndmask_b32_e64 v0, 0, 1, s[10:11]
	v_cmp_ne_u32_e64 s[4:5], 1, v0
	s_andn2_b64 vcc, exec, s[10:11]
	v_mov_b32_e32 v1, 1.0
	s_cbranch_vccnz .LBB42_54
; %bb.53:
	v_div_scale_f32 v0, s[10:11], v11, v11, 1.0
	v_div_scale_f32 v1, vcc, 1.0, v11, 1.0
	v_rcp_f32_e32 v2, v0
	v_fma_f32 v6, -v0, v2, 1.0
	v_fmac_f32_e32 v2, v6, v2
	v_mul_f32_e32 v6, v1, v2
	v_fma_f32 v10, -v0, v6, v1
	v_fmac_f32_e32 v6, v10, v2
	v_fma_f32 v0, -v0, v6, v1
	v_div_fmas_f32 v0, v0, v2, v6
	v_div_fixup_f32 v1, v0, v11, 1.0
.LBB42_54:
	v_add_u32_e32 v0, s12, v21
	v_mul_lo_u32 v0, v0, s31
	v_cvt_f32_f16_sdwa v11, v37 dst_sel:DWORD dst_unused:UNUSED_PAD src0_sel:WORD_1
	v_cvt_f32_f16_e32 v14, v37
	v_cvt_f32_f16_sdwa v2, v41 dst_sel:DWORD dst_unused:UNUSED_PAD src0_sel:WORD_1
	v_add_u32_e32 v0, s34, v0
	v_mul_lo_u32 v0, s8, v0
	v_cvt_f32_f16_e32 v6, v41
	v_mul_f32_e32 v22, v1, v11
	v_mov_b32_e32 v11, 0
	v_add_u32_e32 v0, s9, v0
	v_lshl_add_u32 v10, v0, 8, v17
	v_mul_f32_e32 v21, v1, v14
	v_lshlrev_b64 v[14:15], 2, v[10:11]
	v_mul_f32_e32 v24, v1, v2
	v_mov_b32_e32 v2, s25
	v_add_co_u32_e32 v14, vcc, s24, v14
	v_mul_f32_e32 v23, v1, v6
	v_addc_co_u32_e32 v15, vcc, v2, v15, vcc
	global_store_dwordx4 v[14:15], v[21:24], off
	v_cvt_f32_f16_sdwa v2, v40 dst_sel:DWORD dst_unused:UNUSED_PAD src0_sel:WORD_1
	v_cvt_f32_f16_e32 v6, v40
	v_cvt_f32_f16_sdwa v14, v39 dst_sel:DWORD dst_unused:UNUSED_PAD src0_sel:WORD_1
	v_cvt_f32_f16_e32 v15, v39
	v_add_u32_e32 v10, 0x80, v10
	v_mul_f32_e32 v24, v1, v2
	v_mul_f32_e32 v23, v1, v6
	;; [unrolled: 1-line block ×4, first 2 shown]
	v_lshlrev_b64 v[1:2], 2, v[10:11]
	v_mov_b32_e32 v6, s25
	v_add_co_u32_e32 v1, vcc, s24, v1
	v_addc_co_u32_e32 v2, vcc, v6, v2, vcc
	global_store_dwordx4 v[1:2], v[21:24], off
	s_and_saveexec_b64 s[10:11], s[6:7]
	s_cbranch_execz .LBB42_56
; %bb.55:
	v_ashrrev_i32_e32 v1, 31, v0
	v_lshlrev_b64 v[0:1], 3, v[0:1]
	v_mov_b32_e32 v2, s27
	v_add_co_u32_e32 v0, vcc, s26, v0
	v_addc_co_u32_e32 v1, vcc, v2, v1, vcc
	v_mov_b32_e32 v6, v3
	global_store_dwordx2 v[0:1], v[6:7], off
.LBB42_56:
	s_or_b64 exec, exec, s[10:11]
	v_cmp_gt_i32_e32 vcc, s30, v20
	s_and_b64 exec, exec, vcc
	s_cbranch_execz .LBB42_45
; %bb.57:
	s_and_b64 vcc, exec, s[4:5]
	v_mov_b32_e32 v1, 1.0
	s_cbranch_vccnz .LBB42_59
; %bb.58:
	v_div_scale_f32 v0, s[10:11], v12, v12, 1.0
	v_div_scale_f32 v1, vcc, 1.0, v12, 1.0
	v_rcp_f32_e32 v2, v0
	v_fma_f32 v3, -v0, v2, 1.0
	v_fmac_f32_e32 v2, v3, v2
	v_mul_f32_e32 v3, v1, v2
	v_fma_f32 v6, -v0, v3, v1
	v_fmac_f32_e32 v3, v6, v2
	v_fma_f32 v0, -v0, v3, v1
	v_div_fmas_f32 v0, v0, v2, v3
	v_div_fixup_f32 v1, v0, v12, 1.0
.LBB42_59:
	v_add_u32_e32 v0, s12, v19
	v_mul_lo_u32 v0, v0, s31
	v_cvt_f32_f16_sdwa v2, v36 dst_sel:DWORD dst_unused:UNUSED_PAD src0_sel:WORD_1
	v_cvt_f32_f16_e32 v3, v36
	v_cvt_f32_f16_sdwa v6, v32 dst_sel:DWORD dst_unused:UNUSED_PAD src0_sel:WORD_1
	v_add_u32_e32 v0, s34, v0
	v_mul_lo_u32 v0, s8, v0
	v_cvt_f32_f16_e32 v7, v32
	v_mul_f32_e32 v22, v1, v2
	v_mul_f32_e32 v21, v1, v3
	v_add_u32_e32 v0, s9, v0
	v_lshl_add_u32 v2, v0, 8, v17
	v_mov_b32_e32 v3, 0
	v_mul_f32_e32 v20, v1, v6
	v_mul_f32_e32 v19, v1, v7
	v_lshlrev_b64 v[6:7], 2, v[2:3]
	v_mov_b32_e32 v10, s25
	v_add_co_u32_e32 v6, vcc, s24, v6
	v_addc_co_u32_e32 v7, vcc, v10, v7, vcc
	global_store_dwordx4 v[6:7], v[19:22], off
	v_cvt_f32_f16_sdwa v6, v35 dst_sel:DWORD dst_unused:UNUSED_PAD src0_sel:WORD_1
	v_cvt_f32_f16_e32 v7, v35
	v_cvt_f32_f16_sdwa v10, v33 dst_sel:DWORD dst_unused:UNUSED_PAD src0_sel:WORD_1
	v_cvt_f32_f16_e32 v11, v33
	v_add_u32_e32 v2, 0x80, v2
	v_mul_f32_e32 v22, v1, v6
	v_mul_f32_e32 v21, v1, v7
	;; [unrolled: 1-line block ×4, first 2 shown]
	v_lshlrev_b64 v[1:2], 2, v[2:3]
	v_mov_b32_e32 v3, s25
	v_add_co_u32_e32 v1, vcc, s24, v1
	v_addc_co_u32_e32 v2, vcc, v3, v2, vcc
	global_store_dwordx4 v[1:2], v[19:22], off
	s_and_saveexec_b64 s[10:11], s[6:7]
	s_cbranch_execz .LBB42_61
; %bb.60:
	v_ashrrev_i32_e32 v1, 31, v0
	v_lshlrev_b64 v[0:1], 3, v[0:1]
	v_mov_b32_e32 v2, s27
	v_add_co_u32_e32 v0, vcc, s26, v0
	v_addc_co_u32_e32 v1, vcc, v2, v1, vcc
	v_mov_b32_e32 v7, v4
	global_store_dwordx2 v[0:1], v[7:8], off
.LBB42_61:
	s_or_b64 exec, exec, s[10:11]
	v_cmp_gt_i32_e32 vcc, s30, v18
	s_and_b64 exec, exec, vcc
	s_cbranch_execz .LBB42_45
; %bb.62:
	s_and_b64 vcc, exec, s[4:5]
	v_mov_b32_e32 v1, 1.0
	s_cbranch_vccnz .LBB42_64
; %bb.63:
	v_div_scale_f32 v0, s[4:5], v13, v13, 1.0
	v_div_scale_f32 v1, vcc, 1.0, v13, 1.0
	v_rcp_f32_e32 v2, v0
	v_fma_f32 v3, -v0, v2, 1.0
	v_fmac_f32_e32 v2, v3, v2
	v_mul_f32_e32 v3, v1, v2
	v_fma_f32 v4, -v0, v3, v1
	v_fmac_f32_e32 v3, v4, v2
	v_fma_f32 v0, -v0, v3, v1
	v_div_fmas_f32 v0, v0, v2, v3
	v_div_fixup_f32 v1, v0, v13, 1.0
.LBB42_64:
	v_add_u32_e32 v0, s12, v16
	v_mul_lo_u32 v0, v0, s31
	v_cvt_f32_f16_e32 v7, v30
	v_cvt_f32_f16_sdwa v2, v31 dst_sel:DWORD dst_unused:UNUSED_PAD src0_sel:WORD_1
	v_cvt_f32_f16_e32 v3, v31
	v_add_u32_e32 v0, s34, v0
	v_mul_lo_u32 v0, s8, v0
	v_cvt_f32_f16_sdwa v4, v30 dst_sel:DWORD dst_unused:UNUSED_PAD src0_sel:WORD_1
	v_mul_f32_e32 v10, v1, v7
	v_mov_b32_e32 v7, 0
	v_add_u32_e32 v0, s9, v0
	v_lshl_add_u32 v6, v0, 8, v17
	v_mul_f32_e32 v13, v1, v2
	v_mul_f32_e32 v12, v1, v3
	v_lshlrev_b64 v[2:3], 2, v[6:7]
	v_mul_f32_e32 v11, v1, v4
	v_mov_b32_e32 v4, s25
	v_add_co_u32_e32 v2, vcc, s24, v2
	v_addc_co_u32_e32 v3, vcc, v4, v3, vcc
	global_store_dwordx4 v[2:3], v[10:13], off
	v_cvt_f32_f16_sdwa v2, v28 dst_sel:DWORD dst_unused:UNUSED_PAD src0_sel:WORD_1
	v_cvt_f32_f16_sdwa v8, v29 dst_sel:DWORD dst_unused:UNUSED_PAD src0_sel:WORD_1
	v_cvt_f32_f16_e32 v3, v28
	v_cvt_f32_f16_e32 v10, v29
	v_add_u32_e32 v6, 0x80, v6
	v_lshlrev_b64 v[6:7], 2, v[6:7]
	v_mul_f32_e32 v4, v1, v2
	v_mul_f32_e32 v2, v1, v8
	v_mov_b32_e32 v8, s25
	v_add_co_u32_e32 v6, vcc, s24, v6
	v_mul_f32_e32 v3, v1, v3
	v_mul_f32_e32 v1, v1, v10
	v_addc_co_u32_e32 v7, vcc, v8, v7, vcc
	global_store_dwordx4 v[6:7], v[1:4], off
	s_and_b64 exec, exec, s[6:7]
	s_cbranch_execz .LBB42_45
; %bb.65:
	v_ashrrev_i32_e32 v1, 31, v0
	v_lshlrev_b64 v[0:1], 3, v[0:1]
	v_mov_b32_e32 v2, s27
	v_add_co_u32_e32 v0, vcc, s26, v0
	v_addc_co_u32_e32 v1, vcc, v2, v1, vcc
	v_mov_b32_e32 v8, v5
	global_store_dwordx2 v[0:1], v[8:9], off
	s_endpgm
	.section	.rodata,"a",@progbits
	.p2align	6, 0x0
	.amdhsa_kernel _ZL15flash_attn_tileILi256ELi256ELi32ELi1ELb0EEvPKcS1_S1_S1_S1_PKiPfP15HIP_vector_typeIfLj2EEffffjfiS5_IjLj3EEiiiiiiiiiiiliiliiiiil
		.amdhsa_group_segment_fixed_size 27136
		.amdhsa_private_segment_fixed_size 32
		.amdhsa_kernarg_size 464
		.amdhsa_user_sgpr_count 8
		.amdhsa_user_sgpr_private_segment_buffer 1
		.amdhsa_user_sgpr_dispatch_ptr 0
		.amdhsa_user_sgpr_queue_ptr 0
		.amdhsa_user_sgpr_kernarg_segment_ptr 1
		.amdhsa_user_sgpr_dispatch_id 0
		.amdhsa_user_sgpr_flat_scratch_init 1
		.amdhsa_user_sgpr_private_segment_size 0
		.amdhsa_uses_dynamic_stack 0
		.amdhsa_system_sgpr_private_segment_wavefront_offset 1
		.amdhsa_system_sgpr_workgroup_id_x 1
		.amdhsa_system_sgpr_workgroup_id_y 1
		.amdhsa_system_sgpr_workgroup_id_z 1
		.amdhsa_system_sgpr_workgroup_info 0
		.amdhsa_system_vgpr_workitem_id 1
		.amdhsa_next_free_vgpr 112
		.amdhsa_next_free_sgpr 96
		.amdhsa_reserve_vcc 1
		.amdhsa_reserve_flat_scratch 1
		.amdhsa_float_round_mode_32 0
		.amdhsa_float_round_mode_16_64 0
		.amdhsa_float_denorm_mode_32 3
		.amdhsa_float_denorm_mode_16_64 3
		.amdhsa_dx10_clamp 1
		.amdhsa_ieee_mode 1
		.amdhsa_fp16_overflow 0
		.amdhsa_exception_fp_ieee_invalid_op 0
		.amdhsa_exception_fp_denorm_src 0
		.amdhsa_exception_fp_ieee_div_zero 0
		.amdhsa_exception_fp_ieee_overflow 0
		.amdhsa_exception_fp_ieee_underflow 0
		.amdhsa_exception_fp_ieee_inexact 0
		.amdhsa_exception_int_div_zero 0
	.end_amdhsa_kernel
	.section	.text._ZL15flash_attn_tileILi256ELi256ELi32ELi1ELb0EEvPKcS1_S1_S1_S1_PKiPfP15HIP_vector_typeIfLj2EEffffjfiS5_IjLj3EEiiiiiiiiiiiliiliiiiil,"axG",@progbits,_ZL15flash_attn_tileILi256ELi256ELi32ELi1ELb0EEvPKcS1_S1_S1_S1_PKiPfP15HIP_vector_typeIfLj2EEffffjfiS5_IjLj3EEiiiiiiiiiiiliiliiiiil,comdat
.Lfunc_end42:
	.size	_ZL15flash_attn_tileILi256ELi256ELi32ELi1ELb0EEvPKcS1_S1_S1_S1_PKiPfP15HIP_vector_typeIfLj2EEffffjfiS5_IjLj3EEiiiiiiiiiiiliiliiiiil, .Lfunc_end42-_ZL15flash_attn_tileILi256ELi256ELi32ELi1ELb0EEvPKcS1_S1_S1_S1_PKiPfP15HIP_vector_typeIfLj2EEffffjfiS5_IjLj3EEiiiiiiiiiiiliiliiiiil
                                        ; -- End function
	.set _ZL15flash_attn_tileILi256ELi256ELi32ELi1ELb0EEvPKcS1_S1_S1_S1_PKiPfP15HIP_vector_typeIfLj2EEffffjfiS5_IjLj3EEiiiiiiiiiiiliiliiiiil.num_vgpr, 112
	.set _ZL15flash_attn_tileILi256ELi256ELi32ELi1ELb0EEvPKcS1_S1_S1_S1_PKiPfP15HIP_vector_typeIfLj2EEffffjfiS5_IjLj3EEiiiiiiiiiiiliiliiiiil.num_agpr, 0
	.set _ZL15flash_attn_tileILi256ELi256ELi32ELi1ELb0EEvPKcS1_S1_S1_S1_PKiPfP15HIP_vector_typeIfLj2EEffffjfiS5_IjLj3EEiiiiiiiiiiiliiliiiiil.numbered_sgpr, 52
	.set _ZL15flash_attn_tileILi256ELi256ELi32ELi1ELb0EEvPKcS1_S1_S1_S1_PKiPfP15HIP_vector_typeIfLj2EEffffjfiS5_IjLj3EEiiiiiiiiiiiliiliiiiil.num_named_barrier, 0
	.set _ZL15flash_attn_tileILi256ELi256ELi32ELi1ELb0EEvPKcS1_S1_S1_S1_PKiPfP15HIP_vector_typeIfLj2EEffffjfiS5_IjLj3EEiiiiiiiiiiiliiliiiiil.private_seg_size, 32
	.set _ZL15flash_attn_tileILi256ELi256ELi32ELi1ELb0EEvPKcS1_S1_S1_S1_PKiPfP15HIP_vector_typeIfLj2EEffffjfiS5_IjLj3EEiiiiiiiiiiiliiliiiiil.uses_vcc, 1
	.set _ZL15flash_attn_tileILi256ELi256ELi32ELi1ELb0EEvPKcS1_S1_S1_S1_PKiPfP15HIP_vector_typeIfLj2EEffffjfiS5_IjLj3EEiiiiiiiiiiiliiliiiiil.uses_flat_scratch, 1
	.set _ZL15flash_attn_tileILi256ELi256ELi32ELi1ELb0EEvPKcS1_S1_S1_S1_PKiPfP15HIP_vector_typeIfLj2EEffffjfiS5_IjLj3EEiiiiiiiiiiiliiliiiiil.has_dyn_sized_stack, 0
	.set _ZL15flash_attn_tileILi256ELi256ELi32ELi1ELb0EEvPKcS1_S1_S1_S1_PKiPfP15HIP_vector_typeIfLj2EEffffjfiS5_IjLj3EEiiiiiiiiiiiliiliiiiil.has_recursion, 0
	.set _ZL15flash_attn_tileILi256ELi256ELi32ELi1ELb0EEvPKcS1_S1_S1_S1_PKiPfP15HIP_vector_typeIfLj2EEffffjfiS5_IjLj3EEiiiiiiiiiiiliiliiiiil.has_indirect_call, 0
	.section	.AMDGPU.csdata,"",@progbits
; Kernel info:
; codeLenInByte = 34452
; TotalNumSgprs: 58
; NumVgprs: 112
; ScratchSize: 32
; MemoryBound: 0
; FloatMode: 240
; IeeeMode: 1
; LDSByteSize: 27136 bytes/workgroup (compile time only)
; SGPRBlocks: 12
; VGPRBlocks: 27
; NumSGPRsForWavesPerEU: 102
; NumVGPRsForWavesPerEU: 112
; Occupancy: 2
; WaveLimiterHint : 1
; COMPUTE_PGM_RSRC2:SCRATCH_EN: 1
; COMPUTE_PGM_RSRC2:USER_SGPR: 8
; COMPUTE_PGM_RSRC2:TRAP_HANDLER: 0
; COMPUTE_PGM_RSRC2:TGID_X_EN: 1
; COMPUTE_PGM_RSRC2:TGID_Y_EN: 1
; COMPUTE_PGM_RSRC2:TGID_Z_EN: 1
; COMPUTE_PGM_RSRC2:TIDIG_COMP_CNT: 1
	.section	.text._ZL25flash_attn_mask_to_KV_maxILi32EEvPK7__half2Piiii,"axG",@progbits,_ZL25flash_attn_mask_to_KV_maxILi32EEvPK7__half2Piiii,comdat
	.globl	_ZL25flash_attn_mask_to_KV_maxILi32EEvPK7__half2Piiii ; -- Begin function _ZL25flash_attn_mask_to_KV_maxILi32EEvPK7__half2Piiii
	.p2align	8
	.type	_ZL25flash_attn_mask_to_KV_maxILi32EEvPK7__half2Piiii,@function
_ZL25flash_attn_mask_to_KV_maxILi32EEvPK7__half2Piiii: ; @_ZL25flash_attn_mask_to_KV_maxILi32EEvPK7__half2Piiii
; %bb.0:
	s_load_dwordx4 s[8:11], s[4:5], 0x0
	v_cmp_gt_u32_e32 vcc, 32, v0
	s_and_saveexec_b64 s[0:1], vcc
; %bb.1:
	v_lshlrev_b32_e32 v1, 2, v0
	v_mov_b32_e32 v2, 1
	ds_write_b32 v1, v2
; %bb.2:
	s_or_b64 exec, exec, s[0:1]
	s_load_dwordx4 s[12:15], s[4:5], 0x10
	s_load_dword s33, s[4:5], 0x20
	v_and_b32_e32 v1, 31, v0
	v_lshlrev_b32_e32 v6, 2, v1
	v_lshrrev_b32_e32 v5, 3, v0
	s_waitcnt lgkmcnt(0)
	s_mul_i32 s1, s6, s13
	s_mul_i32 s0, s14, s7
	s_lshl_b32 s1, s1, 5
	s_add_i32 s0, s0, s1
	s_ashr_i32 s1, s0, 31
	s_lshl_b64 s[0:1], s[0:1], 2
	s_add_u32 s94, s8, s0
	s_addc_u32 s95, s9, s1
	v_cmp_eq_u32_e64 s[0:1], 0, v1
	v_mbcnt_lo_u32_b32 v1, -1, 0
	s_lshl_b32 s12, s12, 8
	s_mov_b64 s[4:5], 0
	v_mov_b32_e32 v2, 0
	s_movk_i32 s92, 0x204
	v_mbcnt_hi_u32_b32 v7, -1, v1
	s_barrier
                                        ; implicit-def: $sgpr2_sgpr3
	s_branch .LBB43_5
.LBB43_3:                               ;   in Loop: Header=BB43_5 Depth=1
	s_or_b64 exec, exec, s[8:9]
	s_waitcnt lgkmcnt(0)
	s_barrier
	ds_read_b32 v10, v6
	s_waitcnt lgkmcnt(0)
	s_barrier
	ds_bpermute_b32 v1, v1, v10
	v_cmp_ne_u32_e32 vcc, 0, v10
	s_waitcnt lgkmcnt(0)
	v_cmp_ne_u32_e64 s[2:3], 0, v1
	s_and_b64 s[2:3], vcc, s[2:3]
	v_cndmask_b32_e64 v1, 0, 1, s[2:3]
	ds_bpermute_b32 v1, v3, v1
	s_waitcnt lgkmcnt(0)
	v_cmp_ne_u32_e32 vcc, 0, v1
	s_and_b64 s[2:3], vcc, s[2:3]
	v_cndmask_b32_e64 v1, 0, 1, s[2:3]
	ds_bpermute_b32 v1, v4, v1
	s_waitcnt lgkmcnt(0)
	v_cmp_ne_u32_e32 vcc, 0, v1
	;; [unrolled: 5-line block ×3, first 2 shown]
	s_and_b64 s[2:3], vcc, s[2:3]
	v_cndmask_b32_e64 v1, 0, 1, s[2:3]
	ds_bpermute_b32 v1, v9, v1
	s_xor_b64 s[2:3], s[2:3], -1
	s_waitcnt lgkmcnt(0)
	v_cmp_eq_u32_e32 vcc, 0, v1
	s_or_b64 s[2:3], vcc, s[2:3]
.LBB43_4:                               ;   in Loop: Header=BB43_5 Depth=1
	s_and_b64 s[8:9], exec, s[2:3]
	s_or_b64 s[4:5], s[8:9], s[4:5]
	v_mov_b32_e32 v1, s12
	s_mov_b32 s12, s93
	s_andn2_b64 exec, exec, s[4:5]
	s_cbranch_execz .LBB43_132
.LBB43_5:                               ; =>This Inner Loop Header: Depth=1
	s_add_i32 s93, s12, 0xffffff00
	s_or_b64 s[2:3], s[2:3], exec
	s_cmp_lt_i32 s93, 0
	s_cbranch_scc1 .LBB43_4
; %bb.6:                                ;   in Loop: Header=BB43_5 Depth=1
	s_lshr_b32 s2, s93, 1
	v_add_u32_e32 v1, s2, v0
	v_lshlrev_b64 v[3:4], 2, v[1:2]
	v_mov_b32_e32 v8, s95
	v_add_co_u32_e32 v3, vcc, s94, v3
	v_addc_co_u32_e32 v4, vcc, v8, v4, vcc
	global_load_dword v3, v[3:4], off
	v_mov_b32_e32 v4, 0
	s_waitcnt vmcnt(0)
	v_cmp_class_f16_e64 s[2:3], v3, s92
	v_cmp_class_f16_sdwa s[8:9], v3, s92 src0_sel:WORD_1 src1_sel:DWORD
	s_and_b64 s[8:9], s[2:3], s[8:9]
	s_and_saveexec_b64 s[2:3], s[8:9]
	s_cbranch_execz .LBB43_130
; %bb.7:                                ;   in Loop: Header=BB43_5 Depth=1
	v_add_u32_e32 v3, s13, v1
	v_ashrrev_i32_e32 v4, 31, v3
	v_lshlrev_b64 v[8:9], 2, v[3:4]
	v_mov_b32_e32 v1, s95
	v_add_co_u32_e32 v8, vcc, s94, v8
	v_addc_co_u32_e32 v9, vcc, v1, v9, vcc
	global_load_dword v1, v[8:9], off
	v_mov_b32_e32 v4, 0
	s_waitcnt vmcnt(0)
	v_cmp_class_f16_e64 s[14:15], v1, s92
	s_and_saveexec_b64 s[8:9], s[14:15]
	s_cbranch_execz .LBB43_129
; %bb.8:                                ;   in Loop: Header=BB43_5 Depth=1
	v_cmp_class_f16_sdwa s[16:17], v1, s92 src0_sel:WORD_1 src1_sel:DWORD
	v_mov_b32_e32 v4, 0
	s_and_saveexec_b64 s[14:15], s[16:17]
	s_cbranch_execz .LBB43_128
; %bb.9:                                ;   in Loop: Header=BB43_5 Depth=1
	v_add_u32_e32 v3, s13, v3
	v_ashrrev_i32_e32 v4, 31, v3
	v_lshlrev_b64 v[8:9], 2, v[3:4]
	v_mov_b32_e32 v1, s95
	v_add_co_u32_e32 v8, vcc, s94, v8
	v_addc_co_u32_e32 v9, vcc, v1, v9, vcc
	global_load_dword v1, v[8:9], off
	v_mov_b32_e32 v4, 0
	s_waitcnt vmcnt(0)
	v_cmp_class_f16_e64 s[18:19], v1, s92
	s_and_saveexec_b64 s[16:17], s[18:19]
	s_cbranch_execz .LBB43_127
; %bb.10:                               ;   in Loop: Header=BB43_5 Depth=1
	v_cmp_class_f16_sdwa s[20:21], v1, s92 src0_sel:WORD_1 src1_sel:DWORD
	v_mov_b32_e32 v4, 0
	s_and_saveexec_b64 s[18:19], s[20:21]
	s_cbranch_execz .LBB43_126
; %bb.11:                               ;   in Loop: Header=BB43_5 Depth=1
	v_add_u32_e32 v3, s13, v3
	v_ashrrev_i32_e32 v4, 31, v3
	v_lshlrev_b64 v[8:9], 2, v[3:4]
	v_mov_b32_e32 v1, s95
	v_add_co_u32_e32 v8, vcc, s94, v8
	v_addc_co_u32_e32 v9, vcc, v1, v9, vcc
	global_load_dword v1, v[8:9], off
	v_mov_b32_e32 v4, 0
	s_waitcnt vmcnt(0)
	v_cmp_class_f16_e64 s[22:23], v1, s92
	s_and_saveexec_b64 s[20:21], s[22:23]
	s_cbranch_execz .LBB43_125
; %bb.12:                               ;   in Loop: Header=BB43_5 Depth=1
	v_cmp_class_f16_sdwa s[24:25], v1, s92 src0_sel:WORD_1 src1_sel:DWORD
	v_mov_b32_e32 v4, 0
	s_and_saveexec_b64 s[22:23], s[24:25]
	s_cbranch_execz .LBB43_124
; %bb.13:                               ;   in Loop: Header=BB43_5 Depth=1
	;; [unrolled: 18-line block ×18, first 2 shown]
	v_add_u32_e32 v3, s13, v3
	v_ashrrev_i32_e32 v4, 31, v3
	v_lshlrev_b64 v[8:9], 2, v[3:4]
	v_mov_b32_e32 v1, s95
	v_add_co_u32_e32 v8, vcc, s94, v8
	v_addc_co_u32_e32 v9, vcc, v1, v9, vcc
	global_load_dword v1, v[8:9], off
	v_mov_b32_e32 v4, 0
	s_waitcnt vmcnt(0)
	v_cmp_class_f16_e64 vcc, v1, s92
	s_mov_b64 s[90:91], exec
                                        ; implicit-def: $vgpr12 : SGPR spill to VGPR lane
	v_writelane_b32 v12, s90, 0
	s_and_b64 vcc, s[90:91], vcc
	v_writelane_b32 v12, s91, 1
	s_mov_b64 exec, vcc
	s_cbranch_execz .LBB43_91
; %bb.46:                               ;   in Loop: Header=BB43_5 Depth=1
	v_mov_b32_e32 v4, 0
	v_cmp_class_f16_sdwa s[90:91], v1, s92 src0_sel:WORD_1 src1_sel:DWORD
	s_mov_b64 vcc, exec
	v_writelane_b32 v12, vcc_lo, 2
	s_and_b64 s[90:91], vcc, s[90:91]
	v_writelane_b32 v12, vcc_hi, 3
	s_mov_b64 exec, s[90:91]
	s_cbranch_execz .LBB43_90
; %bb.47:                               ;   in Loop: Header=BB43_5 Depth=1
	v_add_u32_e32 v3, s13, v3
	v_ashrrev_i32_e32 v4, 31, v3
	v_lshlrev_b64 v[8:9], 2, v[3:4]
	v_mov_b32_e32 v1, s95
	v_add_co_u32_e32 v8, vcc, s94, v8
	v_addc_co_u32_e32 v9, vcc, v1, v9, vcc
	global_load_dword v1, v[8:9], off
	v_mov_b32_e32 v4, 0
	s_waitcnt vmcnt(0)
	v_cmp_class_f16_e64 s[90:91], v1, s92
	s_mov_b64 vcc, exec
	v_writelane_b32 v12, vcc_lo, 4
	s_and_b64 s[90:91], vcc, s[90:91]
	v_writelane_b32 v12, vcc_hi, 5
	s_mov_b64 exec, s[90:91]
	s_cbranch_execz .LBB43_89
; %bb.48:                               ;   in Loop: Header=BB43_5 Depth=1
	v_mov_b32_e32 v4, 0
	v_cmp_class_f16_sdwa s[90:91], v1, s92 src0_sel:WORD_1 src1_sel:DWORD
	s_mov_b64 vcc, exec
	v_writelane_b32 v12, vcc_lo, 6
	s_and_b64 s[90:91], vcc, s[90:91]
	v_writelane_b32 v12, vcc_hi, 7
	s_mov_b64 exec, s[90:91]
	s_cbranch_execz .LBB43_88
; %bb.49:                               ;   in Loop: Header=BB43_5 Depth=1
	v_add_u32_e32 v3, s13, v3
	v_ashrrev_i32_e32 v4, 31, v3
	v_lshlrev_b64 v[8:9], 2, v[3:4]
	v_mov_b32_e32 v1, s95
	v_add_co_u32_e32 v8, vcc, s94, v8
	v_addc_co_u32_e32 v9, vcc, v1, v9, vcc
	global_load_dword v1, v[8:9], off
	v_mov_b32_e32 v4, 0
	s_waitcnt vmcnt(0)
	v_cmp_class_f16_e64 s[90:91], v1, s92
	s_mov_b64 vcc, exec
	v_writelane_b32 v12, vcc_lo, 8
	s_and_b64 s[90:91], vcc, s[90:91]
	v_writelane_b32 v12, vcc_hi, 9
	s_mov_b64 exec, s[90:91]
	;; [unrolled: 26-line block ×11, first 2 shown]
; %bb.68:                               ;   in Loop: Header=BB43_5 Depth=1
	v_cmp_class_f16_sdwa s[90:91], v1, s92 src0_sel:WORD_1 src1_sel:DWORD
	v_cndmask_b32_e64 v4, 0, 1, s[90:91]
; %bb.69:                               ;   in Loop: Header=BB43_5 Depth=1
	v_readlane_b32 s90, v12, 44
	v_readlane_b32 s91, v12, 45
	s_or_b64 exec, exec, s[90:91]
.LBB43_70:                              ;   in Loop: Header=BB43_5 Depth=1
	v_readlane_b32 s90, v12, 42
	v_readlane_b32 s91, v12, 43
	s_or_b64 exec, exec, s[90:91]
.LBB43_71:                              ;   in Loop: Header=BB43_5 Depth=1
	v_readlane_b32 s90, v12, 40
	v_readlane_b32 s91, v12, 41
	s_or_b64 exec, exec, s[90:91]
.LBB43_72:                              ;   in Loop: Header=BB43_5 Depth=1
	v_readlane_b32 s90, v12, 38
	v_readlane_b32 s91, v12, 39
	s_or_b64 exec, exec, s[90:91]
.LBB43_73:                              ;   in Loop: Header=BB43_5 Depth=1
	v_readlane_b32 s90, v12, 36
	v_readlane_b32 s91, v12, 37
	s_or_b64 exec, exec, s[90:91]
.LBB43_74:                              ;   in Loop: Header=BB43_5 Depth=1
	v_readlane_b32 s90, v12, 34
	v_readlane_b32 s91, v12, 35
	s_or_b64 exec, exec, s[90:91]
.LBB43_75:                              ;   in Loop: Header=BB43_5 Depth=1
	v_readlane_b32 s90, v12, 32
	v_readlane_b32 s91, v12, 33
	s_or_b64 exec, exec, s[90:91]
.LBB43_76:                              ;   in Loop: Header=BB43_5 Depth=1
	v_readlane_b32 s90, v12, 30
	v_readlane_b32 s91, v12, 31
	s_or_b64 exec, exec, s[90:91]
.LBB43_77:                              ;   in Loop: Header=BB43_5 Depth=1
	v_readlane_b32 s90, v12, 28
	v_readlane_b32 s91, v12, 29
	s_or_b64 exec, exec, s[90:91]
.LBB43_78:                              ;   in Loop: Header=BB43_5 Depth=1
	v_readlane_b32 s90, v12, 26
	v_readlane_b32 s91, v12, 27
	s_or_b64 exec, exec, s[90:91]
.LBB43_79:                              ;   in Loop: Header=BB43_5 Depth=1
	v_readlane_b32 s90, v12, 24
	v_readlane_b32 s91, v12, 25
	s_or_b64 exec, exec, s[90:91]
.LBB43_80:                              ;   in Loop: Header=BB43_5 Depth=1
	v_readlane_b32 s90, v12, 22
	v_readlane_b32 s91, v12, 23
	s_or_b64 exec, exec, s[90:91]
.LBB43_81:                              ;   in Loop: Header=BB43_5 Depth=1
	v_readlane_b32 s90, v12, 20
	v_readlane_b32 s91, v12, 21
	s_or_b64 exec, exec, s[90:91]
.LBB43_82:                              ;   in Loop: Header=BB43_5 Depth=1
	v_readlane_b32 s90, v12, 18
	v_readlane_b32 s91, v12, 19
	s_or_b64 exec, exec, s[90:91]
.LBB43_83:                              ;   in Loop: Header=BB43_5 Depth=1
	v_readlane_b32 s90, v12, 16
	v_readlane_b32 s91, v12, 17
	s_or_b64 exec, exec, s[90:91]
.LBB43_84:                              ;   in Loop: Header=BB43_5 Depth=1
	v_readlane_b32 s90, v12, 14
	v_readlane_b32 s91, v12, 15
	s_or_b64 exec, exec, s[90:91]
.LBB43_85:                              ;   in Loop: Header=BB43_5 Depth=1
	v_readlane_b32 s90, v12, 12
	v_readlane_b32 s91, v12, 13
	s_or_b64 exec, exec, s[90:91]
.LBB43_86:                              ;   in Loop: Header=BB43_5 Depth=1
	v_readlane_b32 s90, v12, 10
	v_readlane_b32 s91, v12, 11
	s_or_b64 exec, exec, s[90:91]
.LBB43_87:                              ;   in Loop: Header=BB43_5 Depth=1
	v_readlane_b32 s90, v12, 8
	v_readlane_b32 s91, v12, 9
	s_or_b64 exec, exec, s[90:91]
.LBB43_88:                              ;   in Loop: Header=BB43_5 Depth=1
	v_readlane_b32 s90, v12, 6
	v_readlane_b32 s91, v12, 7
	s_or_b64 exec, exec, s[90:91]
.LBB43_89:                              ;   in Loop: Header=BB43_5 Depth=1
	v_readlane_b32 s90, v12, 4
	v_readlane_b32 s91, v12, 5
	s_or_b64 exec, exec, s[90:91]
.LBB43_90:                              ;   in Loop: Header=BB43_5 Depth=1
	v_readlane_b32 s90, v12, 2
	v_readlane_b32 s91, v12, 3
	s_or_b64 exec, exec, s[90:91]
.LBB43_91:                              ;   in Loop: Header=BB43_5 Depth=1
	v_readlane_b32 s90, v12, 0
	v_readlane_b32 s91, v12, 1
	s_or_b64 exec, exec, s[90:91]
.LBB43_92:                              ;   in Loop: Header=BB43_5 Depth=1
	s_or_b64 exec, exec, s[88:89]
.LBB43_93:                              ;   in Loop: Header=BB43_5 Depth=1
	s_or_b64 exec, exec, s[86:87]
.LBB43_94:                              ;   in Loop: Header=BB43_5 Depth=1
	s_or_b64 exec, exec, s[84:85]
.LBB43_95:                              ;   in Loop: Header=BB43_5 Depth=1
	s_or_b64 exec, exec, s[82:83]
.LBB43_96:                              ;   in Loop: Header=BB43_5 Depth=1
	s_or_b64 exec, exec, s[80:81]
.LBB43_97:                              ;   in Loop: Header=BB43_5 Depth=1
	s_or_b64 exec, exec, s[78:79]
.LBB43_98:                              ;   in Loop: Header=BB43_5 Depth=1
	s_or_b64 exec, exec, s[76:77]
.LBB43_99:                              ;   in Loop: Header=BB43_5 Depth=1
	s_or_b64 exec, exec, s[74:75]
.LBB43_100:                             ;   in Loop: Header=BB43_5 Depth=1
	s_or_b64 exec, exec, s[72:73]
.LBB43_101:                             ;   in Loop: Header=BB43_5 Depth=1
	s_or_b64 exec, exec, s[70:71]
.LBB43_102:                             ;   in Loop: Header=BB43_5 Depth=1
	s_or_b64 exec, exec, s[68:69]
.LBB43_103:                             ;   in Loop: Header=BB43_5 Depth=1
	s_or_b64 exec, exec, s[66:67]
.LBB43_104:                             ;   in Loop: Header=BB43_5 Depth=1
	s_or_b64 exec, exec, s[64:65]
.LBB43_105:                             ;   in Loop: Header=BB43_5 Depth=1
	s_or_b64 exec, exec, s[62:63]
.LBB43_106:                             ;   in Loop: Header=BB43_5 Depth=1
	s_or_b64 exec, exec, s[60:61]
.LBB43_107:                             ;   in Loop: Header=BB43_5 Depth=1
	s_or_b64 exec, exec, s[58:59]
.LBB43_108:                             ;   in Loop: Header=BB43_5 Depth=1
	s_or_b64 exec, exec, s[56:57]
.LBB43_109:                             ;   in Loop: Header=BB43_5 Depth=1
	s_or_b64 exec, exec, s[54:55]
.LBB43_110:                             ;   in Loop: Header=BB43_5 Depth=1
	s_or_b64 exec, exec, s[52:53]
.LBB43_111:                             ;   in Loop: Header=BB43_5 Depth=1
	s_or_b64 exec, exec, s[50:51]
.LBB43_112:                             ;   in Loop: Header=BB43_5 Depth=1
	s_or_b64 exec, exec, s[48:49]
.LBB43_113:                             ;   in Loop: Header=BB43_5 Depth=1
	s_or_b64 exec, exec, s[46:47]
.LBB43_114:                             ;   in Loop: Header=BB43_5 Depth=1
	s_or_b64 exec, exec, s[44:45]
.LBB43_115:                             ;   in Loop: Header=BB43_5 Depth=1
	s_or_b64 exec, exec, s[42:43]
.LBB43_116:                             ;   in Loop: Header=BB43_5 Depth=1
	s_or_b64 exec, exec, s[40:41]
.LBB43_117:                             ;   in Loop: Header=BB43_5 Depth=1
	s_or_b64 exec, exec, s[38:39]
.LBB43_118:                             ;   in Loop: Header=BB43_5 Depth=1
	s_or_b64 exec, exec, s[36:37]
.LBB43_119:                             ;   in Loop: Header=BB43_5 Depth=1
	s_or_b64 exec, exec, s[34:35]
.LBB43_120:                             ;   in Loop: Header=BB43_5 Depth=1
	s_or_b64 exec, exec, s[30:31]
.LBB43_121:                             ;   in Loop: Header=BB43_5 Depth=1
	s_or_b64 exec, exec, s[28:29]
.LBB43_122:                             ;   in Loop: Header=BB43_5 Depth=1
	s_or_b64 exec, exec, s[26:27]
.LBB43_123:                             ;   in Loop: Header=BB43_5 Depth=1
	s_or_b64 exec, exec, s[24:25]
.LBB43_124:                             ;   in Loop: Header=BB43_5 Depth=1
	s_or_b64 exec, exec, s[22:23]
.LBB43_125:                             ;   in Loop: Header=BB43_5 Depth=1
	s_or_b64 exec, exec, s[20:21]
.LBB43_126:                             ;   in Loop: Header=BB43_5 Depth=1
	s_or_b64 exec, exec, s[18:19]
.LBB43_127:                             ;   in Loop: Header=BB43_5 Depth=1
	s_or_b64 exec, exec, s[16:17]
.LBB43_128:                             ;   in Loop: Header=BB43_5 Depth=1
	s_or_b64 exec, exec, s[14:15]
.LBB43_129:                             ;   in Loop: Header=BB43_5 Depth=1
	s_or_b64 exec, exec, s[8:9]
.LBB43_130:                             ;   in Loop: Header=BB43_5 Depth=1
	s_or_b64 exec, exec, s[2:3]
	v_and_b32_e32 v1, 0x60, v7
	v_add_u32_e32 v9, 32, v1
	v_xor_b32_e32 v1, 16, v7
	v_cmp_lt_i32_e32 vcc, v1, v9
	v_cndmask_b32_e32 v1, v7, v1, vcc
	v_lshlrev_b32_e32 v1, 2, v1
	ds_bpermute_b32 v3, v1, v4
	v_cmp_ne_u32_e32 vcc, 0, v4
	v_xor_b32_e32 v11, 1, v7
	s_waitcnt lgkmcnt(0)
	v_cmp_ne_u32_e64 s[2:3], 0, v3
	v_xor_b32_e32 v3, 8, v7
	s_and_b64 s[2:3], vcc, s[2:3]
	v_cmp_lt_i32_e32 vcc, v3, v9
	v_cndmask_b32_e32 v3, v7, v3, vcc
	v_cndmask_b32_e64 v4, 0, 1, s[2:3]
	v_lshlrev_b32_e32 v3, 2, v3
	ds_bpermute_b32 v4, v3, v4
	s_waitcnt lgkmcnt(0)
	v_cmp_ne_u32_e32 vcc, 0, v4
	v_xor_b32_e32 v4, 4, v7
	s_and_b64 s[2:3], vcc, s[2:3]
	v_cmp_lt_i32_e32 vcc, v4, v9
	v_cndmask_b32_e32 v4, v7, v4, vcc
	v_cndmask_b32_e64 v8, 0, 1, s[2:3]
	v_lshlrev_b32_e32 v4, 2, v4
	ds_bpermute_b32 v8, v4, v8
	s_waitcnt lgkmcnt(0)
	v_cmp_ne_u32_e32 vcc, 0, v8
	v_xor_b32_e32 v8, 2, v7
	s_and_b64 s[2:3], vcc, s[2:3]
	v_cmp_lt_i32_e32 vcc, v8, v9
	v_cndmask_b32_e32 v8, v7, v8, vcc
	v_cndmask_b32_e64 v10, 0, 1, s[2:3]
	v_lshlrev_b32_e32 v8, 2, v8
	ds_bpermute_b32 v10, v8, v10
	s_waitcnt lgkmcnt(0)
	v_cmp_ne_u32_e32 vcc, 0, v10
	s_and_b64 s[2:3], vcc, s[2:3]
	v_cmp_lt_i32_e32 vcc, v11, v9
	v_cndmask_b32_e32 v9, v7, v11, vcc
	v_cndmask_b32_e64 v10, 0, 1, s[2:3]
	v_lshlrev_b32_e32 v9, 2, v9
	ds_bpermute_b32 v10, v9, v10
	s_and_saveexec_b64 s[8:9], s[0:1]
	s_cbranch_execz .LBB43_3
; %bb.131:                              ;   in Loop: Header=BB43_5 Depth=1
	s_waitcnt lgkmcnt(0)
	v_cmp_ne_u32_e32 vcc, 0, v10
	s_and_b64 s[2:3], vcc, s[2:3]
	v_cndmask_b32_e64 v10, 0, 1, s[2:3]
	ds_write_b32 v5, v10
	s_branch .LBB43_3
.LBB43_132:
	s_or_b64 exec, exec, s[4:5]
	v_cmp_eq_u32_e32 vcc, 0, v0
	s_and_saveexec_b64 s[0:1], vcc
	s_cbranch_execz .LBB43_134
; %bb.133:
	s_mul_i32 s0, s33, s7
	s_add_i32 s0, s0, s6
	s_ashr_i32 s1, s0, 31
	s_lshl_b64 s[0:1], s[0:1], 2
	s_add_u32 s0, s10, s0
	s_addc_u32 s1, s11, s1
	v_mov_b32_e32 v0, 0
	global_store_dword v0, v1, s[0:1]
.LBB43_134:
	s_endpgm
	.section	.rodata,"a",@progbits
	.p2align	6, 0x0
	.amdhsa_kernel _ZL25flash_attn_mask_to_KV_maxILi32EEvPK7__half2Piiii
		.amdhsa_group_segment_fixed_size 128
		.amdhsa_private_segment_fixed_size 0
		.amdhsa_kernarg_size 288
		.amdhsa_user_sgpr_count 6
		.amdhsa_user_sgpr_private_segment_buffer 1
		.amdhsa_user_sgpr_dispatch_ptr 0
		.amdhsa_user_sgpr_queue_ptr 0
		.amdhsa_user_sgpr_kernarg_segment_ptr 1
		.amdhsa_user_sgpr_dispatch_id 0
		.amdhsa_user_sgpr_flat_scratch_init 0
		.amdhsa_user_sgpr_private_segment_size 0
		.amdhsa_uses_dynamic_stack 0
		.amdhsa_system_sgpr_private_segment_wavefront_offset 0
		.amdhsa_system_sgpr_workgroup_id_x 1
		.amdhsa_system_sgpr_workgroup_id_y 1
		.amdhsa_system_sgpr_workgroup_id_z 0
		.amdhsa_system_sgpr_workgroup_info 0
		.amdhsa_system_vgpr_workitem_id 0
		.amdhsa_next_free_vgpr 13
		.amdhsa_next_free_sgpr 96
		.amdhsa_reserve_vcc 1
		.amdhsa_reserve_flat_scratch 0
		.amdhsa_float_round_mode_32 0
		.amdhsa_float_round_mode_16_64 0
		.amdhsa_float_denorm_mode_32 3
		.amdhsa_float_denorm_mode_16_64 3
		.amdhsa_dx10_clamp 1
		.amdhsa_ieee_mode 1
		.amdhsa_fp16_overflow 0
		.amdhsa_exception_fp_ieee_invalid_op 0
		.amdhsa_exception_fp_denorm_src 0
		.amdhsa_exception_fp_ieee_div_zero 0
		.amdhsa_exception_fp_ieee_overflow 0
		.amdhsa_exception_fp_ieee_underflow 0
		.amdhsa_exception_fp_ieee_inexact 0
		.amdhsa_exception_int_div_zero 0
	.end_amdhsa_kernel
	.section	.text._ZL25flash_attn_mask_to_KV_maxILi32EEvPK7__half2Piiii,"axG",@progbits,_ZL25flash_attn_mask_to_KV_maxILi32EEvPK7__half2Piiii,comdat
.Lfunc_end43:
	.size	_ZL25flash_attn_mask_to_KV_maxILi32EEvPK7__half2Piiii, .Lfunc_end43-_ZL25flash_attn_mask_to_KV_maxILi32EEvPK7__half2Piiii
                                        ; -- End function
	.set _ZL25flash_attn_mask_to_KV_maxILi32EEvPK7__half2Piiii.num_vgpr, 13
	.set _ZL25flash_attn_mask_to_KV_maxILi32EEvPK7__half2Piiii.num_agpr, 0
	.set _ZL25flash_attn_mask_to_KV_maxILi32EEvPK7__half2Piiii.numbered_sgpr, 96
	.set _ZL25flash_attn_mask_to_KV_maxILi32EEvPK7__half2Piiii.num_named_barrier, 0
	.set _ZL25flash_attn_mask_to_KV_maxILi32EEvPK7__half2Piiii.private_seg_size, 0
	.set _ZL25flash_attn_mask_to_KV_maxILi32EEvPK7__half2Piiii.uses_vcc, 1
	.set _ZL25flash_attn_mask_to_KV_maxILi32EEvPK7__half2Piiii.uses_flat_scratch, 0
	.set _ZL25flash_attn_mask_to_KV_maxILi32EEvPK7__half2Piiii.has_dyn_sized_stack, 0
	.set _ZL25flash_attn_mask_to_KV_maxILi32EEvPK7__half2Piiii.has_recursion, 0
	.set _ZL25flash_attn_mask_to_KV_maxILi32EEvPK7__half2Piiii.has_indirect_call, 0
	.section	.AMDGPU.csdata,"",@progbits
; Kernel info:
; codeLenInByte = 4392
; TotalNumSgprs: 100
; NumVgprs: 13
; ScratchSize: 0
; MemoryBound: 0
; FloatMode: 240
; IeeeMode: 1
; LDSByteSize: 128 bytes/workgroup (compile time only)
; SGPRBlocks: 12
; VGPRBlocks: 3
; NumSGPRsForWavesPerEU: 100
; NumVGPRsForWavesPerEU: 13
; Occupancy: 8
; WaveLimiterHint : 0
; COMPUTE_PGM_RSRC2:SCRATCH_EN: 0
; COMPUTE_PGM_RSRC2:USER_SGPR: 6
; COMPUTE_PGM_RSRC2:TRAP_HANDLER: 0
; COMPUTE_PGM_RSRC2:TGID_X_EN: 1
; COMPUTE_PGM_RSRC2:TGID_Y_EN: 1
; COMPUTE_PGM_RSRC2:TGID_Z_EN: 0
; COMPUTE_PGM_RSRC2:TIDIG_COMP_CNT: 0
	.section	.text._ZL33flash_attn_stream_k_fixup_uniformILi256ELi32ELi1EEvPfPK15HIP_vector_typeIfLj2EEiiiiiiS1_IjLj3EES5_S5_,"axG",@progbits,_ZL33flash_attn_stream_k_fixup_uniformILi256ELi32ELi1EEvPfPK15HIP_vector_typeIfLj2EEiiiiiiS1_IjLj3EES5_S5_,comdat
	.globl	_ZL33flash_attn_stream_k_fixup_uniformILi256ELi32ELi1EEvPfPK15HIP_vector_typeIfLj2EEiiiiiiS1_IjLj3EES5_S5_ ; -- Begin function _ZL33flash_attn_stream_k_fixup_uniformILi256ELi32ELi1EEvPfPK15HIP_vector_typeIfLj2EEiiiiiiS1_IjLj3EES5_S5_
	.p2align	8
	.type	_ZL33flash_attn_stream_k_fixup_uniformILi256ELi32ELi1EEvPfPK15HIP_vector_typeIfLj2EEiiiiiiS1_IjLj3EES5_S5_,@function
_ZL33flash_attn_stream_k_fixup_uniformILi256ELi32ELi1EEvPfPK15HIP_vector_typeIfLj2EEiiiiiiS1_IjLj3EES5_S5_: ; @_ZL33flash_attn_stream_k_fixup_uniformILi256ELi32ELi1EEvPfPK15HIP_vector_typeIfLj2EEiiiiiiS1_IjLj3EES5_S5_
; %bb.0:
	s_load_dwordx8 s[12:19], s[4:5], 0x1c
	s_load_dwordx2 s[10:11], s[4:5], 0x10
	s_load_dwordx4 s[0:3], s[4:5], 0x3c
	s_waitcnt lgkmcnt(0)
	s_mul_hi_u32 s9, s15, s6
	s_add_i32 s9, s6, s9
	s_lshr_b32 s9, s9, s16
	s_mul_i32 s15, s9, s17
	s_sub_i32 s15, s6, s15
	s_mul_hi_u32 s16, s15, s18
	s_add_i32 s16, s15, s16
	s_lshr_b32 s16, s16, s19
	s_mul_i32 s0, s16, s0
	s_sub_i32 s0, s15, s0
	;; [unrolled: 5-line block ×3, first 2 shown]
	s_lshl_b32 s0, s17, 5
	s_add_i32 s0, s0, s7
	s_cmp_lt_i32 s0, s10
	s_cselect_b64 s[0:1], -1, 0
	s_add_i32 s2, s15, s8
	s_cmp_lt_i32 s2, s13
	s_cselect_b64 s[2:3], -1, 0
	s_and_b64 s[0:1], s[0:1], s[2:3]
	s_andn2_b64 vcc, exec, s[0:1]
	s_cbranch_vccnz .LBB44_6
; %bb.1:
	s_load_dwordx4 s[0:3], s[4:5], 0x0
	s_mul_i32 s4, s9, s10
	s_add_i32 s4, s4, s7
	s_mul_i32 s4, s4, s11
	s_mul_i32 s16, s16, s13
	s_add_i32 s4, s4, s8
	s_add_i32 s4, s4, s16
	s_mul_i32 s5, s11, s17
	s_add_i32 s4, s4, s15
	s_lshl_b32 s5, s5, 13
	s_lshl_b32 s4, s4, 8
	s_add_i32 s5, s5, s4
	v_or_b32_e32 v1, s5, v0
	v_ashrrev_i32_e32 v2, 31, v1
	v_lshlrev_b64 v[1:2], 2, v[1:2]
	s_waitcnt lgkmcnt(0)
	v_mov_b32_e32 v3, s1
	v_add_co_u32_e32 v1, vcc, s0, v1
	v_addc_co_u32_e32 v2, vcc, v3, v2, vcc
	global_load_dword v8, v[1:2], off
	s_add_i32 s4, s7, s8
	s_mul_i32 s7, s14, s6
	s_add_i32 s5, s7, s14
	s_lshl_b32 s0, s5, 5
	s_add_i32 s0, s4, s0
	s_sub_i32 s0, s0, 32
	s_ashr_i32 s1, s0, 31
	s_lshl_b64 s[0:1], s[0:1], 3
	s_add_u32 s0, s2, s0
	s_addc_u32 s1, s3, s1
	s_load_dword s10, s[0:1], 0x4
	s_add_i32 s8, s5, -2
	s_cmp_lt_i32 s8, s7
	s_cbranch_scc1 .LBB44_4
; %bb.2:
	s_lshl_b32 s8, s12, 7
	s_ashr_i32 s9, s8, 31
	s_lshl_b64 s[8:9], s[8:9], 2
	s_add_u32 s8, s2, s8
	s_addc_u32 s11, s3, s9
	s_add_i32 s6, s6, 1
	s_add_i32 s9, s5, -1
	s_mul_i32 s5, s14, s6
	s_load_dword s0, s[0:1], 0x0
	s_lshl_b32 s1, s4, 8
	s_lshl_b32 s6, s5, 13
	s_add_i32 s1, s1, s6
	v_or_b32_e32 v0, s1, v0
	s_lshl_b32 s1, s5, 5
	s_add_i32 s1, s4, s1
	s_lshl_b32 s4, s12, 5
	s_add_i32 s1, s1, s4
	v_add_u32_e32 v3, 0xffffc000, v0
	s_sub_i32 s4, s1, 64
	s_waitcnt lgkmcnt(0)
	v_mov_b32_e32 v7, s10
	v_mov_b32_e32 v6, s0
	;; [unrolled: 1-line block ×3, first 2 shown]
	s_mov_b32 s6, 0x3fb8aa3b
	s_mov_b32 s10, 0xc2ce8ed0
	s_mov_b32 s11, 0x42b17218
	v_mov_b32_e32 v5, 0x7f800000
	s_mov_b32 s12, 0xc1a00000
.LBB44_3:                               ; =>This Inner Loop Header: Depth=1
	v_ashrrev_i32_e32 v4, 31, v3
	v_lshlrev_b64 v[9:10], 2, v[3:4]
	s_ashr_i32 s5, s4, 31
	v_add_co_u32_e32 v9, vcc, s8, v9
	v_addc_co_u32_e32 v10, vcc, v0, v10, vcc
	global_load_dword v4, v[9:10], off
	s_lshl_b64 s[0:1], s[4:5], 3
	s_add_u32 s0, s2, s0
	s_addc_u32 s1, s3, s1
	s_load_dwordx2 s[14:15], s[0:1], 0x0
	s_waitcnt vmcnt(1)
	v_mov_b32_e32 v9, v8
	v_max_f32_e32 v8, v6, v6
	v_mov_b32_e32 v10, v7
	s_add_i32 s9, s9, -1
	s_waitcnt lgkmcnt(0)
	v_max_f32_e64 v7, s14, s14
	v_max_f32_e32 v7, v8, v7
	v_sub_f32_e32 v11, s14, v7
	v_sub_f32_e32 v8, v6, v7
	v_mul_f32_e32 v12, 0x3fb8aa3b, v11
	v_mov_b32_e32 v6, v7
	v_mul_f32_e32 v7, 0x3fb8aa3b, v8
	v_fma_f32 v15, v11, s6, -v12
	v_rndne_f32_e32 v16, v12
	v_fma_f32 v13, v8, s6, -v7
	v_rndne_f32_e32 v14, v7
	v_fmac_f32_e32 v15, 0x32a5705f, v11
	v_sub_f32_e32 v12, v12, v16
	v_fmac_f32_e32 v13, 0x32a5705f, v8
	v_sub_f32_e32 v7, v7, v14
	v_add_f32_e32 v12, v12, v15
	v_cvt_i32_f32_e32 v16, v16
	v_add_f32_e32 v7, v7, v13
	v_exp_f32_e32 v12, v12
	v_cvt_i32_f32_e32 v14, v14
	v_exp_f32_e32 v7, v7
	v_cmp_ngt_f32_e32 vcc, s10, v11
	v_ldexp_f32 v12, v12, v16
	v_cmp_ngt_f32_e64 s[0:1], s10, v8
	v_ldexp_f32 v7, v7, v14
	v_cndmask_b32_e32 v12, 0, v12, vcc
	v_cmp_nlt_f32_e32 vcc, s11, v11
	v_cndmask_b32_e64 v7, 0, v7, s[0:1]
	v_cmp_nlt_f32_e64 s[0:1], s11, v8
	v_cndmask_b32_e32 v12, v5, v12, vcc
	v_cmp_le_f32_e32 vcc, s12, v11
	v_cndmask_b32_e64 v7, v5, v7, s[0:1]
	v_cmp_le_f32_e64 s[0:1], s12, v8
	v_cndmask_b32_e32 v8, 0, v12, vcc
	s_sub_i32 s4, s4, 32
	v_cndmask_b32_e64 v11, 0, v7, s[0:1]
	v_mul_f32_e32 v7, s15, v8
	v_add_u32_e32 v3, 0xffffe000, v3
	s_cmp_le_i32 s9, s7
	v_fmac_f32_e32 v7, v10, v11
	s_waitcnt vmcnt(0)
	v_mul_f32_e32 v8, v4, v8
	v_fmac_f32_e32 v8, v9, v11
	s_cbranch_scc0 .LBB44_3
	s_branch .LBB44_5
.LBB44_4:
	s_waitcnt lgkmcnt(0)
	v_mov_b32_e32 v7, s10
.LBB44_5:
	s_waitcnt vmcnt(0)
	v_div_scale_f32 v0, s[0:1], v7, v7, v8
	v_div_scale_f32 v3, vcc, v8, v7, v8
	v_rcp_f32_e32 v4, v0
	v_fma_f32 v5, -v0, v4, 1.0
	v_fmac_f32_e32 v4, v5, v4
	v_mul_f32_e32 v5, v3, v4
	v_fma_f32 v6, -v0, v5, v3
	v_fmac_f32_e32 v5, v6, v4
	v_fma_f32 v0, -v0, v5, v3
	v_div_fmas_f32 v0, v0, v4, v5
	v_div_fixup_f32 v0, v0, v7, v8
	global_store_dword v[1:2], v0, off
.LBB44_6:
	s_endpgm
	.section	.rodata,"a",@progbits
	.p2align	6, 0x0
	.amdhsa_kernel _ZL33flash_attn_stream_k_fixup_uniformILi256ELi32ELi1EEvPfPK15HIP_vector_typeIfLj2EEiiiiiiS1_IjLj3EES5_S5_
		.amdhsa_group_segment_fixed_size 0
		.amdhsa_private_segment_fixed_size 0
		.amdhsa_kernarg_size 76
		.amdhsa_user_sgpr_count 6
		.amdhsa_user_sgpr_private_segment_buffer 1
		.amdhsa_user_sgpr_dispatch_ptr 0
		.amdhsa_user_sgpr_queue_ptr 0
		.amdhsa_user_sgpr_kernarg_segment_ptr 1
		.amdhsa_user_sgpr_dispatch_id 0
		.amdhsa_user_sgpr_flat_scratch_init 0
		.amdhsa_user_sgpr_private_segment_size 0
		.amdhsa_uses_dynamic_stack 0
		.amdhsa_system_sgpr_private_segment_wavefront_offset 0
		.amdhsa_system_sgpr_workgroup_id_x 1
		.amdhsa_system_sgpr_workgroup_id_y 1
		.amdhsa_system_sgpr_workgroup_id_z 1
		.amdhsa_system_sgpr_workgroup_info 0
		.amdhsa_system_vgpr_workitem_id 0
		.amdhsa_next_free_vgpr 17
		.amdhsa_next_free_sgpr 20
		.amdhsa_reserve_vcc 1
		.amdhsa_reserve_flat_scratch 0
		.amdhsa_float_round_mode_32 0
		.amdhsa_float_round_mode_16_64 0
		.amdhsa_float_denorm_mode_32 3
		.amdhsa_float_denorm_mode_16_64 3
		.amdhsa_dx10_clamp 1
		.amdhsa_ieee_mode 1
		.amdhsa_fp16_overflow 0
		.amdhsa_exception_fp_ieee_invalid_op 0
		.amdhsa_exception_fp_denorm_src 0
		.amdhsa_exception_fp_ieee_div_zero 0
		.amdhsa_exception_fp_ieee_overflow 0
		.amdhsa_exception_fp_ieee_underflow 0
		.amdhsa_exception_fp_ieee_inexact 0
		.amdhsa_exception_int_div_zero 0
	.end_amdhsa_kernel
	.section	.text._ZL33flash_attn_stream_k_fixup_uniformILi256ELi32ELi1EEvPfPK15HIP_vector_typeIfLj2EEiiiiiiS1_IjLj3EES5_S5_,"axG",@progbits,_ZL33flash_attn_stream_k_fixup_uniformILi256ELi32ELi1EEvPfPK15HIP_vector_typeIfLj2EEiiiiiiS1_IjLj3EES5_S5_,comdat
.Lfunc_end44:
	.size	_ZL33flash_attn_stream_k_fixup_uniformILi256ELi32ELi1EEvPfPK15HIP_vector_typeIfLj2EEiiiiiiS1_IjLj3EES5_S5_, .Lfunc_end44-_ZL33flash_attn_stream_k_fixup_uniformILi256ELi32ELi1EEvPfPK15HIP_vector_typeIfLj2EEiiiiiiS1_IjLj3EES5_S5_
                                        ; -- End function
	.set _ZL33flash_attn_stream_k_fixup_uniformILi256ELi32ELi1EEvPfPK15HIP_vector_typeIfLj2EEiiiiiiS1_IjLj3EES5_S5_.num_vgpr, 17
	.set _ZL33flash_attn_stream_k_fixup_uniformILi256ELi32ELi1EEvPfPK15HIP_vector_typeIfLj2EEiiiiiiS1_IjLj3EES5_S5_.num_agpr, 0
	.set _ZL33flash_attn_stream_k_fixup_uniformILi256ELi32ELi1EEvPfPK15HIP_vector_typeIfLj2EEiiiiiiS1_IjLj3EES5_S5_.numbered_sgpr, 20
	.set _ZL33flash_attn_stream_k_fixup_uniformILi256ELi32ELi1EEvPfPK15HIP_vector_typeIfLj2EEiiiiiiS1_IjLj3EES5_S5_.num_named_barrier, 0
	.set _ZL33flash_attn_stream_k_fixup_uniformILi256ELi32ELi1EEvPfPK15HIP_vector_typeIfLj2EEiiiiiiS1_IjLj3EES5_S5_.private_seg_size, 0
	.set _ZL33flash_attn_stream_k_fixup_uniformILi256ELi32ELi1EEvPfPK15HIP_vector_typeIfLj2EEiiiiiiS1_IjLj3EES5_S5_.uses_vcc, 1
	.set _ZL33flash_attn_stream_k_fixup_uniformILi256ELi32ELi1EEvPfPK15HIP_vector_typeIfLj2EEiiiiiiS1_IjLj3EES5_S5_.uses_flat_scratch, 0
	.set _ZL33flash_attn_stream_k_fixup_uniformILi256ELi32ELi1EEvPfPK15HIP_vector_typeIfLj2EEiiiiiiS1_IjLj3EES5_S5_.has_dyn_sized_stack, 0
	.set _ZL33flash_attn_stream_k_fixup_uniformILi256ELi32ELi1EEvPfPK15HIP_vector_typeIfLj2EEiiiiiiS1_IjLj3EES5_S5_.has_recursion, 0
	.set _ZL33flash_attn_stream_k_fixup_uniformILi256ELi32ELi1EEvPfPK15HIP_vector_typeIfLj2EEiiiiiiS1_IjLj3EES5_S5_.has_indirect_call, 0
	.section	.AMDGPU.csdata,"",@progbits
; Kernel info:
; codeLenInByte = 836
; TotalNumSgprs: 24
; NumVgprs: 17
; ScratchSize: 0
; MemoryBound: 0
; FloatMode: 240
; IeeeMode: 1
; LDSByteSize: 0 bytes/workgroup (compile time only)
; SGPRBlocks: 2
; VGPRBlocks: 4
; NumSGPRsForWavesPerEU: 24
; NumVGPRsForWavesPerEU: 17
; Occupancy: 10
; WaveLimiterHint : 0
; COMPUTE_PGM_RSRC2:SCRATCH_EN: 0
; COMPUTE_PGM_RSRC2:USER_SGPR: 6
; COMPUTE_PGM_RSRC2:TRAP_HANDLER: 0
; COMPUTE_PGM_RSRC2:TGID_X_EN: 1
; COMPUTE_PGM_RSRC2:TGID_Y_EN: 1
; COMPUTE_PGM_RSRC2:TGID_Z_EN: 1
; COMPUTE_PGM_RSRC2:TIDIG_COMP_CNT: 0
	.section	.text._ZL33flash_attn_stream_k_fixup_generalILi256ELi32ELi1EEvPfPK15HIP_vector_typeIfLj2EEiiiiS1_IjLj3EES5_S5_S5_,"axG",@progbits,_ZL33flash_attn_stream_k_fixup_generalILi256ELi32ELi1EEvPfPK15HIP_vector_typeIfLj2EEiiiiS1_IjLj3EES5_S5_S5_,comdat
	.globl	_ZL33flash_attn_stream_k_fixup_generalILi256ELi32ELi1EEvPfPK15HIP_vector_typeIfLj2EEiiiiS1_IjLj3EES5_S5_S5_ ; -- Begin function _ZL33flash_attn_stream_k_fixup_generalILi256ELi32ELi1EEvPfPK15HIP_vector_typeIfLj2EEiiiiS1_IjLj3EES5_S5_S5_
	.p2align	8
	.type	_ZL33flash_attn_stream_k_fixup_generalILi256ELi32ELi1EEvPfPK15HIP_vector_typeIfLj2EEiiiiS1_IjLj3EES5_S5_S5_,@function
_ZL33flash_attn_stream_k_fixup_generalILi256ELi32ELi1EEvPfPK15HIP_vector_typeIfLj2EEiiiiS1_IjLj3EES5_S5_S5_: ; @_ZL33flash_attn_stream_k_fixup_generalILi256ELi32ELi1EEvPfPK15HIP_vector_typeIfLj2EEiiiiS1_IjLj3EES5_S5_S5_
; %bb.0:
	s_load_dwordx4 s[0:3], s[4:5], 0x10
	s_load_dword s22, s[4:5], 0x50
	s_mov_b32 s12, 0
	s_waitcnt lgkmcnt(0)
	s_mul_hi_i32 s13, s3, s6
	s_cmp_lg_u64 s[12:13], 0
	s_mul_i32 s9, s3, s6
	s_cbranch_scc0 .LBB45_20
; %bb.1:
	s_add_u32 s10, s22, 0
	s_addc_u32 s11, 0, 0
	s_xor_b64 s[10:11], s[10:11], 0
	v_cvt_f32_u32_e32 v1, s10
	v_cvt_f32_u32_e32 v2, s11
	s_sub_u32 s12, 0, s10
	s_subb_u32 s18, 0, s11
	v_madmk_f32 v1, v2, 0x4f800000, v1
	v_rcp_f32_e32 v1, v1
	v_mul_f32_e32 v1, 0x5f7ffffc, v1
	v_mul_f32_e32 v2, 0x2f800000, v1
	v_trunc_f32_e32 v2, v2
	v_madmk_f32 v1, v2, 0xcf800000, v1
	v_cvt_u32_f32_e32 v2, v2
	v_cvt_u32_f32_e32 v1, v1
	v_readfirstlane_b32 s19, v2
	v_readfirstlane_b32 s14, v1
	s_mul_i32 s15, s12, s19
	s_mul_hi_u32 s21, s12, s14
	s_mul_i32 s20, s18, s14
	s_add_i32 s15, s21, s15
	s_add_i32 s15, s15, s20
	s_mul_i32 s23, s12, s14
	s_mul_i32 s21, s14, s15
	s_mul_hi_u32 s24, s14, s23
	s_mul_hi_u32 s20, s14, s15
	s_add_u32 s21, s24, s21
	s_addc_u32 s20, 0, s20
	s_mul_hi_u32 s25, s19, s23
	s_mul_i32 s23, s19, s23
	s_add_u32 s21, s21, s23
	s_mul_hi_u32 s24, s19, s15
	s_addc_u32 s20, s20, s25
	s_addc_u32 s21, s24, 0
	s_mul_i32 s15, s19, s15
	s_add_u32 s15, s20, s15
	s_addc_u32 s20, 0, s21
	s_add_u32 s21, s14, s15
	s_cselect_b64 s[14:15], -1, 0
	s_cmp_lg_u64 s[14:15], 0
	s_addc_u32 s19, s19, s20
	s_mul_i32 s14, s12, s19
	s_mul_hi_u32 s15, s12, s21
	s_add_i32 s14, s15, s14
	s_mul_i32 s18, s18, s21
	s_add_i32 s14, s14, s18
	s_mul_i32 s12, s12, s21
	s_mul_hi_u32 s18, s19, s12
	s_mul_i32 s20, s19, s12
	s_mul_i32 s24, s21, s14
	s_mul_hi_u32 s12, s21, s12
	s_mul_hi_u32 s23, s21, s14
	s_add_u32 s12, s12, s24
	s_addc_u32 s23, 0, s23
	s_add_u32 s12, s12, s20
	s_mul_hi_u32 s15, s19, s14
	s_addc_u32 s12, s23, s18
	s_addc_u32 s15, s15, 0
	s_mul_i32 s14, s19, s14
	s_add_u32 s12, s12, s14
	s_addc_u32 s18, 0, s15
	s_add_u32 s20, s21, s12
	s_cselect_b64 s[14:15], -1, 0
	s_cmp_lg_u64 s[14:15], 0
	s_addc_u32 s18, s19, s18
	s_ashr_i32 s14, s13, 31
	s_add_u32 s12, s9, s14
	s_mov_b32 s15, s14
	s_addc_u32 s13, s13, s14
	s_xor_b64 s[12:13], s[12:13], s[14:15]
	s_mul_i32 s21, s12, s18
	s_mul_hi_u32 s23, s12, s20
	s_mul_hi_u32 s19, s12, s18
	s_add_u32 s21, s23, s21
	s_addc_u32 s19, 0, s19
	s_mul_hi_u32 s24, s13, s20
	s_mul_i32 s20, s13, s20
	s_add_u32 s20, s21, s20
	s_mul_hi_u32 s23, s13, s18
	s_addc_u32 s19, s19, s24
	s_addc_u32 s20, s23, 0
	s_mul_i32 s18, s13, s18
	s_add_u32 s23, s19, s18
	s_addc_u32 s24, 0, s20
	s_mul_i32 s18, s10, s24
	s_mul_hi_u32 s19, s10, s23
	s_add_i32 s18, s19, s18
	s_mul_i32 s19, s11, s23
	s_add_i32 s25, s18, s19
	s_sub_i32 s20, s13, s25
	s_mul_i32 s18, s10, s23
	s_sub_u32 s12, s12, s18
	s_cselect_b64 s[18:19], -1, 0
	s_cmp_lg_u64 s[18:19], 0
	s_subb_u32 s26, s20, s11
	s_sub_u32 s27, s12, s10
	s_cselect_b64 s[20:21], -1, 0
	s_cmp_lg_u64 s[20:21], 0
	s_subb_u32 s20, s26, 0
	s_cmp_ge_u32 s20, s11
	s_cselect_b32 s21, -1, 0
	s_cmp_ge_u32 s27, s10
	s_cselect_b32 s26, -1, 0
	s_cmp_eq_u32 s20, s11
	s_cselect_b32 s20, s26, s21
	s_add_u32 s21, s23, 1
	s_addc_u32 s26, s24, 0
	s_add_u32 s27, s23, 2
	s_addc_u32 s28, s24, 0
	s_cmp_lg_u32 s20, 0
	s_cselect_b32 s20, s27, s21
	s_cselect_b32 s21, s28, s26
	s_cmp_lg_u64 s[18:19], 0
	s_subb_u32 s13, s13, s25
	s_cmp_ge_u32 s13, s11
	s_cselect_b32 s18, -1, 0
	s_cmp_ge_u32 s12, s10
	s_cselect_b32 s10, -1, 0
	s_cmp_eq_u32 s13, s11
	s_cselect_b32 s10, s10, s18
	s_cmp_lg_u32 s10, 0
	s_cselect_b32 s11, s21, s24
	s_cselect_b32 s10, s20, s23
	s_xor_b64 s[12:13], s[14:15], 0
	s_xor_b64 s[10:11], s[10:11], s[12:13]
	s_sub_u32 s10, s10, s12
	s_load_dwordx4 s[12:15], s[4:5], 0x44
	s_cbranch_execnz .LBB45_3
.LBB45_2:
	v_cvt_f32_u32_e32 v1, s22
	s_sub_i32 s10, 0, s22
	v_rcp_iflag_f32_e32 v1, v1
	v_mul_f32_e32 v1, 0x4f7ffffe, v1
	v_cvt_u32_f32_e32 v1, v1
	v_readfirstlane_b32 s11, v1
	s_mul_i32 s10, s10, s11
	s_mul_hi_u32 s10, s11, s10
	s_add_i32 s11, s11, s10
	s_mul_hi_u32 s10, s9, s11
	s_waitcnt lgkmcnt(0)
	s_mul_i32 s15, s10, s22
	s_sub_i32 s9, s9, s15
	s_add_i32 s11, s10, 1
	s_sub_i32 s15, s9, s22
	s_cmp_ge_u32 s9, s22
	s_cselect_b32 s10, s11, s10
	s_cselect_b32 s9, s15, s9
	s_add_i32 s11, s10, 1
	s_cmp_ge_u32 s9, s22
	s_cselect_b32 s10, s11, s10
.LBB45_3:
	s_add_i32 s9, s6, 1
	s_mul_hi_i32 s21, s3, s9
	s_mov_b32 s20, 0
	s_cmp_lg_u64 s[20:21], 0
	s_mul_i32 s9, s3, s9
	s_cbranch_scc0 .LBB45_21
; %bb.4:
	s_add_u32 s16, s22, 0
	s_addc_u32 s17, 0, 0
	s_xor_b64 s[18:19], s[16:17], 0
	v_cvt_f32_u32_e32 v1, s18
	v_cvt_f32_u32_e32 v2, s19
	s_sub_u32 s11, 0, s18
	s_waitcnt lgkmcnt(0)
	s_subb_u32 s15, 0, s19
	v_madmk_f32 v1, v2, 0x4f800000, v1
	v_rcp_f32_e32 v1, v1
	v_mul_f32_e32 v1, 0x5f7ffffc, v1
	v_mul_f32_e32 v2, 0x2f800000, v1
	v_trunc_f32_e32 v2, v2
	v_madmk_f32 v1, v2, 0xcf800000, v1
	v_cvt_u32_f32_e32 v2, v2
	v_cvt_u32_f32_e32 v1, v1
	v_readfirstlane_b32 s20, v2
	v_readfirstlane_b32 s23, v1
	s_mul_i32 s24, s11, s20
	s_mul_hi_u32 s26, s11, s23
	s_mul_i32 s25, s15, s23
	s_add_i32 s24, s26, s24
	s_add_i32 s24, s24, s25
	s_mul_i32 s27, s11, s23
	s_mul_i32 s26, s23, s24
	s_mul_hi_u32 s28, s23, s27
	s_mul_hi_u32 s25, s23, s24
	s_add_u32 s26, s28, s26
	s_addc_u32 s25, 0, s25
	s_mul_hi_u32 s29, s20, s27
	s_mul_i32 s27, s20, s27
	s_add_u32 s26, s26, s27
	s_mul_hi_u32 s28, s20, s24
	s_addc_u32 s25, s25, s29
	s_addc_u32 s26, s28, 0
	s_mul_i32 s24, s20, s24
	s_add_u32 s24, s25, s24
	s_addc_u32 s26, 0, s26
	s_add_u32 s23, s23, s24
	s_cselect_b64 s[24:25], -1, 0
	s_cmp_lg_u64 s[24:25], 0
	s_addc_u32 s20, s20, s26
	s_mul_i32 s24, s11, s20
	s_mul_hi_u32 s25, s11, s23
	s_add_i32 s24, s25, s24
	s_mul_i32 s15, s15, s23
	s_add_i32 s24, s24, s15
	s_mul_i32 s11, s11, s23
	s_mul_hi_u32 s25, s20, s11
	s_mul_i32 s26, s20, s11
	s_mul_i32 s28, s23, s24
	s_mul_hi_u32 s11, s23, s11
	s_mul_hi_u32 s27, s23, s24
	s_add_u32 s11, s11, s28
	s_addc_u32 s27, 0, s27
	s_add_u32 s11, s11, s26
	s_mul_hi_u32 s15, s20, s24
	s_addc_u32 s11, s27, s25
	s_addc_u32 s15, s15, 0
	s_mul_i32 s24, s20, s24
	s_add_u32 s11, s11, s24
	s_addc_u32 s15, 0, s15
	s_add_u32 s11, s23, s11
	s_cselect_b64 s[24:25], -1, 0
	s_cmp_lg_u64 s[24:25], 0
	s_addc_u32 s15, s20, s15
	s_ashr_i32 s24, s21, 31
	s_add_u32 s20, s9, s24
	s_mov_b32 s25, s24
	s_addc_u32 s21, s21, s24
	s_xor_b64 s[20:21], s[20:21], s[24:25]
	s_mul_i32 s26, s20, s15
	s_mul_hi_u32 s27, s20, s11
	s_mul_hi_u32 s23, s20, s15
	s_add_u32 s26, s27, s26
	s_addc_u32 s23, 0, s23
	s_mul_hi_u32 s28, s21, s11
	s_mul_i32 s11, s21, s11
	s_add_u32 s11, s26, s11
	s_mul_hi_u32 s27, s21, s15
	s_addc_u32 s11, s23, s28
	s_addc_u32 s23, s27, 0
	s_mul_i32 s15, s21, s15
	s_add_u32 s11, s11, s15
	s_addc_u32 s15, 0, s23
	s_mul_i32 s23, s18, s15
	s_mul_hi_u32 s26, s18, s11
	s_add_i32 s23, s26, s23
	s_mul_i32 s26, s19, s11
	s_add_i32 s23, s23, s26
	s_sub_i32 s28, s21, s23
	s_mul_i32 s26, s18, s11
	s_sub_u32 s20, s20, s26
	s_cselect_b64 s[26:27], -1, 0
	s_cmp_lg_u64 s[26:27], 0
	s_subb_u32 s30, s28, s19
	s_sub_u32 s31, s20, s18
	s_cselect_b64 s[28:29], -1, 0
	s_cmp_lg_u64 s[28:29], 0
	s_subb_u32 s28, s30, 0
	s_cmp_ge_u32 s28, s19
	s_cselect_b32 s29, -1, 0
	s_cmp_ge_u32 s31, s18
	s_cselect_b32 s30, -1, 0
	s_cmp_eq_u32 s28, s19
	s_cselect_b32 s28, s30, s29
	s_add_u32 s29, s11, 1
	s_addc_u32 s30, s15, 0
	s_add_u32 s31, s11, 2
	s_addc_u32 s33, s15, 0
	s_cmp_lg_u32 s28, 0
	s_cselect_b32 s28, s31, s29
	s_cselect_b32 s29, s33, s30
	s_cmp_lg_u64 s[26:27], 0
	s_subb_u32 s21, s21, s23
	s_cmp_ge_u32 s21, s19
	s_cselect_b32 s23, -1, 0
	s_cmp_ge_u32 s20, s18
	s_cselect_b32 s18, -1, 0
	s_cmp_eq_u32 s21, s19
	s_cselect_b32 s18, s18, s23
	s_cmp_lg_u32 s18, 0
	s_cselect_b32 s19, s29, s15
	s_cselect_b32 s18, s28, s11
	s_xor_b64 s[20:21], s[24:25], 0
	s_xor_b64 s[18:19], s[18:19], s[20:21]
	s_sub_u32 s18, s18, s20
	s_cbranch_execnz .LBB45_6
.LBB45_5:
	v_cvt_f32_u32_e32 v1, s22
	s_sub_i32 s11, 0, s22
	v_rcp_iflag_f32_e32 v1, v1
	v_mul_f32_e32 v1, 0x4f7ffffe, v1
	v_cvt_u32_f32_e32 v1, v1
	s_waitcnt lgkmcnt(0)
	v_readfirstlane_b32 s15, v1
	s_mul_i32 s11, s11, s15
	s_mul_hi_u32 s11, s15, s11
	s_add_i32 s15, s15, s11
	s_mul_hi_u32 s11, s9, s15
	s_mul_i32 s16, s11, s22
	s_sub_i32 s9, s9, s16
	s_add_i32 s15, s11, 1
	s_sub_i32 s16, s9, s22
	s_cmp_ge_u32 s9, s22
	s_cselect_b32 s11, s15, s11
	s_cselect_b32 s9, s16, s9
	s_add_i32 s15, s11, 1
	s_cmp_ge_u32 s9, s22
	s_cselect_b32 s18, s15, s11
.LBB45_6:
	s_cmp_eq_u32 s10, s18
	s_waitcnt lgkmcnt(0)
	s_mul_hi_u32 s9, s10, s12
	s_cselect_b64 s[16:17], -1, 0
	s_add_i32 s9, s9, s10
	s_lshr_b32 s11, s9, s13
	s_mul_i32 s9, s11, s14
	s_cmp_eq_u32 s9, s10
	s_mul_hi_u32 s9, s18, s12
	s_cselect_b64 s[20:21], -1, 0
	s_add_i32 s9, s9, s18
	s_lshr_b32 s9, s9, s13
	s_cmp_eq_u32 s11, s9
	s_mul_i32 s9, s9, s14
	s_cselect_b64 s[24:25], -1, 0
	s_cmp_lg_u32 s9, s18
	s_cselect_b64 s[18:19], -1, 0
	s_and_b64 s[18:19], s[24:25], s[18:19]
	s_or_b64 s[16:17], s[16:17], s[20:21]
	s_or_b64 s[16:17], s[16:17], s[18:19]
	s_and_b64 vcc, exec, s[16:17]
	s_cbranch_vccnz .LBB45_23
; %bb.7:
	s_load_dwordx8 s[24:31], s[4:5], 0x20
	s_load_dword s15, s[4:5], 0x40
	s_waitcnt lgkmcnt(0)
	s_mul_hi_u32 s9, s10, s24
	s_add_i32 s9, s9, s10
	s_lshr_b32 s9, s9, s25
	s_mul_i32 s16, s9, s26
	s_sub_i32 s16, s10, s16
	s_mul_hi_u32 s17, s16, s27
	s_add_i32 s17, s16, s17
	s_lshr_b32 s24, s17, s28
	s_mul_i32 s17, s24, s29
	s_sub_i32 s16, s16, s17
	;; [unrolled: 5-line block ×3, first 2 shown]
	s_mul_hi_u32 s16, s15, s12
	s_add_i32 s15, s15, s16
	s_lshr_b32 s25, s15, s13
	s_lshl_b32 s15, s25, 5
	s_add_i32 s15, s15, s7
	s_cmp_lt_i32 s15, s0
	s_cselect_b64 s[16:17], -1, 0
	s_add_i32 s15, s23, s8
	s_cmp_lt_i32 s15, s2
	s_cselect_b64 s[18:19], -1, 0
	s_and_b64 s[16:17], s[16:17], s[18:19]
	s_andn2_b64 vcc, exec, s[16:17]
	s_cbranch_vccnz .LBB45_23
; %bb.8:
	s_load_dwordx4 s[16:19], s[4:5], 0x0
	s_mov_b32 s4, 0
	s_lshl_b32 s20, s22, 7
	s_mov_b32 s21, s4
	s_add_i32 s15, s7, s8
	s_lshl_b64 s[20:21], s[20:21], 2
	s_waitcnt lgkmcnt(0)
	s_add_u32 s20, s18, s20
	s_mul_i32 s0, s9, s0
	s_addc_u32 s21, s19, s21
	s_add_i32 s0, s0, s7
	s_mul_i32 s0, s0, s1
	s_mul_i32 s24, s24, s2
	s_add_i32 s0, s0, s8
	s_add_i32 s0, s0, s24
	s_mul_i32 s2, s1, s25
	s_add_i32 s0, s0, s23
	s_lshl_b32 s2, s2, 13
	s_lshl_b32 s0, s0, 8
	s_add_i32 s2, s2, s0
	v_or_b32_e32 v1, s2, v0
	v_ashrrev_i32_e32 v2, 31, v1
	v_lshlrev_b64 v[1:2], 2, v[1:2]
	v_mov_b32_e32 v3, s17
	v_add_co_u32_e32 v1, vcc, s16, v1
	v_addc_co_u32_e32 v2, vcc, v3, v2, vcc
	global_load_dword v3, v[1:2], off
	v_cvt_f32_u32_e32 v4, s22
	s_lshl_b32 s0, s6, 5
	s_add_i32 s0, s0, s15
	s_ashr_i32 s1, s0, 31
	s_lshl_b64 s[0:1], s[0:1], 3
	v_rcp_iflag_f32_e32 v4, v4
	s_add_u32 s0, s18, s0
	s_addc_u32 s1, s19, s1
	s_load_dwordx2 s[0:1], s[0:1], 0x0
	v_mul_f32_e32 v4, 0x4f7ffffe, v4
	v_cvt_u32_f32_e32 v4, v4
	s_add_i32 s24, s6, -1
	v_lshl_or_b32 v0, s15, 8, v0
	s_waitcnt lgkmcnt(0)
	v_mov_b32_e32 v6, s1
	v_mov_b32_e32 v7, s0
	s_mov_b32 s2, 0x3fb8aa3b
	s_mov_b32 s16, 0xc2ce8ed0
	;; [unrolled: 1-line block ×4, first 2 shown]
	v_mov_b32_e32 v5, 0x7f800000
	s_mul_hi_i32 s5, s24, s3
	s_cmp_lg_u64 s[4:5], 0
	s_mul_i32 s8, s24, s3
	s_cbranch_scc0 .LBB45_19
.LBB45_9:
	s_add_u32 s0, s22, 0
	s_addc_u32 s1, 0, 0
	s_xor_b64 s[0:1], s[0:1], 0
	v_cvt_f32_u32_e32 v8, s0
	v_cvt_f32_u32_e32 v9, s1
	s_sub_u32 s9, 0, s0
	s_subb_u32 s25, 0, s1
	v_mac_f32_e32 v8, 0x4f800000, v9
	v_rcp_f32_e32 v8, v8
	v_mul_f32_e32 v8, 0x5f7ffffc, v8
	v_mul_f32_e32 v9, 0x2f800000, v8
	v_trunc_f32_e32 v9, v9
	v_mac_f32_e32 v8, 0xcf800000, v9
	v_cvt_u32_f32_e32 v9, v9
	v_cvt_u32_f32_e32 v8, v8
	v_readfirstlane_b32 s26, v9
	v_readfirstlane_b32 s6, v8
	s_mul_i32 s7, s9, s26
	s_mul_hi_u32 s28, s9, s6
	s_mul_i32 s27, s25, s6
	s_add_i32 s7, s28, s7
	s_mul_i32 s29, s9, s6
	s_add_i32 s7, s7, s27
	s_mul_i32 s28, s6, s7
	s_mul_hi_u32 s30, s6, s29
	s_mul_hi_u32 s27, s6, s7
	s_add_u32 s28, s30, s28
	s_addc_u32 s27, 0, s27
	s_mul_hi_u32 s31, s26, s29
	s_mul_i32 s29, s26, s29
	s_add_u32 s28, s28, s29
	s_mul_hi_u32 s30, s26, s7
	s_addc_u32 s27, s27, s31
	s_addc_u32 s28, s30, 0
	s_mul_i32 s7, s26, s7
	s_add_u32 s7, s27, s7
	s_addc_u32 s27, 0, s28
	s_add_u32 s28, s6, s7
	s_cselect_b64 s[6:7], -1, 0
	s_cmp_lg_u64 s[6:7], 0
	s_addc_u32 s26, s26, s27
	s_mul_i32 s6, s9, s26
	s_mul_hi_u32 s7, s9, s28
	s_add_i32 s6, s7, s6
	s_mul_i32 s25, s25, s28
	s_add_i32 s6, s6, s25
	s_mul_i32 s9, s9, s28
	s_mul_hi_u32 s25, s26, s9
	s_mul_i32 s27, s26, s9
	s_mul_i32 s30, s28, s6
	s_mul_hi_u32 s9, s28, s9
	s_mul_hi_u32 s29, s28, s6
	s_add_u32 s9, s9, s30
	s_addc_u32 s29, 0, s29
	s_add_u32 s9, s9, s27
	s_mul_hi_u32 s7, s26, s6
	s_addc_u32 s9, s29, s25
	s_addc_u32 s7, s7, 0
	s_mul_i32 s6, s26, s6
	s_add_u32 s6, s9, s6
	s_addc_u32 s9, 0, s7
	s_add_u32 s25, s28, s6
	s_cselect_b64 s[6:7], -1, 0
	s_cmp_lg_u64 s[6:7], 0
	s_addc_u32 s9, s26, s9
	s_ashr_i32 s6, s5, 31
	s_add_u32 s26, s8, s6
	s_mov_b32 s7, s6
	s_addc_u32 s27, s5, s6
	s_xor_b64 s[26:27], s[26:27], s[6:7]
	s_mul_i32 s28, s26, s9
	s_mul_hi_u32 s29, s26, s25
	s_mul_hi_u32 s5, s26, s9
	s_add_u32 s28, s29, s28
	s_addc_u32 s5, 0, s5
	s_mul_hi_u32 s30, s27, s25
	s_mul_i32 s25, s27, s25
	s_add_u32 s25, s28, s25
	s_mul_hi_u32 s29, s27, s9
	s_addc_u32 s5, s5, s30
	s_addc_u32 s25, s29, 0
	s_mul_i32 s9, s27, s9
	s_add_u32 s5, s5, s9
	s_addc_u32 s9, 0, s25
	s_mul_i32 s25, s0, s9
	s_mul_hi_u32 s28, s0, s5
	s_add_i32 s25, s28, s25
	s_mul_i32 s28, s1, s5
	s_add_i32 s25, s25, s28
	s_sub_i32 s30, s27, s25
	s_mul_i32 s28, s0, s5
	s_sub_u32 s26, s26, s28
	s_cselect_b64 s[28:29], -1, 0
	s_cmp_lg_u64 s[28:29], 0
	s_subb_u32 s33, s30, s1
	s_sub_u32 s34, s26, s0
	s_cselect_b64 s[30:31], -1, 0
	s_cmp_lg_u64 s[30:31], 0
	s_subb_u32 s30, s33, 0
	s_cmp_ge_u32 s30, s1
	s_cselect_b32 s31, -1, 0
	s_cmp_ge_u32 s34, s0
	s_cselect_b32 s33, -1, 0
	s_cmp_eq_u32 s30, s1
	s_cselect_b32 s30, s33, s31
	s_add_u32 s31, s5, 1
	s_addc_u32 s33, s9, 0
	s_add_u32 s34, s5, 2
	s_addc_u32 s35, s9, 0
	s_cmp_lg_u32 s30, 0
	s_cselect_b32 s30, s34, s31
	s_cselect_b32 s31, s35, s33
	s_cmp_lg_u64 s[28:29], 0
	s_subb_u32 s25, s27, s25
	s_cmp_ge_u32 s25, s1
	s_cselect_b32 s27, -1, 0
	s_cmp_ge_u32 s26, s0
	s_cselect_b32 s0, -1, 0
	s_cmp_eq_u32 s25, s1
	s_cselect_b32 s0, s0, s27
	s_cmp_lg_u32 s0, 0
	s_cselect_b32 s1, s31, s9
	s_cselect_b32 s0, s30, s5
	s_xor_b64 s[6:7], s[6:7], 0
	s_xor_b64 s[0:1], s[0:1], s[6:7]
	s_sub_u32 s6, s0, s6
	s_cbranch_execnz .LBB45_11
.LBB45_10:
	s_sub_i32 s0, 0, s22
	v_readfirstlane_b32 s1, v4
	s_mul_i32 s0, s0, s1
	s_mul_hi_u32 s0, s1, s0
	s_add_i32 s1, s1, s0
	s_mul_hi_u32 s0, s8, s1
	s_mul_i32 s5, s0, s22
	s_sub_i32 s5, s8, s5
	s_add_i32 s1, s0, 1
	s_sub_i32 s6, s5, s22
	s_cmp_ge_u32 s5, s22
	s_cselect_b32 s0, s1, s0
	s_cselect_b32 s5, s6, s5
	s_add_i32 s1, s0, 1
	s_cmp_ge_u32 s5, s22
	s_cselect_b32 s6, s1, s0
.LBB45_11:
	s_cmp_lg_u32 s10, s6
	s_mov_b64 s[8:9], -1
                                        ; implicit-def: $sgpr0_sgpr1
                                        ; implicit-def: $vgpr10
                                        ; implicit-def: $vgpr8
                                        ; implicit-def: $vgpr9
                                        ; implicit-def: $sgpr5
                                        ; implicit-def: $sgpr7
	s_cbranch_scc1 .LBB45_14
; %bb.12:
	s_andn2_b64 vcc, exec, s[8:9]
	s_cbranch_vccz .LBB45_17
.LBB45_13:
	s_andn2_b64 vcc, exec, s[0:1]
	s_cbranch_vccnz .LBB45_18
	s_branch .LBB45_22
.LBB45_14:
	s_add_i32 s0, s24, s22
	s_lshl_b32 s0, s0, 5
	s_add_i32 s0, s0, s15
	s_mov_b32 s1, s4
	s_lshl_b64 s[0:1], s[0:1], 3
	s_add_u32 s8, s18, s0
	s_mul_hi_u32 s0, s6, s12
	s_addc_u32 s9, s19, s1
	s_add_i32 s0, s0, s6
	s_lshr_b32 s5, s0, s13
	s_mul_i32 s0, s5, s14
	s_cmp_eq_u32 s0, s6
	s_cselect_b64 s[0:1], -1, 0
	s_cmp_lt_u32 s5, s11
	s_cselect_b64 s[26:27], -1, 0
	s_or_b64 s[26:27], s[26:27], s[0:1]
	s_mov_b64 s[0:1], -1
	s_and_b64 vcc, exec, s[26:27]
	s_mov_b32 s5, s24
	s_mov_b32 s7, s10
	s_cbranch_vccnz .LBB45_16
; %bb.15:
	s_add_i32 s5, s24, -1
	s_mov_b64 s[0:1], 0
	s_mov_b32 s7, s6
.LBB45_16:
	v_lshl_add_u32 v8, s24, 13, v0
	v_ashrrev_i32_e32 v9, 31, v8
	v_lshlrev_b64 v[8:9], 2, v[8:9]
	v_mov_b32_e32 v10, s21
	v_add_co_u32_e32 v8, vcc, s20, v8
	v_addc_co_u32_e32 v9, vcc, v10, v9, vcc
	global_load_dword v10, v[8:9], off
	s_load_dwordx2 s[8:9], s[8:9], 0x0
	v_max_f32_e32 v8, v7, v7
	s_waitcnt lgkmcnt(0)
	v_max_f32_e64 v9, s8, s8
	v_max_f32_e32 v8, v8, v9
	v_sub_f32_e32 v9, v7, v8
	v_sub_f32_e32 v11, s8, v8
	v_mul_f32_e32 v12, 0x3fb8aa3b, v9
	v_mul_f32_e32 v13, 0x3fb8aa3b, v11
	v_fma_f32 v14, v9, s2, -v12
	v_rndne_f32_e32 v15, v12
	v_fma_f32 v16, v11, s2, -v13
	v_rndne_f32_e32 v17, v13
	v_fmac_f32_e32 v14, 0x32a5705f, v9
	v_sub_f32_e32 v12, v12, v15
	v_fmac_f32_e32 v16, 0x32a5705f, v11
	v_sub_f32_e32 v13, v13, v17
	v_add_f32_e32 v12, v12, v14
	v_cvt_i32_f32_e32 v15, v15
	v_add_f32_e32 v13, v13, v16
	v_exp_f32_e32 v12, v12
	v_cvt_i32_f32_e32 v17, v17
	v_exp_f32_e32 v13, v13
	v_cmp_ngt_f32_e32 vcc, s16, v9
	v_ldexp_f32 v12, v12, v15
	v_cndmask_b32_e32 v12, 0, v12, vcc
	v_ldexp_f32 v13, v13, v17
	v_cmp_ngt_f32_e32 vcc, s16, v11
	v_cndmask_b32_e32 v13, 0, v13, vcc
	v_cmp_nlt_f32_e32 vcc, s17, v9
	v_cndmask_b32_e32 v12, v5, v12, vcc
	v_cmp_nlt_f32_e32 vcc, s17, v11
	v_cndmask_b32_e32 v13, v5, v13, vcc
	v_cmp_le_f32_e32 vcc, s23, v9
	v_cndmask_b32_e32 v12, 0, v12, vcc
	v_cmp_le_f32_e32 vcc, s23, v11
	v_cndmask_b32_e32 v11, 0, v13, vcc
	v_mul_f32_e32 v9, s9, v11
	v_fmac_f32_e32 v9, v6, v12
	s_waitcnt vmcnt(0)
	v_mul_f32_e32 v10, v10, v11
	v_fmac_f32_e32 v10, v3, v12
	s_cbranch_execnz .LBB45_13
.LBB45_17:
	s_add_i32 s5, s24, -1
	s_mov_b32 s7, s10
	v_mov_b32_e32 v9, v6
	v_mov_b32_e32 v8, v7
	s_waitcnt vmcnt(0)
	v_mov_b32_e32 v10, v3
	s_cbranch_execz .LBB45_22
.LBB45_18:
	s_mov_b32 s10, s7
	s_mov_b32 s24, s5
	v_mov_b32_e32 v6, v9
	v_mov_b32_e32 v7, v8
	s_waitcnt vmcnt(0)
	v_mov_b32_e32 v3, v10
	s_mul_hi_i32 s5, s24, s3
	s_cmp_lg_u64 s[4:5], 0
	s_mul_i32 s8, s24, s3
	s_cbranch_scc1 .LBB45_9
.LBB45_19:
                                        ; implicit-def: $sgpr6_sgpr7
	s_branch .LBB45_10
.LBB45_20:
                                        ; implicit-def: $sgpr10_sgpr11
	s_load_dwordx4 s[12:15], s[4:5], 0x44
	s_branch .LBB45_2
.LBB45_21:
                                        ; implicit-def: $sgpr18_sgpr19
	s_branch .LBB45_5
.LBB45_22:
	v_div_scale_f32 v0, s[0:1], v9, v9, v10
	s_waitcnt vmcnt(0)
	v_div_scale_f32 v3, vcc, v10, v9, v10
	v_rcp_f32_e32 v4, v0
	v_fma_f32 v5, -v0, v4, 1.0
	v_fmac_f32_e32 v4, v5, v4
	v_mul_f32_e32 v5, v3, v4
	v_fma_f32 v6, -v0, v5, v3
	v_fmac_f32_e32 v5, v6, v4
	v_fma_f32 v0, -v0, v5, v3
	v_div_fmas_f32 v0, v0, v4, v5
	v_div_fixup_f32 v0, v0, v9, v10
	global_store_dword v[1:2], v0, off
.LBB45_23:
	s_endpgm
	.section	.rodata,"a",@progbits
	.p2align	6, 0x0
	.amdhsa_kernel _ZL33flash_attn_stream_k_fixup_generalILi256ELi32ELi1EEvPfPK15HIP_vector_typeIfLj2EEiiiiS1_IjLj3EES5_S5_S5_
		.amdhsa_group_segment_fixed_size 0
		.amdhsa_private_segment_fixed_size 0
		.amdhsa_kernarg_size 336
		.amdhsa_user_sgpr_count 6
		.amdhsa_user_sgpr_private_segment_buffer 1
		.amdhsa_user_sgpr_dispatch_ptr 0
		.amdhsa_user_sgpr_queue_ptr 0
		.amdhsa_user_sgpr_kernarg_segment_ptr 1
		.amdhsa_user_sgpr_dispatch_id 0
		.amdhsa_user_sgpr_flat_scratch_init 0
		.amdhsa_user_sgpr_private_segment_size 0
		.amdhsa_uses_dynamic_stack 0
		.amdhsa_system_sgpr_private_segment_wavefront_offset 0
		.amdhsa_system_sgpr_workgroup_id_x 1
		.amdhsa_system_sgpr_workgroup_id_y 1
		.amdhsa_system_sgpr_workgroup_id_z 1
		.amdhsa_system_sgpr_workgroup_info 0
		.amdhsa_system_vgpr_workitem_id 0
		.amdhsa_next_free_vgpr 18
		.amdhsa_next_free_sgpr 36
		.amdhsa_reserve_vcc 1
		.amdhsa_reserve_flat_scratch 0
		.amdhsa_float_round_mode_32 0
		.amdhsa_float_round_mode_16_64 0
		.amdhsa_float_denorm_mode_32 3
		.amdhsa_float_denorm_mode_16_64 3
		.amdhsa_dx10_clamp 1
		.amdhsa_ieee_mode 1
		.amdhsa_fp16_overflow 0
		.amdhsa_exception_fp_ieee_invalid_op 0
		.amdhsa_exception_fp_denorm_src 0
		.amdhsa_exception_fp_ieee_div_zero 0
		.amdhsa_exception_fp_ieee_overflow 0
		.amdhsa_exception_fp_ieee_underflow 0
		.amdhsa_exception_fp_ieee_inexact 0
		.amdhsa_exception_int_div_zero 0
	.end_amdhsa_kernel
	.section	.text._ZL33flash_attn_stream_k_fixup_generalILi256ELi32ELi1EEvPfPK15HIP_vector_typeIfLj2EEiiiiS1_IjLj3EES5_S5_S5_,"axG",@progbits,_ZL33flash_attn_stream_k_fixup_generalILi256ELi32ELi1EEvPfPK15HIP_vector_typeIfLj2EEiiiiS1_IjLj3EES5_S5_S5_,comdat
.Lfunc_end45:
	.size	_ZL33flash_attn_stream_k_fixup_generalILi256ELi32ELi1EEvPfPK15HIP_vector_typeIfLj2EEiiiiS1_IjLj3EES5_S5_S5_, .Lfunc_end45-_ZL33flash_attn_stream_k_fixup_generalILi256ELi32ELi1EEvPfPK15HIP_vector_typeIfLj2EEiiiiS1_IjLj3EES5_S5_S5_
                                        ; -- End function
	.set _ZL33flash_attn_stream_k_fixup_generalILi256ELi32ELi1EEvPfPK15HIP_vector_typeIfLj2EEiiiiS1_IjLj3EES5_S5_S5_.num_vgpr, 18
	.set _ZL33flash_attn_stream_k_fixup_generalILi256ELi32ELi1EEvPfPK15HIP_vector_typeIfLj2EEiiiiS1_IjLj3EES5_S5_S5_.num_agpr, 0
	.set _ZL33flash_attn_stream_k_fixup_generalILi256ELi32ELi1EEvPfPK15HIP_vector_typeIfLj2EEiiiiS1_IjLj3EES5_S5_S5_.numbered_sgpr, 36
	.set _ZL33flash_attn_stream_k_fixup_generalILi256ELi32ELi1EEvPfPK15HIP_vector_typeIfLj2EEiiiiS1_IjLj3EES5_S5_S5_.num_named_barrier, 0
	.set _ZL33flash_attn_stream_k_fixup_generalILi256ELi32ELi1EEvPfPK15HIP_vector_typeIfLj2EEiiiiS1_IjLj3EES5_S5_S5_.private_seg_size, 0
	.set _ZL33flash_attn_stream_k_fixup_generalILi256ELi32ELi1EEvPfPK15HIP_vector_typeIfLj2EEiiiiS1_IjLj3EES5_S5_S5_.uses_vcc, 1
	.set _ZL33flash_attn_stream_k_fixup_generalILi256ELi32ELi1EEvPfPK15HIP_vector_typeIfLj2EEiiiiS1_IjLj3EES5_S5_S5_.uses_flat_scratch, 0
	.set _ZL33flash_attn_stream_k_fixup_generalILi256ELi32ELi1EEvPfPK15HIP_vector_typeIfLj2EEiiiiS1_IjLj3EES5_S5_S5_.has_dyn_sized_stack, 0
	.set _ZL33flash_attn_stream_k_fixup_generalILi256ELi32ELi1EEvPfPK15HIP_vector_typeIfLj2EEiiiiS1_IjLj3EES5_S5_S5_.has_recursion, 0
	.set _ZL33flash_attn_stream_k_fixup_generalILi256ELi32ELi1EEvPfPK15HIP_vector_typeIfLj2EEiiiiS1_IjLj3EES5_S5_S5_.has_indirect_call, 0
	.section	.AMDGPU.csdata,"",@progbits
; Kernel info:
; codeLenInByte = 2932
; TotalNumSgprs: 40
; NumVgprs: 18
; ScratchSize: 0
; MemoryBound: 0
; FloatMode: 240
; IeeeMode: 1
; LDSByteSize: 0 bytes/workgroup (compile time only)
; SGPRBlocks: 4
; VGPRBlocks: 4
; NumSGPRsForWavesPerEU: 40
; NumVGPRsForWavesPerEU: 18
; Occupancy: 10
; WaveLimiterHint : 0
; COMPUTE_PGM_RSRC2:SCRATCH_EN: 0
; COMPUTE_PGM_RSRC2:USER_SGPR: 6
; COMPUTE_PGM_RSRC2:TRAP_HANDLER: 0
; COMPUTE_PGM_RSRC2:TGID_X_EN: 1
; COMPUTE_PGM_RSRC2:TGID_Y_EN: 1
; COMPUTE_PGM_RSRC2:TGID_Z_EN: 1
; COMPUTE_PGM_RSRC2:TIDIG_COMP_CNT: 0
	.section	.text._ZL15flash_attn_tileILi256ELi256ELi16ELi1ELb0EEvPKcS1_S1_S1_S1_PKiPfP15HIP_vector_typeIfLj2EEffffjfiS5_IjLj3EEiiiiiiiiiiiliiliiiiil,"axG",@progbits,_ZL15flash_attn_tileILi256ELi256ELi16ELi1ELb0EEvPKcS1_S1_S1_S1_PKiPfP15HIP_vector_typeIfLj2EEffffjfiS5_IjLj3EEiiiiiiiiiiiliiliiiiil,comdat
	.globl	_ZL15flash_attn_tileILi256ELi256ELi16ELi1ELb0EEvPKcS1_S1_S1_S1_PKiPfP15HIP_vector_typeIfLj2EEffffjfiS5_IjLj3EEiiiiiiiiiiiliiliiiiil ; -- Begin function _ZL15flash_attn_tileILi256ELi256ELi16ELi1ELb0EEvPKcS1_S1_S1_S1_PKiPfP15HIP_vector_typeIfLj2EEffffjfiS5_IjLj3EEiiiiiiiiiiiliiliiiiil
	.p2align	8
	.type	_ZL15flash_attn_tileILi256ELi256ELi16ELi1ELb0EEvPKcS1_S1_S1_S1_PKiPfP15HIP_vector_typeIfLj2EEffffjfiS5_IjLj3EEiiiiiiiiiiiliiliiiiil,@function
_ZL15flash_attn_tileILi256ELi256ELi16ELi1ELb0EEvPKcS1_S1_S1_S1_PKiPfP15HIP_vector_typeIfLj2EEffffjfiS5_IjLj3EEiiiiiiiiiiiliiliiiiil: ; @_ZL15flash_attn_tileILi256ELi256ELi16ELi1ELb0EEvPKcS1_S1_S1_S1_PKiPfP15HIP_vector_typeIfLj2EEffffjfiS5_IjLj3EEiiiiiiiiiiiliiliiiiil
; %bb.0:
	s_load_dwordx4 s[28:31], s[4:5], 0x5c
	s_load_dwordx2 s[42:43], s[4:5], 0x80
	s_add_u32 flat_scratch_lo, s6, s11
	s_addc_u32 flat_scratch_hi, s7, 0
	s_add_u32 s0, s0, s11
	s_waitcnt lgkmcnt(0)
	v_cvt_f32_u32_e32 v2, s31
	s_addc_u32 s1, s1, 0
	s_sub_i32 s6, 0, s31
	s_load_dwordx2 s[44:45], s[4:5], 0xb8
	v_rcp_iflag_f32_e32 v2, v2
	s_mov_b64 s[40:41], 0
	v_mul_f32_e32 v2, 0x4f7ffffe, v2
	v_cvt_u32_f32_e32 v2, v2
	v_readfirstlane_b32 s7, v2
	s_mul_i32 s6, s6, s7
	s_mul_hi_u32 s6, s7, s6
	s_add_i32 s7, s7, s6
	s_mul_hi_u32 s6, s10, s7
	s_mul_i32 s7, s6, s31
	s_sub_i32 s7, s10, s7
	s_add_i32 s11, s6, 1
	s_sub_i32 s12, s7, s31
	s_cmp_ge_u32 s7, s31
	s_cselect_b32 s6, s11, s6
	s_cselect_b32 s7, s12, s7
	s_add_i32 s11, s6, 1
	s_cmp_ge_u32 s7, s31
	s_cselect_b32 s33, s11, s6
	s_abs_i32 s6, s43
	v_cvt_f32_u32_e32 v2, s6
	s_mul_i32 s12, s33, s31
	s_sub_i32 s13, 0, s6
	s_sub_i32 s34, s10, s12
	v_rcp_iflag_f32_e32 v2, v2
	s_abs_i32 s11, s31
	s_xor_b32 s7, s31, s43
	s_ashr_i32 s7, s7, 31
	v_mul_f32_e32 v2, 0x4f7ffffe, v2
	v_cvt_u32_f32_e32 v2, v2
	v_readfirstlane_b32 s10, v2
	s_mul_i32 s13, s13, s10
	s_mul_hi_u32 s12, s10, s13
	s_add_i32 s10, s10, s12
	s_mul_hi_u32 s10, s11, s10
	s_mul_i32 s12, s10, s6
	s_sub_i32 s11, s11, s12
	s_add_i32 s13, s10, 1
	s_sub_i32 s12, s11, s6
	s_cmp_ge_u32 s11, s6
	s_cselect_b32 s10, s13, s10
	s_cselect_b32 s11, s12, s11
	s_add_i32 s12, s10, 1
	s_cmp_ge_u32 s11, s6
	s_cselect_b32 s6, s12, s10
	s_xor_b32 s6, s6, s7
	s_sub_i32 s47, s6, s7
	s_abs_i32 s43, s47
	v_cvt_f32_u32_e32 v2, s43
	s_load_dwordx16 s[12:27], s[4:5], 0x0
	s_sub_i32 s6, 0, s43
	s_abs_i32 s46, s34
	v_rcp_iflag_f32_e32 v2, v2
	v_mul_f32_e32 v2, 0x4f7ffffe, v2
	v_cvt_u32_f32_e32 v2, v2
	v_readfirstlane_b32 s7, v2
	s_mul_i32 s6, s6, s7
	s_mul_hi_u32 s6, s7, s6
	s_add_i32 s6, s7, s6
	s_waitcnt lgkmcnt(0)
	s_cmp_eq_u64 s[18:19], 0
	s_cbranch_scc1 .LBB46_2
; %bb.1:
	s_abs_i32 s7, s44
	v_cvt_f32_u32_e32 v2, s7
	s_sub_i32 s37, 0, s7
	s_abs_i32 s36, s33
	s_ashr_i32 s35, s33, 31
	v_rcp_iflag_f32_e32 v2, v2
	s_load_dwordx2 s[10:11], s[4:5], 0xc8
	v_mul_f32_e32 v2, 0x4f7ffffe, v2
	v_cvt_u32_f32_e32 v2, v2
	v_readfirstlane_b32 s38, v2
	s_mul_i32 s37, s37, s38
	s_mul_hi_u32 s37, s38, s37
	s_add_i32 s38, s38, s37
	s_mul_hi_u32 s37, s36, s38
	s_mul_i32 s37, s37, s7
	s_sub_i32 s36, s36, s37
	s_sub_i32 s37, s36, s7
	s_cmp_ge_u32 s36, s7
	s_cselect_b32 s36, s37, s36
	s_sub_i32 s37, s36, s7
	s_cmp_ge_u32 s36, s7
	s_cselect_b32 s7, s37, s36
	s_xor_b32 s7, s7, s35
	s_sub_i32 s7, s7, s35
	s_ashr_i32 s35, s7, 31
	s_waitcnt lgkmcnt(0)
	s_mul_hi_u32 s36, s10, s7
	s_mul_i32 s35, s10, s35
	s_mul_i32 s11, s11, s7
	s_add_i32 s35, s36, s35
	s_add_i32 s35, s35, s11
	s_mul_i32 s7, s10, s7
	s_add_u32 s40, s18, s7
	s_addc_u32 s41, s19, s35
.LBB46_2:
	s_load_dwordx4 s[36:39], s[4:5], 0x40
	s_mul_hi_u32 s44, s46, s6
	s_load_dword s6, s[4:5], 0x50
	v_mov_b32_e32 v17, 1.0
	s_waitcnt lgkmcnt(0)
	v_cmp_le_f32_e64 s[10:11], s37, 0
	s_and_b64 vcc, exec, s[10:11]
	s_cbranch_vccnz .LBB46_4
; %bb.3:
	v_mov_b32_e32 v2, s6
	v_sub_co_u32_e32 v2, vcc, s34, v2
	v_mov_b32_e32 v3, s39
	v_mov_b32_e32 v4, s38
	s_add_i32 s6, s34, 1
	v_lshlrev_b32_e32 v2, 1, v2
	v_cndmask_b32_e32 v3, v3, v4, vcc
	v_or_b32_e32 v2, 1, v2
	v_mov_b32_e32 v4, s6
	v_cndmask_b32_e32 v2, v2, v4, vcc
	v_cvt_f32_i32_e32 v2, v2
	v_cmp_neq_f32_e32 vcc, 1.0, v3
	s_mov_b32 s6, 0x3f2aaaab
	s_movk_i32 s10, 0x204
	v_cndmask_b32_e32 v4, 1.0, v2, vcc
	v_cmp_neq_f32_e32 vcc, 0, v4
	v_cndmask_b32_e32 v5, 1.0, v3, vcc
	v_frexp_mant_f32_e64 v2, |v5|
	v_cmp_gt_f32_e32 vcc, s6, v2
	v_cndmask_b32_e64 v3, 1.0, 2.0, vcc
	v_mul_f32_e32 v2, v2, v3
	v_add_f32_e32 v3, 1.0, v2
	v_rcp_f32_e32 v6, v3
	v_add_f32_e32 v7, -1.0, v2
	v_add_f32_e32 v8, -1.0, v3
	v_sub_f32_e32 v2, v2, v8
	v_mul_f32_e32 v8, v7, v6
	v_mul_f32_e32 v9, v3, v8
	v_fma_f32 v3, v8, v3, -v9
	v_fmac_f32_e32 v3, v8, v2
	v_add_f32_e32 v2, v9, v3
	v_sub_f32_e32 v10, v7, v2
	v_sub_f32_e32 v9, v2, v9
	v_sub_f32_e32 v7, v7, v10
	v_sub_f32_e32 v2, v7, v2
	v_sub_f32_e32 v3, v9, v3
	v_add_f32_e32 v2, v3, v2
	v_add_f32_e32 v2, v10, v2
	v_mul_f32_e32 v2, v6, v2
	v_add_f32_e32 v6, v8, v2
	v_sub_f32_e32 v3, v6, v8
	v_sub_f32_e32 v7, v2, v3
	v_mul_f32_e32 v2, v6, v6
	v_fma_f32 v3, v6, v6, -v2
	v_add_f32_e32 v8, v7, v7
	v_fmac_f32_e32 v3, v6, v8
	v_add_f32_e32 v8, v2, v3
	v_mov_b32_e32 v9, 0x3e91f4c4
	v_sub_f32_e32 v2, v8, v2
	v_fmac_f32_e32 v9, 0x3e76c4e1, v8
	v_mov_b32_e32 v10, 0x3ecccdef
	v_sub_f32_e32 v2, v3, v2
	v_mul_f32_e32 v3, v6, v8
	v_fmac_f32_e32 v10, v8, v9
	v_fma_f32 v9, v8, v6, -v3
	v_fmac_f32_e32 v9, v8, v7
	v_fmac_f32_e32 v9, v2, v6
	v_add_f32_e32 v11, v3, v9
	v_sub_f32_e32 v3, v11, v3
	v_sub_f32_e32 v9, v9, v3
	v_mul_f32_e32 v3, v8, v10
	v_fma_f32 v8, v8, v10, -v3
	v_fmac_f32_e32 v8, v2, v10
	v_add_f32_e32 v10, v3, v8
	v_sub_f32_e32 v2, v10, v3
	v_sub_f32_e32 v8, v8, v2
	v_cvt_f64_f32_e64 v[2:3], |v5|
	v_add_f32_e32 v12, 0x3f2aaaaa, v10
	v_add_f32_e32 v13, 0xbf2aaaaa, v12
	;; [unrolled: 1-line block ×3, first 2 shown]
	v_frexp_exp_i32_f64_e32 v2, v[2:3]
	v_sub_f32_e32 v10, v10, v13
	v_add_f32_e32 v3, v8, v10
	v_add_f32_e32 v8, v12, v3
	v_sub_f32_e32 v10, v12, v8
	v_add_f32_e32 v3, v3, v10
	v_mul_f32_e32 v10, v11, v8
	v_fma_f32 v12, v11, v8, -v10
	v_subbrev_co_u32_e32 v2, vcc, 0, v2, vcc
	v_cvt_f32_i32_e32 v2, v2
	v_fmac_f32_e32 v12, v11, v3
	s_mov_b32 s6, 0x3f317218
	v_fmac_f32_e32 v12, v9, v8
	v_mul_f32_e32 v3, 0x3f317218, v2
	v_fma_f32 v8, v2, s6, -v3
	v_fmac_f32_e32 v8, 0xb102e308, v2
	v_ldexp_f32 v2, v7, 1
	v_add_f32_e32 v7, v3, v8
	v_sub_f32_e32 v3, v7, v3
	v_ldexp_f32 v6, v6, 1
	v_sub_f32_e32 v3, v8, v3
	v_add_f32_e32 v8, v10, v12
	v_sub_f32_e32 v9, v8, v10
	v_add_f32_e32 v10, v6, v8
	v_sub_f32_e32 v9, v12, v9
	v_sub_f32_e32 v6, v10, v6
	;; [unrolled: 1-line block ×3, first 2 shown]
	v_add_f32_e32 v2, v2, v9
	v_add_f32_e32 v2, v2, v6
	v_add_f32_e32 v6, v10, v2
	v_sub_f32_e32 v8, v6, v10
	v_sub_f32_e32 v2, v2, v8
	v_add_f32_e32 v8, v7, v6
	v_sub_f32_e32 v9, v8, v7
	v_sub_f32_e32 v10, v8, v9
	;; [unrolled: 1-line block ×4, first 2 shown]
	v_add_f32_e32 v6, v6, v7
	v_add_f32_e32 v7, v3, v2
	v_sub_f32_e32 v9, v7, v3
	v_sub_f32_e32 v10, v7, v9
	;; [unrolled: 1-line block ×4, first 2 shown]
	v_add_f32_e32 v2, v2, v3
	v_add_f32_e32 v3, v7, v6
	;; [unrolled: 1-line block ×3, first 2 shown]
	v_sub_f32_e32 v7, v6, v8
	v_sub_f32_e32 v3, v3, v7
	v_add_f32_e32 v2, v2, v3
	v_add_f32_e32 v3, v6, v2
	v_sub_f32_e32 v6, v3, v6
	v_sub_f32_e32 v2, v2, v6
	v_mul_f32_e32 v6, v4, v3
	v_fma_f32 v3, v4, v3, -v6
	v_fmac_f32_e32 v3, v4, v2
	v_add_f32_e32 v2, v6, v3
	v_cmp_class_f32_e64 vcc, v6, s10
	v_sub_f32_e32 v7, v2, v6
	v_cndmask_b32_e32 v2, v2, v6, vcc
	s_mov_b32 s7, 0x42b17218
	v_mov_b32_e32 v6, 0x37000000
	v_cmp_eq_f32_e32 vcc, s7, v2
	v_cndmask_b32_e32 v6, 0, v6, vcc
	v_sub_f32_e32 v3, v3, v7
	v_sub_f32_e32 v7, v2, v6
	s_mov_b32 s11, 0x3fb8aa3b
	v_mul_f32_e32 v8, 0x3fb8aa3b, v7
	v_fma_f32 v9, v7, s11, -v8
	v_rndne_f32_e32 v10, v8
	v_fmac_f32_e32 v9, 0x32a5705f, v7
	v_sub_f32_e32 v8, v8, v10
	v_add_f32_e32 v8, v8, v9
	v_exp_f32_e32 v8, v8
	v_cvt_i32_f32_e32 v9, v10
	s_mov_b32 s6, 0x7f800000
	v_cmp_neq_f32_e64 vcc, |v2|, s6
	s_mov_b32 s6, 0xc2ce8ed0
	v_cndmask_b32_e32 v2, 0, v3, vcc
	v_ldexp_f32 v3, v8, v9
	v_cmp_ngt_f32_e32 vcc, s6, v7
	v_add_f32_e32 v2, v6, v2
	v_cndmask_b32_e32 v3, 0, v3, vcc
	v_mov_b32_e32 v6, 0x7f800000
	v_cmp_nlt_f32_e32 vcc, s7, v7
	v_cndmask_b32_e32 v3, v6, v3, vcc
	v_fma_f32 v2, v3, v2, v3
	v_cmp_class_f32_e64 vcc, v3, s10
	v_cndmask_b32_e32 v2, v2, v3, vcc
	v_trunc_f32_e32 v3, v4
	v_cmp_eq_f32_e32 vcc, v3, v4
	v_mul_f32_e32 v3, 0.5, v4
	v_trunc_f32_e32 v8, v3
	v_cmp_neq_f32_e64 s[6:7], v8, v3
	s_and_b64 s[6:7], vcc, s[6:7]
	v_cndmask_b32_e64 v3, 1.0, v5, s[6:7]
	s_brev_b32 s35, -2
	v_mov_b32_e32 v7, 0x7fc00000
	v_bfi_b32 v2, s35, v2, v3
	v_cndmask_b32_e32 v3, v7, v2, vcc
	v_cmp_gt_f32_e32 vcc, 0, v5
	v_cndmask_b32_e32 v2, v2, v3, vcc
	v_cmp_class_f32_e64 s[18:19], v5, s10
	v_cmp_eq_f32_e32 vcc, 0, v5
	v_cmp_gt_f32_e64 s[10:11], 0, v4
	s_xor_b64 s[10:11], s[10:11], vcc
	v_cndmask_b32_e64 v3, v6, 0, s[10:11]
	v_cndmask_b32_e64 v4, 0, v5, s[6:7]
	v_bfi_b32 v3, s35, v3, v4
	s_or_b64 vcc, vcc, s[18:19]
	v_cndmask_b32_e32 v2, v2, v3, vcc
	v_cmp_o_f32_e32 vcc, v5, v5
	v_cndmask_b32_e32 v17, v7, v2, vcc
.LBB46_4:
	s_lshl_b32 s18, s8, 4
	v_lshlrev_b32_e32 v23, 1, v1
	s_load_dwordx4 s[48:51], s[4:5], 0x70
	v_add_u32_e32 v24, s18, v23
	v_mul_hi_u32 v2, v24, s28
	s_ashr_i32 s35, s34, 31
	s_ashr_i32 s6, s47, 31
	s_waitcnt lgkmcnt(0)
	s_mul_i32 s7, s33, s50
	v_add_u32_e32 v2, v24, v2
	s_ashr_i32 s10, s7, 31
	v_lshrrev_b32_e32 v2, s29, v2
	s_add_u32 s7, s12, s7
	s_mul_i32 s11, s34, s49
	v_mul_lo_u32 v2, v2, s30
	s_addc_u32 s10, s13, s10
	s_ashr_i32 s12, s11, 31
	s_add_u32 s7, s7, s11
	s_addc_u32 s19, s10, s12
	s_ashr_i32 s49, s48, 31
	s_lshr_b64 s[10:11], s[48:49], 2
	v_sub_u32_e32 v18, v24, v2
	v_mad_u64_u32 v[2:3], s[12:13], s10, v18, 0
	v_mov_b32_e32 v6, s19
	s_lshr_b32 s19, s49, 2
	v_or_b32_e32 v20, 1, v23
	v_mad_u64_u32 v[3:4], s[12:13], s19, v18, v[3:4]
	v_add_u32_e32 v22, s18, v20
	v_mul_hi_u32 v4, v22, s28
	v_lshlrev_b32_e32 v5, 4, v0
	v_add_co_u32_e32 v14, vcc, s7, v5
	v_add_u32_e32 v4, v22, v4
	v_lshrrev_b32_e32 v4, s29, v4
	v_mul_lo_u32 v4, v4, s30
	v_lshlrev_b64 v[2:3], 2, v[2:3]
	v_addc_co_u32_e32 v15, vcc, 0, v6, vcc
	v_sub_u32_e32 v16, v22, v4
	v_mad_u64_u32 v[12:13], s[10:11], s10, v16, 0
	v_add_co_u32_e32 v10, vcc, v14, v2
	v_addc_co_u32_e32 v11, vcc, v15, v3, vcc
	global_load_dwordx4 v[2:5], v[10:11], off
	global_load_dwordx4 v[6:9], v[10:11], off offset:512
	v_mov_b32_e32 v10, v13
	v_mad_u64_u32 v[10:11], s[10:11], s19, v16, v[10:11]
	v_lshlrev_b32_e32 v25, 3, v0
	v_lshlrev_b32_e32 v19, 10, v1
	v_mov_b32_e32 v13, v10
	v_lshlrev_b64 v[10:11], 2, v[12:13]
	v_lshlrev_b32_e32 v21, 2, v0
	v_add_co_u32_e32 v14, vcc, v14, v10
	v_addc_co_u32_e32 v15, vcc, v15, v11, vcc
	global_load_dwordx4 v[10:13], v[14:15], off
	global_load_dwordx4 v[26:29], v[14:15], off offset:512
	v_add_u32_e32 v14, 0x2200, v25
	v_add_u32_e32 v15, v14, v19
	v_mov_b32_e32 v36, 0
	v_lshl_add_u32 v14, v20, 9, v14
	s_cmp_eq_u64 s[22:23], 0
	s_waitcnt vmcnt(3)
	v_fma_mixlo_f16 v2, s36, v2, 0
	v_fma_mixlo_f16 v3, s36, v3, 0
	;; [unrolled: 1-line block ×4, first 2 shown]
	s_waitcnt vmcnt(2)
	v_fma_mixlo_f16 v6, s36, v6, 0
	v_fma_mixlo_f16 v7, s36, v7, 0
	;; [unrolled: 1-line block ×4, first 2 shown]
	v_lshlrev_b32_e32 v3, 16, v3
	v_and_b32_e32 v2, 0xffff, v2
	v_lshlrev_b32_e32 v5, 16, v5
	v_and_b32_e32 v4, 0xffff, v4
	;; [unrolled: 2-line block ×4, first 2 shown]
	s_waitcnt vmcnt(1)
	v_fma_mixlo_f16 v10, s36, v10, 0
	v_fma_mixlo_f16 v11, s36, v11, 0
	;; [unrolled: 1-line block ×4, first 2 shown]
	s_waitcnt vmcnt(0)
	v_fma_mixlo_f16 v16, s36, v26, 0
	v_fma_mixlo_f16 v26, s36, v27, 0
	;; [unrolled: 1-line block ×4, first 2 shown]
	v_or_b32_e32 v2, v3, v2
	v_or3_b32 v3, v5, v4, 0
	v_or_b32_e32 v4, v7, v6
	v_or3_b32 v5, v9, v8, 0
	v_lshlrev_b32_e32 v6, 16, v11
	v_and_b32_e32 v7, 0xffff, v10
	v_lshlrev_b32_e32 v8, 16, v13
	v_and_b32_e32 v9, 0xffff, v12
	;; [unrolled: 2-line block ×4, first 2 shown]
	v_or3_b32 v2, 0, 0, v2
	v_or3_b32 v4, 0, 0, v4
	v_or_b32_e32 v7, v6, v7
	v_or3_b32 v6, v8, v9, 0
	v_or_b32_e32 v8, v10, v11
	ds_write2_b64 v15, v[2:3], v[4:5] offset1:32
	v_or3_b32 v5, 0, 0, v7
	v_or3_b32 v3, v12, v13, 0
	;; [unrolled: 1-line block ×3, first 2 shown]
	ds_write2_b64 v14, v[5:6], v[2:3] offset1:32
	s_waitcnt lgkmcnt(0)
	s_barrier
	s_cbranch_scc1 .LBB46_6
; %bb.5:
	s_load_dword s7, s[4:5], 0xd0
	s_mov_b32 s11, 0
	s_waitcnt lgkmcnt(0)
	s_mul_i32 s7, s7, s33
	s_add_i32 s10, s7, s8
	s_lshl_b64 s[10:11], s[10:11], 2
	s_add_u32 s10, s22, s10
	s_addc_u32 s11, s23, s11
	s_load_dword s42, s[10:11], 0x0
.LBB46_6:
	s_nop 0
	s_load_dwordx2 s[10:11], s[4:5], 0x8c
	s_load_dwordx4 s[36:39], s[4:5], 0x98
	s_load_dwordx2 s[48:49], s[4:5], 0xa8
	s_ashr_i32 s7, s33, 31
	s_ashr_i32 s19, s45, 1
	s_waitcnt lgkmcnt(0)
	s_ashr_i32 s12, s10, 2
	s_mul_hi_u32 s10, s36, s33
	s_mul_i32 s13, s36, s7
	s_add_i32 s10, s10, s13
	s_mul_i32 s13, s37, s33
	s_ashr_i32 s8, s38, 2
	s_add_i32 s10, s10, s13
	s_mul_i32 s13, s36, s33
	s_add_u32 s13, s14, s13
	s_mul_i32 s14, s44, s43
	s_addc_u32 s10, s15, s10
	s_sub_i32 s14, s46, s14
	s_xor_b32 s6, s35, s6
	s_add_i32 s15, s44, 1
	s_sub_i32 s22, s14, s43
	s_cmp_ge_u32 s14, s43
	s_cselect_b32 s15, s15, s44
	s_cselect_b32 s14, s22, s14
	s_add_i32 s22, s15, 1
	s_cmp_ge_u32 s14, s43
	s_cselect_b32 s14, s22, s15
	s_xor_b32 s14, s14, s6
	s_sub_i32 s6, s14, s6
	s_mul_i32 s11, s6, s11
	s_ashr_i32 s14, s11, 31
	s_add_u32 s13, s13, s11
	s_addc_u32 s22, s10, s14
	s_mul_hi_u32 s10, s48, s33
	s_mul_i32 s7, s48, s7
	s_add_i32 s7, s10, s7
	s_mul_i32 s10, s49, s33
	s_add_i32 s7, s7, s10
	s_mul_i32 s10, s48, s33
	s_add_u32 s10, s16, s10
	s_mul_i32 s6, s6, s39
	s_addc_u32 s7, s17, s7
	s_ashr_i32 s11, s6, 31
	v_mul_lo_u32 v6, s8, v1
	s_add_u32 s14, s10, s6
	s_addc_u32 s15, s7, s11
	s_lshl_b32 s16, s9, 5
	s_sub_i32 s17, s42, 32
	s_cmp_ge_i32 s16, s17
	v_lshrrev_b32_e32 v39, 4, v0
	v_and_b32_e32 v38, 60, v21
	v_lshlrev_b32_e32 v26, 2, v21
	v_mbcnt_lo_u32_b32 v29, -1, 0
	s_cbranch_scc1 .LBB46_15
; %bb.7:
	v_or_b32_e32 v7, 1, v24
	v_mul_hi_u32 v8, s28, v7
	v_add_u32_e32 v3, v39, v23
	v_mul_lo_u32 v2, s12, v3
	v_lshlrev_b32_e32 v4, 2, v38
	v_add_u32_e32 v8, v7, v8
	v_lshrrev_b32_e32 v8, s29, v8
	v_mul_lo_u32 v8, v8, s30
	s_movk_i32 s6, 0x110
	v_mad_u32_u24 v40, v3, s6, v4
	v_lshl_add_u32 v4, s12, 4, v2
	v_sub_u32_e32 v7, v7, v8
	s_cmp_lg_u64 s[40:41], 0
	v_mul_lo_u32 v44, v18, s19
	v_mul_lo_u32 v45, v7, s19
	v_mov_b32_e32 v7, 0x4200
	v_lshl_add_u32 v15, s8, 3, v6
	v_ashrrev_i32_e32 v3, 31, v2
	v_ashrrev_i32_e32 v5, 31, v4
	s_cselect_b64 s[6:7], -1, 0
	v_lshl_add_u32 v46, v1, 7, v7
	v_ashrrev_i32_e32 v7, 31, v6
	v_ashrrev_i32_e32 v16, 31, v15
	v_lshl_add_u32 v47, v1, 9, v26
	s_add_u32 s10, s4, 0xd0
	v_lshlrev_b64 v[9:10], 2, v[2:3]
	v_lshlrev_b64 v[11:12], 2, v[4:5]
	v_cndmask_b32_e64 v2, 0, 1, s[6:7]
	v_lshlrev_b64 v[13:14], 2, v[6:7]
	v_lshlrev_b64 v[15:16], 2, v[15:16]
	v_mov_b32_e32 v30, 0
	v_add_u32_e32 v41, 0x1100, v40
	v_mul_u32_u24_e32 v42, 0x110, v0
	v_add_u32_e32 v43, 0x2200, v19
	v_add_u32_e32 v48, 0x1000, v47
	s_addc_u32 s11, s5, 0
	v_mov_b32_e32 v55, 0xfeffffff
	v_lshlrev_b32_e32 v49, 2, v38
	s_mov_b32 s23, 0x3fb8aa3b
	s_mov_b32 s36, 0xc2ce8ed0
	s_mov_b32 s37, 0x42b17218
	s_mov_b32 s38, 0x10001
	v_cmp_ne_u32_e64 s[6:7], 1, v2
	v_mbcnt_hi_u32_b32 v50, -1, v29
	v_mov_b32_e32 v51, 0x7f800000
	v_mov_b32_e32 v31, 0
	v_mov_b32_e32 v32, 0
	v_mov_b32_e32 v27, 0
	v_mov_b32_e32 v34, 0
	v_mov_b32_e32 v33, 0
	v_mov_b32_e32 v35, 0
	v_mov_b32_e32 v28, 0
	v_mov_b32_e32 v53, 0xfeffffff
	v_mov_b32_e32 v54, 0
	v_mov_b32_e32 v52, 0
.LBB46_8:                               ; =>This Inner Loop Header: Depth=1
	s_mul_hi_i32 s45, s16, s12
	s_mul_i32 s44, s16, s12
	s_lshl_b64 s[44:45], s[44:45], 2
	s_add_u32 s39, s13, s44
	s_addc_u32 s43, s22, s45
	v_mov_b32_e32 v2, s43
	v_add_co_u32_e32 v3, vcc, s39, v9
	v_addc_co_u32_e32 v4, vcc, v2, v10, vcc
	v_add_co_u32_e32 v2, vcc, v3, v49
	v_addc_co_u32_e32 v3, vcc, 0, v4, vcc
	v_mov_b32_e32 v4, s43
	v_add_co_u32_e32 v5, vcc, s39, v11
	v_addc_co_u32_e32 v7, vcc, v4, v12, vcc
	v_add_co_u32_e32 v4, vcc, v5, v49
	v_addc_co_u32_e32 v5, vcc, 0, v7, vcc
	global_load_dwordx4 v[56:59], v[2:3], off
	global_load_dwordx4 v[60:63], v[4:5], off
	v_mov_b32_e32 v7, 0
	v_mov_b32_e32 v8, 0
	s_and_b64 vcc, exec, s[6:7]
	s_waitcnt vmcnt(1)
	ds_write_b128 v40, v[56:59]
	s_waitcnt vmcnt(0)
	ds_write_b128 v41, v[60:63]
	s_waitcnt lgkmcnt(0)
	s_barrier
	ds_read_b128 v[56:59], v42
	ds_read_b128 v[60:63], v43
	ds_read_b128 v[64:67], v43 offset:512
	s_waitcnt lgkmcnt(1)
	;;#ASMSTART
	v_dot2_f32_f16 v7, v56, v60, v7
	;;#ASMEND
	;;#ASMSTART
	v_dot2_f32_f16 v7, v57, v61, v7
	;;#ASMEND
	;;#ASMSTART
	v_dot2_f32_f16 v7, v58, v62, v7
	;;#ASMEND
	;;#ASMSTART
	v_dot2_f32_f16 v7, v59, v63, v7
	;;#ASMEND
	s_waitcnt lgkmcnt(0)
	;;#ASMSTART
	v_dot2_f32_f16 v8, v56, v64, v8
	;;#ASMEND
	;;#ASMSTART
	v_dot2_f32_f16 v8, v57, v65, v8
	;;#ASMEND
	;;#ASMSTART
	v_dot2_f32_f16 v8, v58, v66, v8
	;;#ASMEND
	;;#ASMSTART
	v_dot2_f32_f16 v8, v59, v67, v8
	;;#ASMEND
	ds_read_b128 v[56:59], v42 offset:16
	ds_read_b128 v[60:63], v43 offset:16
	ds_read_b128 v[64:67], v43 offset:528
	s_waitcnt lgkmcnt(1)
	;;#ASMSTART
	v_dot2_f32_f16 v7, v56, v60, v7
	;;#ASMEND
	;;#ASMSTART
	v_dot2_f32_f16 v7, v57, v61, v7
	;;#ASMEND
	;;#ASMSTART
	v_dot2_f32_f16 v7, v58, v62, v7
	;;#ASMEND
	;;#ASMSTART
	v_dot2_f32_f16 v7, v59, v63, v7
	;;#ASMEND
	s_waitcnt lgkmcnt(0)
	;;#ASMSTART
	v_dot2_f32_f16 v8, v56, v64, v8
	;;#ASMEND
	;;#ASMSTART
	v_dot2_f32_f16 v8, v57, v65, v8
	;;#ASMEND
	;;#ASMSTART
	v_dot2_f32_f16 v8, v58, v66, v8
	;;#ASMEND
	;;#ASMSTART
	v_dot2_f32_f16 v8, v59, v67, v8
	;;#ASMEND
	ds_read_b128 v[56:59], v42 offset:32
	ds_read_b128 v[60:63], v43 offset:32
	;; [unrolled: 29-line block ×15, first 2 shown]
	ds_read_b128 v[64:67], v43 offset:752
	s_waitcnt lgkmcnt(1)
	;;#ASMSTART
	v_dot2_f32_f16 v7, v56, v60, v7
	;;#ASMEND
	;;#ASMSTART
	v_dot2_f32_f16 v7, v57, v61, v7
	;;#ASMEND
	;; [unrolled: 3-line block ×4, first 2 shown]
	s_waitcnt lgkmcnt(0)
	;;#ASMSTART
	v_dot2_f32_f16 v8, v56, v64, v8
	;;#ASMEND
	;;#ASMSTART
	v_dot2_f32_f16 v8, v57, v65, v8
	;;#ASMEND
	;; [unrolled: 3-line block ×4, first 2 shown]
	s_barrier
	global_load_dwordx4 v[56:59], v[2:3], off offset:256
	s_nop 0
	global_load_dwordx4 v[2:5], v[4:5], off offset:256
	s_waitcnt vmcnt(1)
	ds_write_b128 v40, v[56:59]
	s_waitcnt vmcnt(0)
	ds_write_b128 v41, v[2:5]
	s_waitcnt lgkmcnt(0)
	s_barrier
	ds_read_b128 v[2:5], v42
	ds_read_b128 v[56:59], v43 offset:256
	ds_read_b128 v[60:63], v43 offset:768
	s_waitcnt lgkmcnt(1)
	;;#ASMSTART
	v_dot2_f32_f16 v7, v2, v56, v7
	;;#ASMEND
	;;#ASMSTART
	v_dot2_f32_f16 v7, v3, v57, v7
	;;#ASMEND
	;;#ASMSTART
	v_dot2_f32_f16 v7, v4, v58, v7
	;;#ASMEND
	;;#ASMSTART
	v_dot2_f32_f16 v7, v5, v59, v7
	;;#ASMEND
	s_waitcnt lgkmcnt(0)
	;;#ASMSTART
	v_dot2_f32_f16 v8, v2, v60, v8
	;;#ASMEND
	;;#ASMSTART
	v_dot2_f32_f16 v8, v3, v61, v8
	;;#ASMEND
	;;#ASMSTART
	v_dot2_f32_f16 v8, v4, v62, v8
	;;#ASMEND
	;;#ASMSTART
	v_dot2_f32_f16 v8, v5, v63, v8
	;;#ASMEND
	ds_read_b128 v[2:5], v42 offset:16
	ds_read_b128 v[56:59], v43 offset:272
	ds_read_b128 v[60:63], v43 offset:784
	s_waitcnt lgkmcnt(1)
	;;#ASMSTART
	v_dot2_f32_f16 v7, v2, v56, v7
	;;#ASMEND
	;;#ASMSTART
	v_dot2_f32_f16 v7, v3, v57, v7
	;;#ASMEND
	;;#ASMSTART
	v_dot2_f32_f16 v7, v4, v58, v7
	;;#ASMEND
	;;#ASMSTART
	v_dot2_f32_f16 v7, v5, v59, v7
	;;#ASMEND
	s_waitcnt lgkmcnt(0)
	;;#ASMSTART
	v_dot2_f32_f16 v8, v2, v60, v8
	;;#ASMEND
	;;#ASMSTART
	v_dot2_f32_f16 v8, v3, v61, v8
	;;#ASMEND
	;;#ASMSTART
	v_dot2_f32_f16 v8, v4, v62, v8
	;;#ASMEND
	;;#ASMSTART
	v_dot2_f32_f16 v8, v5, v63, v8
	;;#ASMEND
	ds_read_b128 v[2:5], v42 offset:32
	;; [unrolled: 29-line block ×15, first 2 shown]
	ds_read_b128 v[60:63], v43 offset:496
	ds_read_b128 v[64:67], v43 offset:1008
	s_waitcnt lgkmcnt(1)
	;;#ASMSTART
	v_dot2_f32_f16 v7, v56, v60, v7
	;;#ASMEND
	;;#ASMSTART
	v_dot2_f32_f16 v7, v57, v61, v7
	;;#ASMEND
	;; [unrolled: 3-line block ×4, first 2 shown]
	s_waitcnt lgkmcnt(0)
	;;#ASMSTART
	v_dot2_f32_f16 v8, v56, v64, v8
	;;#ASMEND
	;;#ASMSTART
	v_dot2_f32_f16 v8, v57, v65, v8
	;;#ASMEND
	v_add_u32_e32 v3, s16, v0
	;;#ASMSTART
	v_dot2_f32_f16 v8, v58, v66, v8
	;;#ASMEND
	v_mov_b32_e32 v2, 0
	;;#ASMSTART
	v_dot2_f32_f16 v8, v59, v67, v8
	;;#ASMEND
	s_cbranch_vccnz .LBB46_10
; %bb.9:                                ;   in Loop: Header=BB46_8 Depth=1
	v_add_u32_e32 v4, v3, v44
	v_ashrrev_i32_e32 v5, 31, v4
	v_lshlrev_b64 v[4:5], 1, v[4:5]
	v_mov_b32_e32 v2, s41
	v_add_co_u32_e32 v4, vcc, s40, v4
	v_addc_co_u32_e32 v5, vcc, v2, v5, vcc
	global_load_ushort v2, v[4:5], off
	s_waitcnt vmcnt(0)
	v_cvt_f32_f16_e32 v2, v2
	v_mul_f32_e32 v2, v17, v2
.LBB46_10:                              ;   in Loop: Header=BB46_8 Depth=1
	v_and_b32_e32 v4, 0x60, v50
	v_add_u32_e32 v56, 32, v4
	v_xor_b32_e32 v4, 16, v50
	v_cmp_lt_i32_e32 vcc, v4, v56
	v_add_f32_e32 v2, v7, v2
	v_cndmask_b32_e32 v4, v50, v4, vcc
	v_add_f32_e32 v5, 0x40051340, v2
	v_max_f32_e32 v7, v55, v55
	v_lshlrev_b32_e32 v4, 2, v4
	v_max_f32_e32 v7, v7, v5
	ds_bpermute_b32 v36, v4, v7
	v_xor_b32_e32 v5, 8, v50
	v_cmp_lt_i32_e32 vcc, v5, v56
	v_cndmask_b32_e32 v5, v50, v5, vcc
	v_lshlrev_b32_e32 v5, 2, v5
	s_waitcnt lgkmcnt(0)
	v_max_f32_e32 v36, v36, v36
	v_max_f32_e32 v7, v7, v36
	ds_bpermute_b32 v37, v5, v7
	v_xor_b32_e32 v36, 4, v50
	v_cmp_lt_i32_e32 vcc, v36, v56
	v_cndmask_b32_e32 v36, v50, v36, vcc
	v_lshlrev_b32_e32 v36, 2, v36
	s_waitcnt lgkmcnt(0)
	v_max_f32_e32 v37, v37, v37
	;; [unrolled: 8-line block ×4, first 2 shown]
	v_max_f32_e32 v7, v7, v57
	ds_bpermute_b32 v57, v56, v7
	s_and_b64 vcc, exec, s[6:7]
	s_cbranch_vccnz .LBB46_12
; %bb.11:                               ;   in Loop: Header=BB46_8 Depth=1
	v_add_u32_e32 v58, v3, v45
	v_ashrrev_i32_e32 v59, 31, v58
	v_lshlrev_b64 v[58:59], 1, v[58:59]
	v_mov_b32_e32 v3, s41
	v_add_co_u32_e32 v58, vcc, s40, v58
	v_addc_co_u32_e32 v59, vcc, v3, v59, vcc
	global_load_ushort v3, v[58:59], off
	s_waitcnt vmcnt(0)
	v_cvt_f32_f16_e32 v3, v3
	v_mul_f32_e32 v3, v17, v3
	s_branch .LBB46_13
.LBB46_12:                              ;   in Loop: Header=BB46_8 Depth=1
	v_mov_b32_e32 v3, 0
.LBB46_13:                              ;   in Loop: Header=BB46_8 Depth=1
	s_waitcnt lgkmcnt(0)
	v_max_f32_e32 v57, v57, v57
	v_max_f32_e32 v7, v7, v7
	v_add_f32_e32 v3, v8, v3
	v_max_f32_e32 v7, v7, v57
	v_add_f32_e32 v8, 0x40051340, v3
	v_max_f32_e32 v57, v53, v53
	v_max_f32_e32 v8, v57, v8
	ds_bpermute_b32 v4, v4, v8
	v_sub_f32_e32 v2, v2, v7
	s_mul_hi_i32 s45, s16, s8
	s_mul_i32 s44, s16, s8
	s_lshl_b64 s[44:45], s[44:45], 2
	s_waitcnt lgkmcnt(0)
	v_max_f32_e32 v4, v4, v4
	v_max_f32_e32 v4, v8, v4
	ds_bpermute_b32 v5, v5, v4
	s_add_u32 s39, s14, s44
	s_addc_u32 s43, s15, s45
	s_waitcnt lgkmcnt(0)
	s_barrier
	v_max_f32_e32 v5, v5, v5
	v_max_f32_e32 v4, v4, v5
	ds_bpermute_b32 v5, v36, v4
	s_waitcnt lgkmcnt(0)
	v_max_f32_e32 v5, v5, v5
	v_max_f32_e32 v4, v4, v5
	ds_bpermute_b32 v5, v37, v4
	s_waitcnt lgkmcnt(0)
	;; [unrolled: 4-line block ×3, first 2 shown]
	v_max_f32_e32 v5, v5, v5
	v_max_f32_e32 v8, v4, v5
	v_sub_f32_e32 v4, v55, v7
	v_mul_f32_e32 v5, 0x3fb8aa3b, v4
	v_fma_f32 v36, v4, s23, -v5
	v_rndne_f32_e32 v37, v5
	v_fmac_f32_e32 v36, 0x32a5705f, v4
	v_sub_f32_e32 v5, v5, v37
	v_add_f32_e32 v5, v5, v36
	v_exp_f32_e32 v5, v5
	v_cvt_i32_f32_e32 v36, v37
	v_cmp_ngt_f32_e32 vcc, s36, v4
	v_sub_f32_e32 v3, v3, v8
	v_ldexp_f32 v5, v5, v36
	v_cndmask_b32_e32 v5, 0, v5, vcc
	v_cmp_nlt_f32_e32 vcc, s37, v4
	v_cndmask_b32_e32 v4, v51, v5, vcc
	v_mul_f32_e32 v5, 0x3fb8aa3b, v2
	v_fma_f32 v36, v2, s23, -v5
	v_rndne_f32_e32 v37, v5
	v_fmac_f32_e32 v36, 0x32a5705f, v2
	v_sub_f32_e32 v5, v5, v37
	v_add_f32_e32 v5, v5, v36
	v_exp_f32_e32 v5, v5
	v_cvt_i32_f32_e32 v36, v37
	v_cmp_ngt_f32_e32 vcc, s36, v2
	v_ldexp_f32 v5, v5, v36
	v_cndmask_b32_e32 v5, 0, v5, vcc
	v_cmp_nlt_f32_e32 vcc, s37, v2
	v_cndmask_b32_e32 v37, v51, v5, vcc
	v_cvt_f16_f32_e32 v2, v37
	v_fmac_f32_e32 v37, v54, v4
	v_cvt_f16_f32_e32 v4, v4
	v_mul_u32_u24_e32 v64, 0x10001, v4
	v_sub_f32_e32 v4, v53, v8
	v_mul_f32_e32 v5, 0x3fb8aa3b, v4
	v_pk_mul_f16 v65, v33, v64
	v_fma_f32 v33, v4, s23, -v5
	v_rndne_f32_e32 v36, v5
	v_fmac_f32_e32 v33, 0x32a5705f, v4
	v_sub_f32_e32 v5, v5, v36
	v_add_f32_e32 v5, v5, v33
	v_exp_f32_e32 v5, v5
	v_cvt_i32_f32_e32 v33, v36
	v_cmp_ngt_f32_e32 vcc, s36, v4
	v_pk_mul_f16 v35, v35, v64
	v_pk_mul_f16 v34, v34, v64
	v_ldexp_f32 v5, v5, v33
	v_cndmask_b32_e32 v5, 0, v5, vcc
	v_cmp_nlt_f32_e32 vcc, s37, v4
	v_cndmask_b32_e32 v4, v51, v5, vcc
	v_mul_f32_e32 v5, 0x3fb8aa3b, v3
	v_fma_f32 v33, v3, s23, -v5
	v_rndne_f32_e32 v36, v5
	v_fmac_f32_e32 v33, 0x32a5705f, v3
	v_sub_f32_e32 v5, v5, v36
	v_add_f32_e32 v5, v5, v33
	v_exp_f32_e32 v5, v5
	v_cvt_i32_f32_e32 v33, v36
	v_cmp_ngt_f32_e32 vcc, s36, v3
	v_ldexp_f32 v5, v5, v33
	v_cndmask_b32_e32 v5, 0, v5, vcc
	v_cmp_nlt_f32_e32 vcc, s37, v3
	v_cndmask_b32_e32 v36, v51, v5, vcc
	v_cvt_f16_f32_e32 v3, v36
	v_fmac_f32_e32 v36, v52, v4
	v_cvt_f16_f32_e32 v4, v4
	v_pack_b32_f16 v2, v2, v3
	v_mov_b32_e32 v3, s43
	v_mul_u32_u24_e32 v66, 0x10001, v4
	v_add_u32_e32 v4, v46, v21
	ds_write_b32 v4, v2
	v_add_co_u32_e32 v2, vcc, s39, v13
	v_addc_co_u32_e32 v3, vcc, v3, v14, vcc
	v_add_co_u32_e32 v2, vcc, v2, v26
	v_addc_co_u32_e32 v3, vcc, 0, v3, vcc
	global_load_dwordx4 v[2:5], v[2:3], off
	v_pk_mul_f16 v67, v32, v66
	v_pk_mul_f16 v68, v31, v66
	;; [unrolled: 1-line block ×3, first 2 shown]
	s_waitcnt vmcnt(0)
	ds_write_b128 v47, v[2:5]
	v_add_co_u32_e32 v2, vcc, s39, v15
	v_mov_b32_e32 v3, s43
	v_addc_co_u32_e32 v3, vcc, v3, v16, vcc
	v_add_co_u32_e32 v2, vcc, v2, v26
	v_addc_co_u32_e32 v3, vcc, 0, v3, vcc
	global_load_dwordx4 v[2:5], v[2:3], off
	s_or_b32 s39, s16, 16
	s_mul_hi_i32 s45, s39, s8
	s_mul_i32 s44, s39, s8
	s_lshl_b64 s[44:45], s[44:45], 2
	s_add_u32 s39, s14, s44
	s_addc_u32 s43, s15, s45
	s_waitcnt vmcnt(0)
	ds_write_b128 v48, v[2:5]
	s_waitcnt lgkmcnt(0)
	s_barrier
	ds_read2_b64 v[30:33], v25 offset1:32
	ds_read_b128 v[52:55], v46
	ds_read_b128 v[56:59], v46 offset:16
	ds_read_b128 v[60:63], v46 offset:32
	ds_read_b128 v[2:5], v46 offset:48
	s_waitcnt lgkmcnt(3)
	v_mul_u32_u24_sdwa v70, v52, s38 dst_sel:DWORD dst_unused:UNUSED_PAD src0_sel:WORD_0 src1_sel:DWORD
	v_mul_u32_u24_sdwa v52, v52, s38 dst_sel:DWORD dst_unused:UNUSED_PAD src0_sel:WORD_1 src1_sel:DWORD
	v_pk_mul_f16 v71, v30, v70
	v_pk_mul_f16 v30, v30, v52
	v_pk_fma_f16 v28, v28, v64, v71
	v_pk_fma_f16 v27, v27, v66, v30
	v_pk_fma_f16 v35, v31, v70, v35
	v_pk_fma_f16 v64, v31, v52, v67
	v_pk_fma_f16 v65, v32, v70, v65
	v_pk_fma_f16 v66, v32, v52, v68
	v_pk_fma_f16 v34, v33, v70, v34
	v_pk_fma_f16 v52, v33, v52, v69
	ds_read2_b64 v[30:33], v25 offset0:64 offset1:96
	v_mul_u32_u24_sdwa v67, v53, s38 dst_sel:DWORD dst_unused:UNUSED_PAD src0_sel:WORD_0 src1_sel:DWORD
	v_mul_u32_u24_sdwa v53, v53, s38 dst_sel:DWORD dst_unused:UNUSED_PAD src0_sel:WORD_1 src1_sel:DWORD
	s_waitcnt lgkmcnt(0)
	v_pk_fma_f16 v28, v30, v67, v28
	v_pk_fma_f16 v27, v30, v53, v27
	v_pk_fma_f16 v35, v31, v67, v35
	v_pk_fma_f16 v64, v31, v53, v64
	v_pk_fma_f16 v65, v32, v67, v65
	v_pk_fma_f16 v66, v32, v53, v66
	v_pk_fma_f16 v34, v33, v67, v34
	v_pk_fma_f16 v52, v33, v53, v52
	ds_read2_b64 v[30:33], v25 offset0:128 offset1:160
	v_mul_u32_u24_sdwa v53, v54, s38 dst_sel:DWORD dst_unused:UNUSED_PAD src0_sel:WORD_0 src1_sel:DWORD
	v_mul_u32_u24_sdwa v54, v54, s38 dst_sel:DWORD dst_unused:UNUSED_PAD src0_sel:WORD_1 src1_sel:DWORD
	s_waitcnt lgkmcnt(0)
	;; [unrolled: 12-line block ×3, first 2 shown]
	v_pk_fma_f16 v55, v30, v53, v28
	v_add_u32_e32 v28, 0x800, v25
	v_pk_fma_f16 v27, v30, v54, v27
	v_pk_fma_f16 v35, v31, v53, v35
	;; [unrolled: 1-line block ×7, first 2 shown]
	ds_read2_b64 v[30:33], v28 offset1:32
	v_mul_u32_u24_sdwa v53, v56, s38 dst_sel:DWORD dst_unused:UNUSED_PAD src0_sel:WORD_0 src1_sel:DWORD
	v_mul_u32_u24_sdwa v54, v56, s38 dst_sel:DWORD dst_unused:UNUSED_PAD src0_sel:WORD_1 src1_sel:DWORD
	s_waitcnt lgkmcnt(0)
	v_pk_fma_f16 v55, v30, v53, v55
	v_pk_fma_f16 v27, v30, v54, v27
	v_pk_fma_f16 v35, v31, v53, v35
	v_pk_fma_f16 v56, v31, v54, v64
	v_pk_fma_f16 v64, v32, v53, v65
	v_pk_fma_f16 v65, v32, v54, v66
	v_pk_fma_f16 v34, v33, v53, v34
	v_pk_fma_f16 v52, v33, v54, v52
	ds_read2_b64 v[30:33], v28 offset0:64 offset1:96
	v_mul_u32_u24_sdwa v53, v57, s38 dst_sel:DWORD dst_unused:UNUSED_PAD src0_sel:WORD_0 src1_sel:DWORD
	v_mul_u32_u24_sdwa v54, v57, s38 dst_sel:DWORD dst_unused:UNUSED_PAD src0_sel:WORD_1 src1_sel:DWORD
	s_waitcnt lgkmcnt(0)
	v_pk_fma_f16 v55, v30, v53, v55
	v_pk_fma_f16 v27, v30, v54, v27
	v_pk_fma_f16 v35, v31, v53, v35
	v_pk_fma_f16 v56, v31, v54, v56
	v_pk_fma_f16 v57, v32, v53, v64
	v_pk_fma_f16 v64, v32, v54, v65
	v_pk_fma_f16 v34, v33, v53, v34
	v_pk_fma_f16 v52, v33, v54, v52
	ds_read2_b64 v[30:33], v28 offset0:128 offset1:160
	;; [unrolled: 12-line block ×3, first 2 shown]
	v_mul_u32_u24_sdwa v54, v59, s38 dst_sel:DWORD dst_unused:UNUSED_PAD src0_sel:WORD_1 src1_sel:DWORD
	v_mul_u32_u24_sdwa v53, v59, s38 dst_sel:DWORD dst_unused:UNUSED_PAD src0_sel:WORD_0 src1_sel:DWORD
	s_waitcnt lgkmcnt(0)
	v_pk_fma_f16 v59, v30, v54, v27
	v_add_u32_e32 v27, 0x1000, v25
	v_pk_fma_f16 v55, v30, v53, v55
	v_pk_fma_f16 v35, v31, v53, v35
	;; [unrolled: 1-line block ×7, first 2 shown]
	ds_read2_b64 v[30:33], v27 offset1:32
	v_mul_u32_u24_sdwa v53, v60, s38 dst_sel:DWORD dst_unused:UNUSED_PAD src0_sel:WORD_0 src1_sel:DWORD
	v_mul_u32_u24_sdwa v54, v60, s38 dst_sel:DWORD dst_unused:UNUSED_PAD src0_sel:WORD_1 src1_sel:DWORD
	s_waitcnt lgkmcnt(0)
	v_pk_fma_f16 v55, v30, v53, v55
	v_pk_fma_f16 v59, v30, v54, v59
	v_pk_fma_f16 v35, v31, v53, v35
	v_pk_fma_f16 v56, v31, v54, v56
	v_pk_fma_f16 v57, v32, v53, v57
	v_pk_fma_f16 v58, v32, v54, v58
	v_pk_fma_f16 v34, v33, v53, v34
	v_pk_fma_f16 v52, v33, v54, v52
	ds_read2_b64 v[30:33], v27 offset0:64 offset1:96
	v_mul_u32_u24_sdwa v53, v61, s38 dst_sel:DWORD dst_unused:UNUSED_PAD src0_sel:WORD_0 src1_sel:DWORD
	v_mul_u32_u24_sdwa v54, v61, s38 dst_sel:DWORD dst_unused:UNUSED_PAD src0_sel:WORD_1 src1_sel:DWORD
	s_waitcnt lgkmcnt(0)
	v_pk_fma_f16 v55, v30, v53, v55
	v_pk_fma_f16 v59, v30, v54, v59
	v_pk_fma_f16 v35, v31, v53, v35
	v_pk_fma_f16 v56, v31, v54, v56
	v_pk_fma_f16 v57, v32, v53, v57
	v_pk_fma_f16 v58, v32, v54, v58
	v_pk_fma_f16 v34, v33, v53, v34
	v_pk_fma_f16 v52, v33, v54, v52
	ds_read2_b64 v[30:33], v27 offset0:128 offset1:160
	;; [unrolled: 12-line block ×3, first 2 shown]
	v_mul_u32_u24_sdwa v53, v63, s38 dst_sel:DWORD dst_unused:UNUSED_PAD src0_sel:WORD_0 src1_sel:DWORD
	v_mul_u32_u24_sdwa v54, v63, s38 dst_sel:DWORD dst_unused:UNUSED_PAD src0_sel:WORD_1 src1_sel:DWORD
	s_waitcnt lgkmcnt(0)
	v_pk_fma_f16 v55, v30, v53, v55
	v_pk_fma_f16 v59, v30, v54, v59
	v_add_u32_e32 v30, 0x1800, v25
	v_pk_fma_f16 v35, v31, v53, v35
	v_pk_fma_f16 v56, v31, v54, v56
	;; [unrolled: 1-line block ×6, first 2 shown]
	ds_read2_b64 v[31:34], v30 offset1:32
	v_mul_u32_u24_sdwa v54, v2, s38 dst_sel:DWORD dst_unused:UNUSED_PAD src0_sel:WORD_0 src1_sel:DWORD
	v_mul_u32_u24_sdwa v2, v2, s38 dst_sel:DWORD dst_unused:UNUSED_PAD src0_sel:WORD_1 src1_sel:DWORD
	s_waitcnt lgkmcnt(0)
	v_pk_fma_f16 v55, v31, v54, v55
	v_pk_fma_f16 v59, v31, v2, v59
	v_pk_fma_f16 v35, v32, v54, v35
	v_pk_fma_f16 v56, v32, v2, v56
	v_pk_fma_f16 v57, v33, v54, v57
	v_pk_fma_f16 v58, v33, v2, v58
	v_pk_fma_f16 v53, v34, v54, v53
	v_pk_fma_f16 v2, v34, v2, v52
	ds_read2_b64 v[31:34], v30 offset0:64 offset1:96
	v_mul_u32_u24_sdwa v52, v3, s38 dst_sel:DWORD dst_unused:UNUSED_PAD src0_sel:WORD_0 src1_sel:DWORD
	v_mul_u32_u24_sdwa v3, v3, s38 dst_sel:DWORD dst_unused:UNUSED_PAD src0_sel:WORD_1 src1_sel:DWORD
	s_waitcnt lgkmcnt(0)
	v_pk_fma_f16 v54, v31, v52, v55
	v_pk_fma_f16 v55, v31, v3, v59
	v_pk_fma_f16 v35, v32, v52, v35
	v_pk_fma_f16 v56, v32, v3, v56
	v_pk_fma_f16 v57, v33, v52, v57
	v_pk_fma_f16 v58, v33, v3, v58
	v_pk_fma_f16 v52, v34, v52, v53
	v_pk_fma_f16 v2, v34, v3, v2
	ds_read2_b64 v[31:34], v30 offset0:128 offset1:160
	v_mul_u32_u24_sdwa v3, v4, s38 dst_sel:DWORD dst_unused:UNUSED_PAD src0_sel:WORD_0 src1_sel:DWORD
	v_mul_u32_u24_sdwa v4, v4, s38 dst_sel:DWORD dst_unused:UNUSED_PAD src0_sel:WORD_1 src1_sel:DWORD
	s_waitcnt lgkmcnt(0)
	v_pk_fma_f16 v53, v31, v3, v54
	v_pk_fma_f16 v54, v31, v4, v55
	v_pk_fma_f16 v35, v32, v3, v35
	v_pk_fma_f16 v55, v32, v4, v56
	v_pk_fma_f16 v56, v33, v3, v57
	v_pk_fma_f16 v57, v33, v4, v58
	v_pk_fma_f16 v3, v34, v3, v52
	v_pk_fma_f16 v2, v34, v4, v2
	ds_read2_b64 v[31:34], v30 offset0:192 offset1:224
	v_mul_u32_u24_sdwa v4, v5, s38 dst_sel:DWORD dst_unused:UNUSED_PAD src0_sel:WORD_0 src1_sel:DWORD
	v_mul_u32_u24_sdwa v5, v5, s38 dst_sel:DWORD dst_unused:UNUSED_PAD src0_sel:WORD_1 src1_sel:DWORD
	s_waitcnt lgkmcnt(0)
	s_barrier
	v_pk_fma_f16 v69, v34, v4, v3
	v_pk_fma_f16 v70, v34, v5, v2
	v_add_co_u32_e32 v2, vcc, s39, v13
	v_mov_b32_e32 v3, s43
	v_addc_co_u32_e32 v3, vcc, v3, v14, vcc
	v_add_co_u32_e32 v2, vcc, v2, v26
	v_addc_co_u32_e32 v3, vcc, 0, v3, vcc
	v_pk_fma_f16 v64, v31, v4, v53
	v_pk_fma_f16 v65, v31, v5, v54
	;; [unrolled: 1-line block ×6, first 2 shown]
	global_load_dwordx4 v[2:5], v[2:3], off
	s_waitcnt vmcnt(0)
	ds_write_b128 v47, v[2:5]
	v_add_co_u32_e32 v2, vcc, s39, v15
	v_mov_b32_e32 v3, s43
	v_addc_co_u32_e32 v3, vcc, v3, v16, vcc
	v_add_co_u32_e32 v2, vcc, v2, v26
	v_addc_co_u32_e32 v3, vcc, 0, v3, vcc
	global_load_dwordx4 v[2:5], v[2:3], off
	s_waitcnt vmcnt(0)
	ds_write_b128 v48, v[2:5]
	s_waitcnt lgkmcnt(0)
	s_barrier
	ds_read2_b64 v[31:34], v25 offset1:32
	ds_read_b128 v[52:55], v46 offset:64
	ds_read_b128 v[56:59], v46 offset:80
	;; [unrolled: 1-line block ×4, first 2 shown]
	s_waitcnt lgkmcnt(3)
	v_mul_u32_u24_sdwa v71, v52, s38 dst_sel:DWORD dst_unused:UNUSED_PAD src0_sel:WORD_0 src1_sel:DWORD
	v_mul_u32_u24_sdwa v52, v52, s38 dst_sel:DWORD dst_unused:UNUSED_PAD src0_sel:WORD_1 src1_sel:DWORD
	v_pk_fma_f16 v64, v31, v71, v64
	v_pk_fma_f16 v65, v31, v52, v65
	v_pk_fma_f16 v35, v32, v71, v35
	v_pk_fma_f16 v66, v32, v52, v66
	v_pk_fma_f16 v67, v33, v71, v67
	v_pk_fma_f16 v68, v33, v52, v68
	v_pk_fma_f16 v69, v34, v71, v69
	v_pk_fma_f16 v52, v34, v52, v70
	ds_read2_b64 v[31:34], v25 offset0:64 offset1:96
	v_mul_u32_u24_sdwa v70, v53, s38 dst_sel:DWORD dst_unused:UNUSED_PAD src0_sel:WORD_0 src1_sel:DWORD
	v_mul_u32_u24_sdwa v53, v53, s38 dst_sel:DWORD dst_unused:UNUSED_PAD src0_sel:WORD_1 src1_sel:DWORD
	s_waitcnt lgkmcnt(0)
	v_pk_fma_f16 v64, v31, v70, v64
	v_pk_fma_f16 v65, v31, v53, v65
	v_pk_fma_f16 v35, v32, v70, v35
	v_pk_fma_f16 v66, v32, v53, v66
	v_pk_fma_f16 v67, v33, v70, v67
	v_pk_fma_f16 v68, v33, v53, v68
	v_pk_fma_f16 v69, v34, v70, v69
	v_pk_fma_f16 v52, v34, v53, v52
	ds_read2_b64 v[31:34], v25 offset0:128 offset1:160
	v_mul_u32_u24_sdwa v53, v54, s38 dst_sel:DWORD dst_unused:UNUSED_PAD src0_sel:WORD_0 src1_sel:DWORD
	v_mul_u32_u24_sdwa v54, v54, s38 dst_sel:DWORD dst_unused:UNUSED_PAD src0_sel:WORD_1 src1_sel:DWORD
	s_waitcnt lgkmcnt(0)
	v_pk_fma_f16 v64, v31, v53, v64
	v_pk_fma_f16 v65, v31, v54, v65
	v_pk_fma_f16 v35, v32, v53, v35
	v_pk_fma_f16 v66, v32, v54, v66
	v_pk_fma_f16 v67, v33, v53, v67
	v_pk_fma_f16 v68, v33, v54, v68
	v_pk_fma_f16 v53, v34, v53, v69
	v_pk_fma_f16 v52, v34, v54, v52
	ds_read2_b64 v[31:34], v25 offset0:192 offset1:224
	v_mul_u32_u24_sdwa v54, v55, s38 dst_sel:DWORD dst_unused:UNUSED_PAD src0_sel:WORD_0 src1_sel:DWORD
	v_mul_u32_u24_sdwa v55, v55, s38 dst_sel:DWORD dst_unused:UNUSED_PAD src0_sel:WORD_1 src1_sel:DWORD
	s_waitcnt lgkmcnt(0)
	v_pk_fma_f16 v64, v31, v54, v64
	v_pk_fma_f16 v65, v31, v55, v65
	v_pk_fma_f16 v35, v32, v54, v35
	v_pk_fma_f16 v66, v32, v55, v66
	v_pk_fma_f16 v67, v33, v54, v67
	v_pk_fma_f16 v68, v33, v55, v68
	v_pk_fma_f16 v53, v34, v54, v53
	v_pk_fma_f16 v52, v34, v55, v52
	ds_read2_b64 v[31:34], v28 offset1:32
	v_mul_u32_u24_sdwa v54, v56, s38 dst_sel:DWORD dst_unused:UNUSED_PAD src0_sel:WORD_0 src1_sel:DWORD
	v_mul_u32_u24_sdwa v55, v56, s38 dst_sel:DWORD dst_unused:UNUSED_PAD src0_sel:WORD_1 src1_sel:DWORD
	s_waitcnt lgkmcnt(0)
	v_pk_fma_f16 v56, v31, v54, v64
	v_pk_fma_f16 v64, v31, v55, v65
	v_pk_fma_f16 v35, v32, v54, v35
	v_pk_fma_f16 v65, v32, v55, v66
	v_pk_fma_f16 v66, v33, v54, v67
	v_pk_fma_f16 v67, v33, v55, v68
	v_pk_fma_f16 v53, v34, v54, v53
	v_pk_fma_f16 v52, v34, v55, v52
	ds_read2_b64 v[31:34], v28 offset0:64 offset1:96
	v_mul_u32_u24_sdwa v54, v57, s38 dst_sel:DWORD dst_unused:UNUSED_PAD src0_sel:WORD_0 src1_sel:DWORD
	v_mul_u32_u24_sdwa v55, v57, s38 dst_sel:DWORD dst_unused:UNUSED_PAD src0_sel:WORD_1 src1_sel:DWORD
	s_waitcnt lgkmcnt(0)
	v_pk_fma_f16 v56, v31, v54, v56
	v_pk_fma_f16 v57, v31, v55, v64
	v_pk_fma_f16 v35, v32, v54, v35
	v_pk_fma_f16 v64, v32, v55, v65
	v_pk_fma_f16 v65, v33, v54, v66
	v_pk_fma_f16 v66, v33, v55, v67
	v_pk_fma_f16 v53, v34, v54, v53
	v_pk_fma_f16 v52, v34, v55, v52
	ds_read2_b64 v[31:34], v28 offset0:128 offset1:160
	v_mul_u32_u24_sdwa v54, v58, s38 dst_sel:DWORD dst_unused:UNUSED_PAD src0_sel:WORD_0 src1_sel:DWORD
	v_mul_u32_u24_sdwa v55, v58, s38 dst_sel:DWORD dst_unused:UNUSED_PAD src0_sel:WORD_1 src1_sel:DWORD
	s_waitcnt lgkmcnt(0)
	v_pk_fma_f16 v56, v31, v54, v56
	v_pk_fma_f16 v57, v31, v55, v57
	v_pk_fma_f16 v35, v32, v54, v35
	v_pk_fma_f16 v58, v32, v55, v64
	v_pk_fma_f16 v64, v33, v54, v65
	v_pk_fma_f16 v65, v33, v55, v66
	v_pk_fma_f16 v53, v34, v54, v53
	v_pk_fma_f16 v52, v34, v55, v52
	ds_read2_b64 v[31:34], v28 offset0:192 offset1:224
	v_mul_u32_u24_sdwa v28, v59, s38 dst_sel:DWORD dst_unused:UNUSED_PAD src0_sel:WORD_0 src1_sel:DWORD
	v_mul_u32_u24_sdwa v54, v59, s38 dst_sel:DWORD dst_unused:UNUSED_PAD src0_sel:WORD_1 src1_sel:DWORD
	s_waitcnt lgkmcnt(0)
	v_pk_fma_f16 v55, v31, v28, v56
	v_pk_fma_f16 v56, v31, v54, v57
	v_pk_fma_f16 v35, v32, v28, v35
	v_pk_fma_f16 v57, v32, v54, v58
	v_pk_fma_f16 v58, v33, v28, v64
	v_pk_fma_f16 v59, v33, v54, v65
	v_pk_fma_f16 v28, v34, v28, v53
	v_pk_fma_f16 v52, v34, v54, v52
	ds_read2_b64 v[31:34], v27 offset1:32
	v_mul_u32_u24_sdwa v53, v60, s38 dst_sel:DWORD dst_unused:UNUSED_PAD src0_sel:WORD_0 src1_sel:DWORD
	v_mul_u32_u24_sdwa v54, v60, s38 dst_sel:DWORD dst_unused:UNUSED_PAD src0_sel:WORD_1 src1_sel:DWORD
	s_waitcnt lgkmcnt(0)
	;; [unrolled: 48-line block ×3, first 2 shown]
	v_pk_fma_f16 v53, v31, v52, v54
	v_pk_fma_f16 v54, v31, v2, v55
	;; [unrolled: 1-line block ×8, first 2 shown]
	ds_read2_b64 v[31:34], v30 offset0:64 offset1:96
	v_mul_u32_u24_sdwa v28, v3, s38 dst_sel:DWORD dst_unused:UNUSED_PAD src0_sel:WORD_0 src1_sel:DWORD
	v_mul_u32_u24_sdwa v3, v3, s38 dst_sel:DWORD dst_unused:UNUSED_PAD src0_sel:WORD_1 src1_sel:DWORD
	s_waitcnt lgkmcnt(0)
	v_pk_fma_f16 v52, v31, v28, v53
	v_pk_fma_f16 v53, v31, v3, v54
	v_pk_fma_f16 v35, v32, v28, v35
	v_pk_fma_f16 v54, v32, v3, v55
	v_pk_fma_f16 v55, v33, v28, v56
	v_pk_fma_f16 v56, v33, v3, v57
	v_pk_fma_f16 v27, v34, v28, v27
	v_pk_fma_f16 v2, v34, v3, v2
	ds_read2_b64 v[31:34], v30 offset0:128 offset1:160
	v_mul_u32_u24_sdwa v3, v4, s38 dst_sel:DWORD dst_unused:UNUSED_PAD src0_sel:WORD_0 src1_sel:DWORD
	v_mul_u32_u24_sdwa v4, v4, s38 dst_sel:DWORD dst_unused:UNUSED_PAD src0_sel:WORD_1 src1_sel:DWORD
	s_waitcnt lgkmcnt(0)
	v_pk_fma_f16 v28, v31, v3, v52
	v_pk_fma_f16 v31, v31, v4, v53
	;; [unrolled: 1-line block ×5, first 2 shown]
	ds_read2_b64 v[52:55], v30 offset0:192 offset1:224
	s_waitcnt lgkmcnt(0)
	s_barrier
	s_load_dword s39, s[10:11], 0x4
	v_pk_fma_f16 v56, v33, v4, v56
	v_pk_fma_f16 v3, v34, v3, v27
	;; [unrolled: 1-line block ×3, first 2 shown]
	v_mul_u32_u24_sdwa v4, v5, s38 dst_sel:DWORD dst_unused:UNUSED_PAD src0_sel:WORD_0 src1_sel:DWORD
	s_waitcnt lgkmcnt(0)
	s_lshl_b32 s39, s39, 5
	v_mul_u32_u24_sdwa v5, v5, s38 dst_sel:DWORD dst_unused:UNUSED_PAD src0_sel:WORD_1 src1_sel:DWORD
	s_add_i32 s16, s39, s16
	v_pk_fma_f16 v28, v52, v4, v28
	v_pk_fma_f16 v27, v52, v5, v31
	;; [unrolled: 1-line block ×8, first 2 shown]
	s_cmp_lt_i32 s16, s17
	s_cbranch_scc0 .LBB46_16
; %bb.14:                               ;   in Loop: Header=BB46_8 Depth=1
	v_mov_b32_e32 v55, v7
	v_mov_b32_e32 v53, v8
	;; [unrolled: 1-line block ×4, first 2 shown]
	s_branch .LBB46_8
.LBB46_15:
	v_mov_b32_e32 v7, 0xfeffffff
	v_mov_b32_e32 v8, v7
	;; [unrolled: 1-line block ×11, first 2 shown]
.LBB46_16:
	s_cmp_gt_i32 s42, s16
	s_cbranch_scc1 .LBB46_18
; %bb.17:
	v_mbcnt_hi_u32_b32 v40, -1, v29
	v_and_b32_e32 v2, 0x60, v40
	v_add_u32_e32 v41, 32, v2
	v_xor_b32_e32 v43, 16, v40
	v_xor_b32_e32 v42, 8, v40
	;; [unrolled: 1-line block ×5, first 2 shown]
	s_cbranch_execz .LBB46_19
	s_branch .LBB46_29
.LBB46_18:
                                        ; implicit-def: $vgpr40
                                        ; implicit-def: $vgpr41
                                        ; implicit-def: $vgpr43
                                        ; implicit-def: $vgpr42
                                        ; implicit-def: $vgpr44
                                        ; implicit-def: $vgpr45
                                        ; implicit-def: $vgpr46
.LBB46_19:
	v_add_u32_e32 v16, v39, v23
	v_mul_lo_u32 v3, s12, v16
	s_mul_hi_i32 s11, s16, s12
	s_mul_i32 s10, s16, s12
	s_mov_b64 s[6:7], src_private_base
	s_sub_i32 s17, s42, s16
	s_lshl_b64 s[10:11], s[10:11], 2
	v_ashrrev_i32_e32 v4, 31, v3
	s_add_u32 s6, s13, s10
	v_lshlrev_b64 v[9:10], 2, v[3:4]
	s_addc_u32 s10, s22, s11
	v_mov_b32_e32 v2, s10
	v_add_co_u32_e32 v4, vcc, s6, v9
	v_lshlrev_b32_e32 v42, 2, v38
	v_addc_co_u32_e32 v2, vcc, v2, v10, vcc
	v_add_co_u32_e32 v14, vcc, v4, v42
	v_addc_co_u32_e32 v15, vcc, 0, v2, vcc
	v_mov_b32_e32 v5, 0
	v_mov_b32_e32 v10, s7
	v_cmp_gt_i32_e32 vcc, s17, v16
	v_mov_b32_e32 v11, 0
	buffer_store_dword v5, off, s[0:3], 0
	buffer_store_dword v5, off, s[0:3], 0 offset:4
	buffer_store_dword v5, off, s[0:3], 0 offset:8
	;; [unrolled: 1-line block ×3, first 2 shown]
	v_cndmask_b32_e32 v13, v10, v15, vcc
	v_cndmask_b32_e32 v12, v11, v14, vcc
	flat_load_dwordx4 v[38:41], v[12:13]
	v_lshl_add_u32 v3, s12, 4, v3
	v_ashrrev_i32_e32 v4, 31, v3
	v_lshlrev_b64 v[3:4], 2, v[3:4]
	s_movk_i32 s7, 0x110
	v_mad_u32_u24 v2, v16, s7, v42
	v_mov_b32_e32 v12, s10
	v_add_co_u32_e64 v3, s[6:7], s6, v3
	v_addc_co_u32_e64 v4, s[6:7], v12, v4, s[6:7]
	v_add_co_u32_e64 v12, s[6:7], v3, v42
	v_add_u32_e32 v9, 16, v16
	v_addc_co_u32_e64 v13, s[6:7], 0, v4, s[6:7]
	v_cmp_gt_i32_e64 s[6:7], s17, v9
	buffer_store_dword v5, off, s[0:3], 0
	buffer_store_dword v5, off, s[0:3], 0 offset:4
	buffer_store_dword v5, off, s[0:3], 0 offset:8
	;; [unrolled: 1-line block ×3, first 2 shown]
	v_cndmask_b32_e64 v4, v10, v13, s[6:7]
	v_cndmask_b32_e64 v3, v11, v12, s[6:7]
	v_mul_u32_u24_e32 v9, 0x110, v0
	s_movk_i32 s12, 0x100
	v_add_co_u32_e64 v14, s[10:11], s12, v14
	v_addc_co_u32_e64 v15, s[10:11], 0, v15, s[10:11]
	v_cndmask_b32_e32 v15, v10, v15, vcc
	v_cndmask_b32_e32 v14, v11, v14, vcc
	s_cmp_lg_u64 s[40:41], 0
	s_cselect_b64 s[10:11], -1, 0
	s_waitcnt vmcnt(0) lgkmcnt(0)
	ds_write_b128 v2, v[38:41]
	flat_load_dwordx4 v[38:41], v[3:4]
	v_mov_b32_e32 v4, 0
	v_mov_b32_e32 v3, 0
	s_waitcnt vmcnt(0) lgkmcnt(0)
	ds_write_b128 v2, v[38:41] offset:4352
	s_waitcnt lgkmcnt(0)
	s_barrier
	ds_read_b128 v[38:41], v9
	ds_read_b128 v[42:45], v19 offset:8704
	ds_read_b128 v[46:49], v19 offset:9216
	s_waitcnt lgkmcnt(1)
	;;#ASMSTART
	v_dot2_f32_f16 v4, v38, v42, v4
	;;#ASMEND
	;;#ASMSTART
	v_dot2_f32_f16 v4, v39, v43, v4
	;;#ASMEND
	;;#ASMSTART
	v_dot2_f32_f16 v4, v40, v44, v4
	;;#ASMEND
	;;#ASMSTART
	v_dot2_f32_f16 v4, v41, v45, v4
	;;#ASMEND
	s_waitcnt lgkmcnt(0)
	;;#ASMSTART
	v_dot2_f32_f16 v3, v38, v46, v3
	;;#ASMEND
	;;#ASMSTART
	v_dot2_f32_f16 v3, v39, v47, v3
	;;#ASMEND
	;;#ASMSTART
	v_dot2_f32_f16 v3, v40, v48, v3
	;;#ASMEND
	;;#ASMSTART
	v_dot2_f32_f16 v3, v41, v49, v3
	;;#ASMEND
	ds_read_b128 v[38:41], v9 offset:16
	ds_read_b128 v[42:45], v19 offset:8720
	ds_read_b128 v[46:49], v19 offset:9232
	s_waitcnt lgkmcnt(1)
	;;#ASMSTART
	v_dot2_f32_f16 v4, v38, v42, v4
	;;#ASMEND
	;;#ASMSTART
	v_dot2_f32_f16 v4, v39, v43, v4
	;;#ASMEND
	;;#ASMSTART
	v_dot2_f32_f16 v4, v40, v44, v4
	;;#ASMEND
	;;#ASMSTART
	v_dot2_f32_f16 v4, v41, v45, v4
	;;#ASMEND
	s_waitcnt lgkmcnt(0)
	;;#ASMSTART
	v_dot2_f32_f16 v3, v38, v46, v3
	;;#ASMEND
	;;#ASMSTART
	v_dot2_f32_f16 v3, v39, v47, v3
	;;#ASMEND
	;;#ASMSTART
	v_dot2_f32_f16 v3, v40, v48, v3
	;;#ASMEND
	;;#ASMSTART
	v_dot2_f32_f16 v3, v41, v49, v3
	;;#ASMEND
	ds_read_b128 v[38:41], v9 offset:32
	;; [unrolled: 29-line block ×15, first 2 shown]
	ds_read_b128 v[42:45], v19 offset:8944
	ds_read_b128 v[46:49], v19 offset:9456
	s_waitcnt lgkmcnt(1)
	;;#ASMSTART
	v_dot2_f32_f16 v4, v38, v42, v4
	;;#ASMEND
	;;#ASMSTART
	v_dot2_f32_f16 v4, v39, v43, v4
	;;#ASMEND
	;; [unrolled: 3-line block ×4, first 2 shown]
	s_waitcnt lgkmcnt(0)
	;;#ASMSTART
	v_dot2_f32_f16 v3, v38, v46, v3
	;;#ASMEND
	;;#ASMSTART
	v_dot2_f32_f16 v3, v39, v47, v3
	;;#ASMEND
	;; [unrolled: 3-line block ×4, first 2 shown]
	s_barrier
	buffer_store_dword v5, off, s[0:3], 0
	buffer_store_dword v5, off, s[0:3], 0 offset:4
	buffer_store_dword v5, off, s[0:3], 0 offset:8
	;; [unrolled: 1-line block ×3, first 2 shown]
	flat_load_dwordx4 v[38:41], v[14:15]
	v_add_co_u32_e32 v14, vcc, s12, v12
	v_addc_co_u32_e32 v12, vcc, 0, v13, vcc
	v_cndmask_b32_e64 v12, v10, v12, s[6:7]
	v_cndmask_b32_e64 v11, v11, v14, s[6:7]
	buffer_store_dword v5, off, s[0:3], 0
	buffer_store_dword v5, off, s[0:3], 0 offset:4
	buffer_store_dword v5, off, s[0:3], 0 offset:8
	;; [unrolled: 1-line block ×3, first 2 shown]
	v_cmp_gt_i32_e64 s[6:7], s17, v0
	s_waitcnt vmcnt(0) lgkmcnt(0)
	ds_write_b128 v2, v[38:41]
	flat_load_dwordx4 v[10:13], v[11:12]
	s_waitcnt vmcnt(0) lgkmcnt(0)
	ds_write_b128 v2, v[10:13] offset:4352
	s_waitcnt lgkmcnt(0)
	s_barrier
	ds_read_b128 v[10:13], v9
	ds_read_b128 v[38:41], v19 offset:8960
	ds_read_b128 v[42:45], v19 offset:9472
	s_waitcnt lgkmcnt(1)
	;;#ASMSTART
	v_dot2_f32_f16 v4, v10, v38, v4
	;;#ASMEND
	;;#ASMSTART
	v_dot2_f32_f16 v4, v11, v39, v4
	;;#ASMEND
	;;#ASMSTART
	v_dot2_f32_f16 v4, v12, v40, v4
	;;#ASMEND
	;;#ASMSTART
	v_dot2_f32_f16 v4, v13, v41, v4
	;;#ASMEND
	s_waitcnt lgkmcnt(0)
	;;#ASMSTART
	v_dot2_f32_f16 v3, v10, v42, v3
	;;#ASMEND
	;;#ASMSTART
	v_dot2_f32_f16 v3, v11, v43, v3
	;;#ASMEND
	;;#ASMSTART
	v_dot2_f32_f16 v3, v12, v44, v3
	;;#ASMEND
	;;#ASMSTART
	v_dot2_f32_f16 v3, v13, v45, v3
	;;#ASMEND
	ds_read_b128 v[10:13], v9 offset:16
	ds_read_b128 v[38:41], v19 offset:8976
	ds_read_b128 v[42:45], v19 offset:9488
	s_waitcnt lgkmcnt(1)
	;;#ASMSTART
	v_dot2_f32_f16 v4, v10, v38, v4
	;;#ASMEND
	;;#ASMSTART
	v_dot2_f32_f16 v4, v11, v39, v4
	;;#ASMEND
	;;#ASMSTART
	v_dot2_f32_f16 v4, v12, v40, v4
	;;#ASMEND
	;;#ASMSTART
	v_dot2_f32_f16 v4, v13, v41, v4
	;;#ASMEND
	s_waitcnt lgkmcnt(0)
	;;#ASMSTART
	v_dot2_f32_f16 v3, v10, v42, v3
	;;#ASMEND
	;;#ASMSTART
	v_dot2_f32_f16 v3, v11, v43, v3
	;;#ASMEND
	;;#ASMSTART
	v_dot2_f32_f16 v3, v12, v44, v3
	;;#ASMEND
	;;#ASMSTART
	v_dot2_f32_f16 v3, v13, v45, v3
	;;#ASMEND
	ds_read_b128 v[10:13], v9 offset:32
	ds_read_b128 v[38:41], v19 offset:8992
	ds_read_b128 v[42:45], v19 offset:9504
	s_waitcnt lgkmcnt(1)
	;;#ASMSTART
	v_dot2_f32_f16 v4, v10, v38, v4
	;;#ASMEND
	;;#ASMSTART
	v_dot2_f32_f16 v4, v11, v39, v4
	;;#ASMEND
	;;#ASMSTART
	v_dot2_f32_f16 v4, v12, v40, v4
	;;#ASMEND
	;;#ASMSTART
	v_dot2_f32_f16 v4, v13, v41, v4
	;;#ASMEND
	s_waitcnt lgkmcnt(0)
	;;#ASMSTART
	v_dot2_f32_f16 v3, v10, v42, v3
	;;#ASMEND
	;;#ASMSTART
	v_dot2_f32_f16 v3, v11, v43, v3
	;;#ASMEND
	;;#ASMSTART
	v_dot2_f32_f16 v3, v12, v44, v3
	;;#ASMEND
	;;#ASMSTART
	v_dot2_f32_f16 v3, v13, v45, v3
	;;#ASMEND
	ds_read_b128 v[10:13], v9 offset:48
	ds_read_b128 v[38:41], v19 offset:9008
	ds_read_b128 v[42:45], v19 offset:9520
	s_waitcnt lgkmcnt(1)
	;;#ASMSTART
	v_dot2_f32_f16 v4, v10, v38, v4
	;;#ASMEND
	;;#ASMSTART
	v_dot2_f32_f16 v4, v11, v39, v4
	;;#ASMEND
	;;#ASMSTART
	v_dot2_f32_f16 v4, v12, v40, v4
	;;#ASMEND
	;;#ASMSTART
	v_dot2_f32_f16 v4, v13, v41, v4
	;;#ASMEND
	s_waitcnt lgkmcnt(0)
	;;#ASMSTART
	v_dot2_f32_f16 v3, v10, v42, v3
	;;#ASMEND
	;;#ASMSTART
	v_dot2_f32_f16 v3, v11, v43, v3
	;;#ASMEND
	;;#ASMSTART
	v_dot2_f32_f16 v3, v12, v44, v3
	;;#ASMEND
	;;#ASMSTART
	v_dot2_f32_f16 v3, v13, v45, v3
	;;#ASMEND
	ds_read_b128 v[10:13], v9 offset:64
	ds_read_b128 v[38:41], v19 offset:9024
	ds_read_b128 v[42:45], v19 offset:9536
	s_waitcnt lgkmcnt(1)
	;;#ASMSTART
	v_dot2_f32_f16 v4, v10, v38, v4
	;;#ASMEND
	;;#ASMSTART
	v_dot2_f32_f16 v4, v11, v39, v4
	;;#ASMEND
	;;#ASMSTART
	v_dot2_f32_f16 v4, v12, v40, v4
	;;#ASMEND
	;;#ASMSTART
	v_dot2_f32_f16 v4, v13, v41, v4
	;;#ASMEND
	s_waitcnt lgkmcnt(0)
	;;#ASMSTART
	v_dot2_f32_f16 v3, v10, v42, v3
	;;#ASMEND
	;;#ASMSTART
	v_dot2_f32_f16 v3, v11, v43, v3
	;;#ASMEND
	;;#ASMSTART
	v_dot2_f32_f16 v3, v12, v44, v3
	;;#ASMEND
	;;#ASMSTART
	v_dot2_f32_f16 v3, v13, v45, v3
	;;#ASMEND
	ds_read_b128 v[10:13], v9 offset:80
	ds_read_b128 v[38:41], v19 offset:9040
	ds_read_b128 v[42:45], v19 offset:9552
	s_waitcnt lgkmcnt(1)
	;;#ASMSTART
	v_dot2_f32_f16 v4, v10, v38, v4
	;;#ASMEND
	;;#ASMSTART
	v_dot2_f32_f16 v4, v11, v39, v4
	;;#ASMEND
	;;#ASMSTART
	v_dot2_f32_f16 v4, v12, v40, v4
	;;#ASMEND
	;;#ASMSTART
	v_dot2_f32_f16 v4, v13, v41, v4
	;;#ASMEND
	s_waitcnt lgkmcnt(0)
	;;#ASMSTART
	v_dot2_f32_f16 v3, v10, v42, v3
	;;#ASMEND
	;;#ASMSTART
	v_dot2_f32_f16 v3, v11, v43, v3
	;;#ASMEND
	;;#ASMSTART
	v_dot2_f32_f16 v3, v12, v44, v3
	;;#ASMEND
	;;#ASMSTART
	v_dot2_f32_f16 v3, v13, v45, v3
	;;#ASMEND
	ds_read_b128 v[10:13], v9 offset:96
	ds_read_b128 v[38:41], v19 offset:9056
	ds_read_b128 v[42:45], v19 offset:9568
	s_waitcnt lgkmcnt(1)
	;;#ASMSTART
	v_dot2_f32_f16 v4, v10, v38, v4
	;;#ASMEND
	;;#ASMSTART
	v_dot2_f32_f16 v4, v11, v39, v4
	;;#ASMEND
	;;#ASMSTART
	v_dot2_f32_f16 v4, v12, v40, v4
	;;#ASMEND
	;;#ASMSTART
	v_dot2_f32_f16 v4, v13, v41, v4
	;;#ASMEND
	s_waitcnt lgkmcnt(0)
	;;#ASMSTART
	v_dot2_f32_f16 v3, v10, v42, v3
	;;#ASMEND
	;;#ASMSTART
	v_dot2_f32_f16 v3, v11, v43, v3
	;;#ASMEND
	;;#ASMSTART
	v_dot2_f32_f16 v3, v12, v44, v3
	;;#ASMEND
	;;#ASMSTART
	v_dot2_f32_f16 v3, v13, v45, v3
	;;#ASMEND
	ds_read_b128 v[10:13], v9 offset:112
	ds_read_b128 v[38:41], v19 offset:9072
	ds_read_b128 v[42:45], v19 offset:9584
	s_waitcnt lgkmcnt(1)
	;;#ASMSTART
	v_dot2_f32_f16 v4, v10, v38, v4
	;;#ASMEND
	;;#ASMSTART
	v_dot2_f32_f16 v4, v11, v39, v4
	;;#ASMEND
	;;#ASMSTART
	v_dot2_f32_f16 v4, v12, v40, v4
	;;#ASMEND
	;;#ASMSTART
	v_dot2_f32_f16 v4, v13, v41, v4
	;;#ASMEND
	s_waitcnt lgkmcnt(0)
	;;#ASMSTART
	v_dot2_f32_f16 v3, v10, v42, v3
	;;#ASMEND
	;;#ASMSTART
	v_dot2_f32_f16 v3, v11, v43, v3
	;;#ASMEND
	;;#ASMSTART
	v_dot2_f32_f16 v3, v12, v44, v3
	;;#ASMEND
	;;#ASMSTART
	v_dot2_f32_f16 v3, v13, v45, v3
	;;#ASMEND
	ds_read_b128 v[10:13], v9 offset:128
	ds_read_b128 v[38:41], v19 offset:9088
	ds_read_b128 v[42:45], v19 offset:9600
	s_waitcnt lgkmcnt(1)
	;;#ASMSTART
	v_dot2_f32_f16 v4, v10, v38, v4
	;;#ASMEND
	;;#ASMSTART
	v_dot2_f32_f16 v4, v11, v39, v4
	;;#ASMEND
	;;#ASMSTART
	v_dot2_f32_f16 v4, v12, v40, v4
	;;#ASMEND
	;;#ASMSTART
	v_dot2_f32_f16 v4, v13, v41, v4
	;;#ASMEND
	s_waitcnt lgkmcnt(0)
	;;#ASMSTART
	v_dot2_f32_f16 v3, v10, v42, v3
	;;#ASMEND
	;;#ASMSTART
	v_dot2_f32_f16 v3, v11, v43, v3
	;;#ASMEND
	;;#ASMSTART
	v_dot2_f32_f16 v3, v12, v44, v3
	;;#ASMEND
	;;#ASMSTART
	v_dot2_f32_f16 v3, v13, v45, v3
	;;#ASMEND
	ds_read_b128 v[10:13], v9 offset:144
	ds_read_b128 v[38:41], v19 offset:9104
	ds_read_b128 v[42:45], v19 offset:9616
	s_waitcnt lgkmcnt(1)
	;;#ASMSTART
	v_dot2_f32_f16 v4, v10, v38, v4
	;;#ASMEND
	;;#ASMSTART
	v_dot2_f32_f16 v4, v11, v39, v4
	;;#ASMEND
	;;#ASMSTART
	v_dot2_f32_f16 v4, v12, v40, v4
	;;#ASMEND
	;;#ASMSTART
	v_dot2_f32_f16 v4, v13, v41, v4
	;;#ASMEND
	s_waitcnt lgkmcnt(0)
	;;#ASMSTART
	v_dot2_f32_f16 v3, v10, v42, v3
	;;#ASMEND
	;;#ASMSTART
	v_dot2_f32_f16 v3, v11, v43, v3
	;;#ASMEND
	;;#ASMSTART
	v_dot2_f32_f16 v3, v12, v44, v3
	;;#ASMEND
	;;#ASMSTART
	v_dot2_f32_f16 v3, v13, v45, v3
	;;#ASMEND
	ds_read_b128 v[10:13], v9 offset:160
	ds_read_b128 v[38:41], v19 offset:9120
	ds_read_b128 v[42:45], v19 offset:9632
	s_waitcnt lgkmcnt(1)
	;;#ASMSTART
	v_dot2_f32_f16 v4, v10, v38, v4
	;;#ASMEND
	;;#ASMSTART
	v_dot2_f32_f16 v4, v11, v39, v4
	;;#ASMEND
	;;#ASMSTART
	v_dot2_f32_f16 v4, v12, v40, v4
	;;#ASMEND
	;;#ASMSTART
	v_dot2_f32_f16 v4, v13, v41, v4
	;;#ASMEND
	s_waitcnt lgkmcnt(0)
	;;#ASMSTART
	v_dot2_f32_f16 v3, v10, v42, v3
	;;#ASMEND
	;;#ASMSTART
	v_dot2_f32_f16 v3, v11, v43, v3
	;;#ASMEND
	;;#ASMSTART
	v_dot2_f32_f16 v3, v12, v44, v3
	;;#ASMEND
	;;#ASMSTART
	v_dot2_f32_f16 v3, v13, v45, v3
	;;#ASMEND
	ds_read_b128 v[10:13], v9 offset:176
	ds_read_b128 v[38:41], v19 offset:9136
	ds_read_b128 v[42:45], v19 offset:9648
	s_waitcnt lgkmcnt(1)
	;;#ASMSTART
	v_dot2_f32_f16 v4, v10, v38, v4
	;;#ASMEND
	;;#ASMSTART
	v_dot2_f32_f16 v4, v11, v39, v4
	;;#ASMEND
	;;#ASMSTART
	v_dot2_f32_f16 v4, v12, v40, v4
	;;#ASMEND
	;;#ASMSTART
	v_dot2_f32_f16 v4, v13, v41, v4
	;;#ASMEND
	s_waitcnt lgkmcnt(0)
	;;#ASMSTART
	v_dot2_f32_f16 v3, v10, v42, v3
	;;#ASMEND
	;;#ASMSTART
	v_dot2_f32_f16 v3, v11, v43, v3
	;;#ASMEND
	;;#ASMSTART
	v_dot2_f32_f16 v3, v12, v44, v3
	;;#ASMEND
	;;#ASMSTART
	v_dot2_f32_f16 v3, v13, v45, v3
	;;#ASMEND
	ds_read_b128 v[10:13], v9 offset:192
	ds_read_b128 v[38:41], v19 offset:9152
	ds_read_b128 v[42:45], v19 offset:9664
	s_waitcnt lgkmcnt(1)
	;;#ASMSTART
	v_dot2_f32_f16 v4, v10, v38, v4
	;;#ASMEND
	;;#ASMSTART
	v_dot2_f32_f16 v4, v11, v39, v4
	;;#ASMEND
	;;#ASMSTART
	v_dot2_f32_f16 v4, v12, v40, v4
	;;#ASMEND
	;;#ASMSTART
	v_dot2_f32_f16 v4, v13, v41, v4
	;;#ASMEND
	s_waitcnt lgkmcnt(0)
	;;#ASMSTART
	v_dot2_f32_f16 v3, v10, v42, v3
	;;#ASMEND
	;;#ASMSTART
	v_dot2_f32_f16 v3, v11, v43, v3
	;;#ASMEND
	;;#ASMSTART
	v_dot2_f32_f16 v3, v12, v44, v3
	;;#ASMEND
	;;#ASMSTART
	v_dot2_f32_f16 v3, v13, v45, v3
	;;#ASMEND
	ds_read_b128 v[10:13], v9 offset:208
	ds_read_b128 v[38:41], v19 offset:9168
	ds_read_b128 v[42:45], v19 offset:9680
	s_waitcnt lgkmcnt(1)
	;;#ASMSTART
	v_dot2_f32_f16 v4, v10, v38, v4
	;;#ASMEND
	;;#ASMSTART
	v_dot2_f32_f16 v4, v11, v39, v4
	;;#ASMEND
	;;#ASMSTART
	v_dot2_f32_f16 v4, v12, v40, v4
	;;#ASMEND
	;;#ASMSTART
	v_dot2_f32_f16 v4, v13, v41, v4
	;;#ASMEND
	s_waitcnt lgkmcnt(0)
	;;#ASMSTART
	v_dot2_f32_f16 v3, v10, v42, v3
	;;#ASMEND
	;;#ASMSTART
	v_dot2_f32_f16 v3, v11, v43, v3
	;;#ASMEND
	;;#ASMSTART
	v_dot2_f32_f16 v3, v12, v44, v3
	;;#ASMEND
	;;#ASMSTART
	v_dot2_f32_f16 v3, v13, v45, v3
	;;#ASMEND
	ds_read_b128 v[10:13], v9 offset:224
	ds_read_b128 v[38:41], v19 offset:9184
	ds_read_b128 v[42:45], v19 offset:9696
	s_waitcnt lgkmcnt(1)
	;;#ASMSTART
	v_dot2_f32_f16 v4, v10, v38, v4
	;;#ASMEND
	;;#ASMSTART
	v_dot2_f32_f16 v4, v11, v39, v4
	;;#ASMEND
	;;#ASMSTART
	v_dot2_f32_f16 v4, v12, v40, v4
	;;#ASMEND
	;;#ASMSTART
	v_dot2_f32_f16 v4, v13, v41, v4
	;;#ASMEND
	s_waitcnt lgkmcnt(0)
	;;#ASMSTART
	v_dot2_f32_f16 v3, v10, v42, v3
	;;#ASMEND
	;;#ASMSTART
	v_dot2_f32_f16 v3, v11, v43, v3
	;;#ASMEND
	;;#ASMSTART
	v_dot2_f32_f16 v3, v12, v44, v3
	;;#ASMEND
	;;#ASMSTART
	v_dot2_f32_f16 v3, v13, v45, v3
	;;#ASMEND
	ds_read_b128 v[9:12], v9 offset:240
	ds_read_b128 v[13:16], v19 offset:9200
	v_cndmask_b32_e64 v38, 0, 1, s[10:11]
	v_cmp_ne_u32_e64 s[10:11], 1, v38
	ds_read_b128 v[38:41], v19 offset:9712
	s_waitcnt lgkmcnt(1)
	;;#ASMSTART
	v_dot2_f32_f16 v4, v9, v13, v4
	;;#ASMEND
	;;#ASMSTART
	v_dot2_f32_f16 v4, v10, v14, v4
	;;#ASMEND
	;; [unrolled: 3-line block ×4, first 2 shown]
	s_waitcnt lgkmcnt(0)
	;;#ASMSTART
	v_dot2_f32_f16 v3, v9, v38, v3
	;;#ASMEND
	;;#ASMSTART
	v_dot2_f32_f16 v3, v10, v39, v3
	;;#ASMEND
	v_add_u32_e32 v2, s16, v0
	;;#ASMSTART
	v_dot2_f32_f16 v3, v11, v40, v3
	;;#ASMEND
	v_mov_b32_e32 v10, v7
	;;#ASMSTART
	v_dot2_f32_f16 v3, v12, v41, v3
	;;#ASMEND
	s_and_saveexec_b64 s[12:13], s[6:7]
	s_cbranch_execz .LBB46_23
; %bb.20:
	s_and_b64 vcc, exec, s[10:11]
	s_cbranch_vccnz .LBB46_22
; %bb.21:
	v_mad_u64_u32 v[9:10], s[22:23], v18, s19, v[2:3]
	v_mov_b32_e32 v5, s41
	v_ashrrev_i32_e32 v10, 31, v9
	v_lshlrev_b64 v[9:10], 1, v[9:10]
	v_add_co_u32_e32 v9, vcc, s40, v9
	v_addc_co_u32_e32 v10, vcc, v5, v10, vcc
	global_load_ushort v5, v[9:10], off
	s_waitcnt vmcnt(0)
	v_cvt_f32_f16_e32 v5, v5
	v_mul_f32_e32 v5, v17, v5
.LBB46_22:
	v_add_f32_e32 v4, v4, v5
	v_add_f32_e32 v5, 0x40051340, v4
	v_max_f32_e32 v9, v7, v7
	v_max_f32_e32 v10, v9, v5
.LBB46_23:
	s_or_b64 exec, exec, s[12:13]
	v_mbcnt_hi_u32_b32 v40, -1, v29
	v_and_b32_e32 v5, 0x60, v40
	v_add_u32_e32 v41, 32, v5
	v_xor_b32_e32 v43, 16, v40
	v_cmp_lt_i32_e32 vcc, v43, v41
	v_cndmask_b32_e32 v5, v40, v43, vcc
	v_lshlrev_b32_e32 v5, 2, v5
	ds_bpermute_b32 v11, v5, v10
	v_xor_b32_e32 v42, 8, v40
	v_cmp_lt_i32_e32 vcc, v42, v41
	v_cndmask_b32_e32 v9, v40, v42, vcc
	v_max_f32_e32 v10, v10, v10
	s_waitcnt lgkmcnt(0)
	v_max_f32_e32 v11, v11, v11
	v_lshlrev_b32_e32 v9, 2, v9
	v_max_f32_e32 v11, v10, v11
	ds_bpermute_b32 v12, v9, v11
	v_xor_b32_e32 v44, 4, v40
	v_cmp_lt_i32_e32 vcc, v44, v41
	v_cndmask_b32_e32 v10, v40, v44, vcc
	v_lshlrev_b32_e32 v10, 2, v10
	s_waitcnt lgkmcnt(0)
	v_max_f32_e32 v12, v12, v12
	v_max_f32_e32 v12, v11, v12
	ds_bpermute_b32 v13, v10, v12
	v_xor_b32_e32 v45, 2, v40
	v_cmp_lt_i32_e32 vcc, v45, v41
	v_cndmask_b32_e32 v11, v40, v45, vcc
	v_lshlrev_b32_e32 v11, 2, v11
	s_waitcnt lgkmcnt(0)
	v_max_f32_e32 v13, v13, v13
	;; [unrolled: 8-line block ×3, first 2 shown]
	v_max_f32_e32 v13, v13, v14
	ds_bpermute_b32 v14, v12, v13
	s_waitcnt lgkmcnt(0)
	v_max_f32_e32 v14, v14, v14
	v_max_f32_e32 v14, v13, v14
	v_mov_b32_e32 v13, v8
	s_and_saveexec_b64 s[12:13], s[6:7]
	s_cbranch_execz .LBB46_28
; %bb.24:
	s_and_b64 vcc, exec, s[10:11]
	s_cbranch_vccnz .LBB46_26
; %bb.25:
	v_or_b32_e32 v13, 1, v24
	v_mul_hi_u32 v15, s28, v13
	v_add_u32_e32 v15, v13, v15
	v_lshrrev_b32_e32 v15, s29, v15
	v_mul_lo_u32 v15, v15, s30
	v_sub_u32_e32 v13, v13, v15
	v_mad_u64_u32 v[15:16], s[6:7], v13, s19, v[2:3]
	v_mov_b32_e32 v2, s41
	v_ashrrev_i32_e32 v16, 31, v15
	v_lshlrev_b64 v[15:16], 1, v[15:16]
	v_add_co_u32_e32 v15, vcc, s40, v15
	v_addc_co_u32_e32 v16, vcc, v2, v16, vcc
	global_load_ushort v2, v[15:16], off
	s_waitcnt vmcnt(0)
	v_cvt_f32_f16_e32 v2, v2
	v_mul_f32_e32 v2, v17, v2
	s_branch .LBB46_27
.LBB46_26:
	v_mov_b32_e32 v2, 0
.LBB46_27:
	v_add_f32_e32 v3, v3, v2
	v_add_f32_e32 v2, 0x40051340, v3
	v_max_f32_e32 v13, v8, v8
	v_max_f32_e32 v13, v13, v2
.LBB46_28:
	s_or_b64 exec, exec, s[12:13]
	ds_bpermute_b32 v2, v5, v13
	v_max_f32_e32 v5, v13, v13
	s_mov_b32 s10, 0x3fb8aa3b
	v_sub_f32_e32 v4, v4, v14
	s_mov_b32 s11, 0xc2ce8ed0
	s_waitcnt lgkmcnt(0)
	v_max_f32_e32 v2, v2, v2
	v_max_f32_e32 v2, v5, v2
	ds_bpermute_b32 v5, v9, v2
	s_mov_b32 s13, 0x42b17218
	v_cmp_gt_u32_e32 vcc, s17, v0
	v_lshlrev_b32_e32 v38, 7, v1
	s_waitcnt lgkmcnt(0)
	v_max_f32_e32 v5, v5, v5
	v_max_f32_e32 v2, v2, v5
	ds_bpermute_b32 v5, v10, v2
	s_waitcnt lgkmcnt(0)
	s_barrier
	s_mov_b32 s12, 0x10001
	v_max_f32_e32 v5, v5, v5
	v_max_f32_e32 v2, v2, v5
	ds_bpermute_b32 v5, v11, v2
	s_waitcnt lgkmcnt(0)
	v_max_f32_e32 v5, v5, v5
	v_max_f32_e32 v2, v2, v5
	ds_bpermute_b32 v5, v12, v2
	s_waitcnt lgkmcnt(0)
	v_max_f32_e32 v5, v5, v5
	v_max_f32_e32 v15, v2, v5
	v_sub_f32_e32 v2, v7, v14
	v_mul_f32_e32 v5, 0x3fb8aa3b, v2
	v_fma_f32 v7, v2, s10, -v5
	v_rndne_f32_e32 v9, v5
	v_fmac_f32_e32 v7, 0x32a5705f, v2
	v_sub_f32_e32 v5, v5, v9
	v_add_f32_e32 v5, v5, v7
	v_exp_f32_e32 v5, v5
	v_cvt_i32_f32_e32 v7, v9
	v_cmp_ngt_f32_e64 s[6:7], s11, v2
	v_sub_f32_e32 v3, v3, v15
	v_ldexp_f32 v5, v5, v7
	v_mul_f32_e32 v7, 0x3fb8aa3b, v4
	v_fma_f32 v9, v4, s10, -v7
	v_rndne_f32_e32 v10, v7
	v_fmac_f32_e32 v9, 0x32a5705f, v4
	v_sub_f32_e32 v7, v7, v10
	v_add_f32_e32 v7, v7, v9
	v_exp_f32_e32 v7, v7
	v_cvt_i32_f32_e32 v9, v10
	v_cndmask_b32_e64 v5, 0, v5, s[6:7]
	v_cmp_nlt_f32_e64 s[6:7], s13, v2
	v_mov_b32_e32 v2, 0x7f800000
	v_cndmask_b32_e64 v5, v2, v5, s[6:7]
	v_ldexp_f32 v7, v7, v9
	v_cmp_ngt_f32_e64 s[6:7], s11, v4
	v_cndmask_b32_e64 v7, 0, v7, s[6:7]
	v_cmp_nlt_f32_e64 s[6:7], s13, v4
	v_cndmask_b32_e64 v4, v2, v7, s[6:7]
	v_cndmask_b32_e32 v29, 0, v4, vcc
	v_cvt_f16_f32_e32 v4, v29
	v_fmac_f32_e32 v29, v37, v5
	v_cvt_f16_f32_e32 v5, v5
	v_mul_u32_u24_e32 v49, 0x10001, v5
	v_sub_f32_e32 v5, v8, v15
	v_mul_f32_e32 v7, 0x3fb8aa3b, v5
	v_fma_f32 v8, v5, s10, -v7
	v_rndne_f32_e32 v9, v7
	v_fmac_f32_e32 v8, 0x32a5705f, v5
	v_sub_f32_e32 v7, v7, v9
	v_add_f32_e32 v7, v7, v8
	v_exp_f32_e32 v7, v7
	v_cvt_i32_f32_e32 v8, v9
	v_cmp_ngt_f32_e64 s[6:7], s11, v5
	v_pk_mul_f16 v48, v35, v49
	v_pk_mul_f16 v47, v33, v49
	v_ldexp_f32 v7, v7, v8
	v_cndmask_b32_e64 v7, 0, v7, s[6:7]
	v_cmp_nlt_f32_e64 s[6:7], s13, v5
	v_cndmask_b32_e64 v5, v2, v7, s[6:7]
	v_mul_f32_e32 v7, 0x3fb8aa3b, v3
	v_fma_f32 v8, v3, s10, -v7
	v_rndne_f32_e32 v9, v7
	v_fmac_f32_e32 v8, 0x32a5705f, v3
	v_sub_f32_e32 v7, v7, v9
	v_add_f32_e32 v7, v7, v8
	v_exp_f32_e32 v7, v7
	v_cvt_i32_f32_e32 v8, v9
	v_cmp_ngt_f32_e64 s[6:7], s11, v3
	s_mov_b64 s[10:11], src_private_base
	v_pk_mul_f16 v39, v34, v49
	v_ldexp_f32 v7, v7, v8
	v_cndmask_b32_e64 v7, 0, v7, s[6:7]
	v_cmp_nlt_f32_e64 s[6:7], s13, v3
	v_cvt_f16_f32_e32 v3, v5
	v_cndmask_b32_e64 v2, v2, v7, s[6:7]
	v_cndmask_b32_e32 v37, 0, v2, vcc
	v_cvt_f16_f32_e32 v2, v37
	s_movk_i32 s6, 0x4200
	v_fmac_f32_e32 v37, v36, v5
	v_mul_u32_u24_e32 v36, 0x10001, v3
	v_add3_u32 v3, v38, s6, v21
	s_mul_hi_i32 s7, s16, s8
	s_mul_i32 s6, s16, s8
	v_ashrrev_i32_e32 v7, 31, v6
	s_lshl_b64 s[6:7], s[6:7], 2
	s_add_u32 s10, s14, s6
	v_lshlrev_b64 v[18:19], 2, v[6:7]
	v_pack_b32_f16 v2, v4, v2
	s_addc_u32 s13, s15, s7
	ds_write_b32 v3, v2
	v_add_co_u32_e64 v2, s[6:7], s10, v18
	v_mov_b32_e32 v3, s13
	v_addc_co_u32_e64 v3, s[6:7], v3, v19, s[6:7]
	v_add_co_u32_e64 v2, s[6:7], v2, v26
	v_mov_b32_e32 v35, 0
	v_cmp_gt_i32_e32 vcc, s17, v1
	v_addc_co_u32_e64 v3, s[6:7], 0, v3, s[6:7]
	v_mov_b32_e32 v33, s11
	v_mov_b32_e32 v34, 0
	buffer_store_dword v35, off, s[0:3], 0
	buffer_store_dword v35, off, s[0:3], 0 offset:4
	buffer_store_dword v35, off, s[0:3], 0 offset:8
	buffer_store_dword v35, off, s[0:3], 0 offset:12
	v_cndmask_b32_e32 v3, v33, v3, vcc
	v_cndmask_b32_e32 v2, v34, v2, vcc
	flat_load_dwordx4 v[2:5], v[2:3]
	v_lshl_add_u32 v8, s8, 3, v6
	v_ashrrev_i32_e32 v9, 31, v8
	v_lshlrev_b64 v[16:17], 2, v[8:9]
	v_pk_mul_f16 v60, v30, v36
	v_lshl_add_u32 v30, v1, 9, v26
	v_pk_mul_f16 v58, v32, v36
	v_add_u32_e32 v32, 8, v1
	v_cmp_gt_i32_e32 vcc, s17, v32
	v_pk_mul_f16 v59, v31, v36
	v_lshl_add_u32 v31, v32, 9, v26
	s_waitcnt vmcnt(0) lgkmcnt(0)
	ds_write_b128 v30, v[2:5]
	v_add_co_u32_e64 v2, s[6:7], s10, v16
	v_mov_b32_e32 v3, s13
	v_addc_co_u32_e64 v3, s[6:7], v3, v17, s[6:7]
	v_add_co_u32_e64 v2, s[6:7], v2, v26
	v_addc_co_u32_e64 v3, s[6:7], 0, v3, s[6:7]
	buffer_store_dword v35, off, s[0:3], 0
	buffer_store_dword v35, off, s[0:3], 0 offset:4
	buffer_store_dword v35, off, s[0:3], 0 offset:8
	;; [unrolled: 1-line block ×3, first 2 shown]
	v_cndmask_b32_e32 v3, v33, v3, vcc
	v_cndmask_b32_e32 v2, v34, v2, vcc
	flat_load_dwordx4 v[2:5], v[2:3]
	s_or_b32 s6, s16, 16
	s_mul_hi_i32 s7, s6, s8
	s_mul_i32 s6, s6, s8
	s_lshl_b64 s[6:7], s[6:7], 2
	s_add_u32 s8, s14, s6
	s_addc_u32 s10, s15, s7
	s_add_i32 s17, s17, -16
	v_cmp_gt_i32_e32 vcc, s17, v1
	v_add_co_u32_e64 v1, s[6:7], s8, v18
	s_waitcnt vmcnt(0) lgkmcnt(0)
	ds_write_b128 v31, v[2:5]
	s_waitcnt lgkmcnt(0)
	s_barrier
	ds_read2_b64 v[50:53], v25 offset1:32
	ds_read_b128 v[54:57], v38 offset:16896
	ds_read_b128 v[10:13], v38 offset:16912
	;; [unrolled: 1-line block ×4, first 2 shown]
	s_waitcnt lgkmcnt(3)
	v_mul_u32_u24_sdwa v61, v54, s12 dst_sel:DWORD dst_unused:UNUSED_PAD src0_sel:WORD_0 src1_sel:DWORD
	v_mul_u32_u24_sdwa v54, v54, s12 dst_sel:DWORD dst_unused:UNUSED_PAD src0_sel:WORD_1 src1_sel:DWORD
	v_pk_mul_f16 v62, v50, v61
	v_pk_fma_f16 v28, v28, v49, v62
	v_pk_mul_f16 v49, v50, v54
	v_pk_fma_f16 v27, v27, v36, v49
	v_pk_fma_f16 v36, v51, v61, v48
	v_pk_fma_f16 v51, v51, v54, v58
	v_pk_fma_f16 v58, v52, v61, v47
	ds_read2_b64 v[47:50], v25 offset0:64 offset1:96
	v_pk_fma_f16 v52, v52, v54, v59
	v_pk_fma_f16 v39, v53, v61, v39
	v_pk_fma_f16 v53, v53, v54, v60
	v_mul_u32_u24_sdwa v54, v55, s12 dst_sel:DWORD dst_unused:UNUSED_PAD src0_sel:WORD_0 src1_sel:DWORD
	v_mul_u32_u24_sdwa v55, v55, s12 dst_sel:DWORD dst_unused:UNUSED_PAD src0_sel:WORD_1 src1_sel:DWORD
	s_waitcnt lgkmcnt(0)
	v_pk_fma_f16 v28, v47, v54, v28
	v_pk_fma_f16 v27, v47, v55, v27
	;; [unrolled: 1-line block ×8, first 2 shown]
	ds_read2_b64 v[47:50], v25 offset0:128 offset1:160
	v_mul_u32_u24_sdwa v54, v56, s12 dst_sel:DWORD dst_unused:UNUSED_PAD src0_sel:WORD_0 src1_sel:DWORD
	v_mul_u32_u24_sdwa v55, v56, s12 dst_sel:DWORD dst_unused:UNUSED_PAD src0_sel:WORD_1 src1_sel:DWORD
	s_waitcnt lgkmcnt(0)
	v_pk_fma_f16 v28, v47, v54, v28
	v_pk_fma_f16 v27, v47, v55, v27
	;; [unrolled: 1-line block ×8, first 2 shown]
	ds_read2_b64 v[47:50], v25 offset0:192 offset1:224
	v_mul_u32_u24_sdwa v55, v57, s12 dst_sel:DWORD dst_unused:UNUSED_PAD src0_sel:WORD_1 src1_sel:DWORD
	v_mul_u32_u24_sdwa v54, v57, s12 dst_sel:DWORD dst_unused:UNUSED_PAD src0_sel:WORD_0 src1_sel:DWORD
	s_waitcnt lgkmcnt(0)
	v_pk_fma_f16 v57, v47, v55, v27
	v_add_u32_e32 v27, 0x800, v25
	v_pk_fma_f16 v28, v47, v54, v28
	v_pk_fma_f16 v36, v48, v54, v36
	;; [unrolled: 1-line block ×7, first 2 shown]
	ds_read2_b64 v[47:50], v27 offset1:32
	v_mul_u32_u24_sdwa v54, v10, s12 dst_sel:DWORD dst_unused:UNUSED_PAD src0_sel:WORD_0 src1_sel:DWORD
	v_mul_u32_u24_sdwa v10, v10, s12 dst_sel:DWORD dst_unused:UNUSED_PAD src0_sel:WORD_1 src1_sel:DWORD
	s_waitcnt lgkmcnt(0)
	v_pk_fma_f16 v28, v47, v54, v28
	v_pk_fma_f16 v55, v47, v10, v57
	v_pk_fma_f16 v36, v48, v54, v36
	v_pk_fma_f16 v51, v48, v10, v51
	v_pk_fma_f16 v56, v49, v54, v56
	v_pk_fma_f16 v52, v49, v10, v52
	v_pk_fma_f16 v39, v50, v54, v39
	v_pk_fma_f16 v10, v50, v10, v53
	ds_read2_b64 v[47:50], v27 offset0:64 offset1:96
	v_mul_u32_u24_sdwa v53, v11, s12 dst_sel:DWORD dst_unused:UNUSED_PAD src0_sel:WORD_0 src1_sel:DWORD
	v_mul_u32_u24_sdwa v11, v11, s12 dst_sel:DWORD dst_unused:UNUSED_PAD src0_sel:WORD_1 src1_sel:DWORD
	s_waitcnt lgkmcnt(0)
	v_pk_fma_f16 v28, v47, v53, v28
	v_pk_fma_f16 v54, v47, v11, v55
	v_pk_fma_f16 v36, v48, v53, v36
	v_pk_fma_f16 v51, v48, v11, v51
	v_pk_fma_f16 v55, v49, v53, v56
	v_pk_fma_f16 v52, v49, v11, v52
	v_pk_fma_f16 v39, v50, v53, v39
	v_pk_fma_f16 v10, v50, v11, v10
	ds_read2_b64 v[47:50], v27 offset0:128 offset1:160
	;; [unrolled: 12-line block ×3, first 2 shown]
	v_mul_u32_u24_sdwa v12, v13, s12 dst_sel:DWORD dst_unused:UNUSED_PAD src0_sel:WORD_0 src1_sel:DWORD
	v_mul_u32_u24_sdwa v13, v13, s12 dst_sel:DWORD dst_unused:UNUSED_PAD src0_sel:WORD_1 src1_sel:DWORD
	s_waitcnt lgkmcnt(0)
	v_pk_fma_f16 v28, v47, v12, v28
	v_pk_fma_f16 v39, v47, v13, v53
	;; [unrolled: 1-line block ×6, first 2 shown]
	v_add_u32_e32 v10, 0x1000, v25
	v_pk_fma_f16 v51, v48, v13, v51
	v_pk_fma_f16 v52, v49, v13, v52
	ds_read2_b64 v[47:50], v10 offset1:32
	v_mul_u32_u24_sdwa v13, v6, s12 dst_sel:DWORD dst_unused:UNUSED_PAD src0_sel:WORD_0 src1_sel:DWORD
	v_mul_u32_u24_sdwa v6, v6, s12 dst_sel:DWORD dst_unused:UNUSED_PAD src0_sel:WORD_1 src1_sel:DWORD
	s_waitcnt lgkmcnt(0)
	v_pk_fma_f16 v28, v47, v13, v28
	v_pk_fma_f16 v39, v47, v6, v39
	v_pk_fma_f16 v36, v48, v13, v36
	v_pk_fma_f16 v51, v48, v6, v51
	v_pk_fma_f16 v53, v49, v13, v53
	v_pk_fma_f16 v52, v49, v6, v52
	v_pk_fma_f16 v11, v50, v13, v11
	v_pk_fma_f16 v6, v50, v6, v12
	ds_read2_b64 v[47:50], v10 offset0:64 offset1:96
	v_mul_u32_u24_sdwa v12, v7, s12 dst_sel:DWORD dst_unused:UNUSED_PAD src0_sel:WORD_0 src1_sel:DWORD
	v_mul_u32_u24_sdwa v7, v7, s12 dst_sel:DWORD dst_unused:UNUSED_PAD src0_sel:WORD_1 src1_sel:DWORD
	s_waitcnt lgkmcnt(0)
	v_pk_fma_f16 v13, v47, v12, v28
	v_pk_fma_f16 v28, v47, v7, v39
	v_pk_fma_f16 v36, v48, v12, v36
	v_pk_fma_f16 v39, v48, v7, v51
	v_pk_fma_f16 v51, v49, v12, v53
	v_pk_fma_f16 v52, v49, v7, v52
	v_pk_fma_f16 v11, v50, v12, v11
	v_pk_fma_f16 v6, v50, v7, v6
	ds_read2_b64 v[47:50], v10 offset0:128 offset1:160
	;; [unrolled: 12-line block ×3, first 2 shown]
	v_mul_u32_u24_sdwa v8, v9, s12 dst_sel:DWORD dst_unused:UNUSED_PAD src0_sel:WORD_0 src1_sel:DWORD
	v_mul_u32_u24_sdwa v9, v9, s12 dst_sel:DWORD dst_unused:UNUSED_PAD src0_sel:WORD_1 src1_sel:DWORD
	s_waitcnt lgkmcnt(0)
	v_pk_fma_f16 v11, v47, v8, v12
	v_pk_fma_f16 v12, v47, v9, v13
	;; [unrolled: 1-line block ×7, first 2 shown]
	v_add_u32_e32 v6, 0x1800, v25
	v_pk_fma_f16 v39, v49, v9, v51
	ds_read2_b64 v[47:50], v6 offset1:32
	v_mul_u32_u24_sdwa v9, v2, s12 dst_sel:DWORD dst_unused:UNUSED_PAD src0_sel:WORD_0 src1_sel:DWORD
	v_mul_u32_u24_sdwa v2, v2, s12 dst_sel:DWORD dst_unused:UNUSED_PAD src0_sel:WORD_1 src1_sel:DWORD
	s_waitcnt lgkmcnt(0)
	v_pk_fma_f16 v11, v47, v9, v11
	v_pk_fma_f16 v12, v47, v2, v12
	v_pk_fma_f16 v13, v48, v9, v13
	v_pk_fma_f16 v28, v48, v2, v28
	v_pk_fma_f16 v36, v49, v9, v36
	v_pk_fma_f16 v39, v49, v2, v39
	v_pk_fma_f16 v7, v50, v9, v7
	v_pk_fma_f16 v2, v50, v2, v8
	ds_read2_b64 v[47:50], v6 offset0:64 offset1:96
	v_mul_u32_u24_sdwa v8, v3, s12 dst_sel:DWORD dst_unused:UNUSED_PAD src0_sel:WORD_0 src1_sel:DWORD
	v_mul_u32_u24_sdwa v3, v3, s12 dst_sel:DWORD dst_unused:UNUSED_PAD src0_sel:WORD_1 src1_sel:DWORD
	s_waitcnt lgkmcnt(0)
	v_pk_fma_f16 v9, v47, v8, v11
	v_pk_fma_f16 v11, v47, v3, v12
	v_pk_fma_f16 v12, v48, v8, v13
	v_pk_fma_f16 v13, v48, v3, v28
	v_pk_fma_f16 v28, v49, v8, v36
	v_pk_fma_f16 v36, v49, v3, v39
	v_pk_fma_f16 v7, v50, v8, v7
	v_pk_fma_f16 v2, v50, v3, v2
	ds_read2_b64 v[47:50], v6 offset0:128 offset1:160
	;; [unrolled: 12-line block ×3, first 2 shown]
	v_mul_u32_u24_sdwa v4, v5, s12 dst_sel:DWORD dst_unused:UNUSED_PAD src0_sel:WORD_0 src1_sel:DWORD
	v_mul_u32_u24_sdwa v5, v5, s12 dst_sel:DWORD dst_unused:UNUSED_PAD src0_sel:WORD_1 src1_sel:DWORD
	s_waitcnt lgkmcnt(0)
	s_barrier
	v_pk_fma_f16 v7, v47, v4, v8
	v_pk_fma_f16 v8, v47, v5, v9
	;; [unrolled: 1-line block ×7, first 2 shown]
	v_mov_b32_e32 v2, s10
	v_addc_co_u32_e64 v2, s[6:7], v2, v19, s[6:7]
	v_add_co_u32_e64 v1, s[6:7], v1, v26
	v_addc_co_u32_e64 v2, s[6:7], 0, v2, s[6:7]
	buffer_store_dword v35, off, s[0:3], 0
	buffer_store_dword v35, off, s[0:3], 0 offset:4
	buffer_store_dword v35, off, s[0:3], 0 offset:8
	;; [unrolled: 1-line block ×3, first 2 shown]
	v_cndmask_b32_e32 v2, v33, v2, vcc
	v_cndmask_b32_e32 v1, v34, v1, vcc
	v_pk_fma_f16 v28, v50, v4, v3
	flat_load_dwordx4 v[1:4], v[1:2]
	v_cmp_gt_i32_e32 vcc, s17, v32
	v_mov_b32_e32 v36, v37
	v_mov_b32_e32 v37, v29
	s_waitcnt vmcnt(0) lgkmcnt(0)
	ds_write_b128 v30, v[1:4]
	v_add_co_u32_e64 v1, s[6:7], s8, v16
	v_mov_b32_e32 v2, s10
	v_addc_co_u32_e64 v2, s[6:7], v2, v17, s[6:7]
	v_add_co_u32_e64 v1, s[6:7], v1, v26
	v_addc_co_u32_e64 v2, s[6:7], 0, v2, s[6:7]
	buffer_store_dword v35, off, s[0:3], 0
	buffer_store_dword v35, off, s[0:3], 0 offset:4
	buffer_store_dword v35, off, s[0:3], 0 offset:8
	;; [unrolled: 1-line block ×3, first 2 shown]
	v_cndmask_b32_e32 v2, v33, v2, vcc
	v_cndmask_b32_e32 v1, v34, v1, vcc
	flat_load_dwordx4 v[1:4], v[1:2]
	s_waitcnt vmcnt(0) lgkmcnt(0)
	ds_write_b128 v31, v[1:4]
	s_waitcnt lgkmcnt(0)
	s_barrier
	ds_read2_b64 v[16:19], v25 offset1:32
	ds_read_b128 v[30:33], v38 offset:16960
	ds_read_b128 v[47:50], v38 offset:16976
	;; [unrolled: 1-line block ×4, first 2 shown]
	s_waitcnt lgkmcnt(3)
	v_mul_u32_u24_sdwa v26, v30, s12 dst_sel:DWORD dst_unused:UNUSED_PAD src0_sel:WORD_0 src1_sel:DWORD
	v_mul_u32_u24_sdwa v30, v30, s12 dst_sel:DWORD dst_unused:UNUSED_PAD src0_sel:WORD_1 src1_sel:DWORD
	v_pk_fma_f16 v7, v16, v26, v7
	v_pk_fma_f16 v8, v16, v30, v8
	v_pk_fma_f16 v9, v17, v26, v9
	v_pk_fma_f16 v11, v17, v30, v11
	v_pk_fma_f16 v12, v18, v26, v12
	v_pk_fma_f16 v13, v18, v30, v13
	v_pk_fma_f16 v26, v19, v26, v28
	v_pk_fma_f16 v5, v19, v30, v5
	ds_read2_b64 v[16:19], v25 offset0:64 offset1:96
	v_mul_u32_u24_sdwa v28, v31, s12 dst_sel:DWORD dst_unused:UNUSED_PAD src0_sel:WORD_0 src1_sel:DWORD
	v_mul_u32_u24_sdwa v30, v31, s12 dst_sel:DWORD dst_unused:UNUSED_PAD src0_sel:WORD_1 src1_sel:DWORD
	s_waitcnt lgkmcnt(0)
	v_pk_fma_f16 v7, v16, v28, v7
	v_pk_fma_f16 v8, v16, v30, v8
	v_pk_fma_f16 v9, v17, v28, v9
	v_pk_fma_f16 v11, v17, v30, v11
	v_pk_fma_f16 v12, v18, v28, v12
	v_pk_fma_f16 v13, v18, v30, v13
	v_pk_fma_f16 v26, v19, v28, v26
	v_pk_fma_f16 v5, v19, v30, v5
	ds_read2_b64 v[16:19], v25 offset0:128 offset1:160
	v_mul_u32_u24_sdwa v28, v32, s12 dst_sel:DWORD dst_unused:UNUSED_PAD src0_sel:WORD_0 src1_sel:DWORD
	v_mul_u32_u24_sdwa v30, v32, s12 dst_sel:DWORD dst_unused:UNUSED_PAD src0_sel:WORD_1 src1_sel:DWORD
	s_waitcnt lgkmcnt(0)
	;; [unrolled: 12-line block ×3, first 2 shown]
	v_pk_fma_f16 v7, v16, v25, v7
	v_pk_fma_f16 v8, v16, v28, v8
	v_pk_fma_f16 v9, v17, v25, v9
	v_pk_fma_f16 v11, v17, v28, v11
	v_pk_fma_f16 v12, v18, v25, v12
	v_pk_fma_f16 v13, v18, v28, v13
	v_pk_fma_f16 v25, v19, v25, v26
	v_pk_fma_f16 v5, v19, v28, v5
	ds_read2_b64 v[16:19], v27 offset1:32
	v_mul_u32_u24_sdwa v26, v47, s12 dst_sel:DWORD dst_unused:UNUSED_PAD src0_sel:WORD_0 src1_sel:DWORD
	v_mul_u32_u24_sdwa v28, v47, s12 dst_sel:DWORD dst_unused:UNUSED_PAD src0_sel:WORD_1 src1_sel:DWORD
	s_waitcnt lgkmcnt(0)
	v_pk_fma_f16 v7, v16, v26, v7
	v_pk_fma_f16 v8, v16, v28, v8
	v_pk_fma_f16 v9, v17, v26, v9
	v_pk_fma_f16 v11, v17, v28, v11
	v_pk_fma_f16 v12, v18, v26, v12
	v_pk_fma_f16 v13, v18, v28, v13
	v_pk_fma_f16 v25, v19, v26, v25
	v_pk_fma_f16 v5, v19, v28, v5
	ds_read2_b64 v[16:19], v27 offset0:64 offset1:96
	v_mul_u32_u24_sdwa v26, v48, s12 dst_sel:DWORD dst_unused:UNUSED_PAD src0_sel:WORD_0 src1_sel:DWORD
	v_mul_u32_u24_sdwa v28, v48, s12 dst_sel:DWORD dst_unused:UNUSED_PAD src0_sel:WORD_1 src1_sel:DWORD
	s_waitcnt lgkmcnt(0)
	v_pk_fma_f16 v7, v16, v26, v7
	v_pk_fma_f16 v8, v16, v28, v8
	v_pk_fma_f16 v9, v17, v26, v9
	v_pk_fma_f16 v11, v17, v28, v11
	v_pk_fma_f16 v12, v18, v26, v12
	v_pk_fma_f16 v13, v18, v28, v13
	v_pk_fma_f16 v25, v19, v26, v25
	v_pk_fma_f16 v5, v19, v28, v5
	ds_read2_b64 v[16:19], v27 offset0:128 offset1:160
	;; [unrolled: 12-line block ×3, first 2 shown]
	v_mul_u32_u24_sdwa v26, v50, s12 dst_sel:DWORD dst_unused:UNUSED_PAD src0_sel:WORD_0 src1_sel:DWORD
	v_mul_u32_u24_sdwa v27, v50, s12 dst_sel:DWORD dst_unused:UNUSED_PAD src0_sel:WORD_1 src1_sel:DWORD
	s_waitcnt lgkmcnt(0)
	v_pk_fma_f16 v7, v16, v26, v7
	v_pk_fma_f16 v8, v16, v27, v8
	;; [unrolled: 1-line block ×8, first 2 shown]
	ds_read2_b64 v[16:19], v10 offset1:32
	v_mul_u32_u24_sdwa v26, v51, s12 dst_sel:DWORD dst_unused:UNUSED_PAD src0_sel:WORD_0 src1_sel:DWORD
	v_mul_u32_u24_sdwa v27, v51, s12 dst_sel:DWORD dst_unused:UNUSED_PAD src0_sel:WORD_1 src1_sel:DWORD
	s_waitcnt lgkmcnt(0)
	v_pk_fma_f16 v7, v16, v26, v7
	v_pk_fma_f16 v8, v16, v27, v8
	;; [unrolled: 1-line block ×8, first 2 shown]
	ds_read2_b64 v[16:19], v10 offset0:64 offset1:96
	v_mul_u32_u24_sdwa v26, v52, s12 dst_sel:DWORD dst_unused:UNUSED_PAD src0_sel:WORD_0 src1_sel:DWORD
	v_mul_u32_u24_sdwa v27, v52, s12 dst_sel:DWORD dst_unused:UNUSED_PAD src0_sel:WORD_1 src1_sel:DWORD
	s_waitcnt lgkmcnt(0)
	v_pk_fma_f16 v7, v16, v26, v7
	v_pk_fma_f16 v8, v16, v27, v8
	;; [unrolled: 1-line block ×8, first 2 shown]
	ds_read2_b64 v[16:19], v10 offset0:128 offset1:160
	v_mul_u32_u24_sdwa v26, v53, s12 dst_sel:DWORD dst_unused:UNUSED_PAD src0_sel:WORD_0 src1_sel:DWORD
	v_mul_u32_u24_sdwa v27, v53, s12 dst_sel:DWORD dst_unused:UNUSED_PAD src0_sel:WORD_1 src1_sel:DWORD
	s_waitcnt lgkmcnt(0)
	v_pk_fma_f16 v28, v16, v26, v7
	v_pk_fma_f16 v16, v16, v27, v8
	;; [unrolled: 1-line block ×3, first 2 shown]
	ds_read2_b64 v[7:10], v10 offset0:192 offset1:224
	v_pk_fma_f16 v11, v17, v27, v11
	v_pk_fma_f16 v12, v18, v26, v12
	;; [unrolled: 1-line block ×5, first 2 shown]
	v_mul_u32_u24_sdwa v18, v54, s12 dst_sel:DWORD dst_unused:UNUSED_PAD src0_sel:WORD_0 src1_sel:DWORD
	v_mul_u32_u24_sdwa v19, v54, s12 dst_sel:DWORD dst_unused:UNUSED_PAD src0_sel:WORD_1 src1_sel:DWORD
	s_waitcnt lgkmcnt(0)
	v_pk_fma_f16 v25, v7, v18, v28
	v_pk_fma_f16 v16, v7, v19, v16
	;; [unrolled: 1-line block ×8, first 2 shown]
	ds_read2_b64 v[7:10], v6 offset1:32
	v_mul_u32_u24_sdwa v18, v1, s12 dst_sel:DWORD dst_unused:UNUSED_PAD src0_sel:WORD_0 src1_sel:DWORD
	v_mul_u32_u24_sdwa v1, v1, s12 dst_sel:DWORD dst_unused:UNUSED_PAD src0_sel:WORD_1 src1_sel:DWORD
	s_waitcnt lgkmcnt(0)
	v_pk_fma_f16 v19, v7, v18, v25
	v_pk_fma_f16 v16, v7, v1, v16
	;; [unrolled: 1-line block ×8, first 2 shown]
	ds_read2_b64 v[7:10], v6 offset0:64 offset1:96
	v_mul_u32_u24_sdwa v5, v2, s12 dst_sel:DWORD dst_unused:UNUSED_PAD src0_sel:WORD_0 src1_sel:DWORD
	v_mul_u32_u24_sdwa v2, v2, s12 dst_sel:DWORD dst_unused:UNUSED_PAD src0_sel:WORD_1 src1_sel:DWORD
	s_waitcnt lgkmcnt(0)
	v_pk_fma_f16 v18, v7, v5, v19
	v_pk_fma_f16 v16, v7, v2, v16
	;; [unrolled: 1-line block ×8, first 2 shown]
	ds_read2_b64 v[7:10], v6 offset0:128 offset1:160
	v_mul_u32_u24_sdwa v2, v3, s12 dst_sel:DWORD dst_unused:UNUSED_PAD src0_sel:WORD_0 src1_sel:DWORD
	v_mul_u32_u24_sdwa v3, v3, s12 dst_sel:DWORD dst_unused:UNUSED_PAD src0_sel:WORD_1 src1_sel:DWORD
	s_waitcnt lgkmcnt(0)
	v_pk_fma_f16 v17, v7, v2, v18
	v_pk_fma_f16 v16, v7, v3, v16
	;; [unrolled: 1-line block ×6, first 2 shown]
	ds_read2_b64 v[5:8], v6 offset0:192 offset1:224
	v_pk_fma_f16 v9, v9, v3, v13
	v_pk_fma_f16 v1, v10, v3, v1
	v_mul_u32_u24_sdwa v3, v4, s12 dst_sel:DWORD dst_unused:UNUSED_PAD src0_sel:WORD_0 src1_sel:DWORD
	v_mul_u32_u24_sdwa v4, v4, s12 dst_sel:DWORD dst_unused:UNUSED_PAD src0_sel:WORD_1 src1_sel:DWORD
	s_waitcnt lgkmcnt(0)
	v_pk_fma_f16 v33, v7, v3, v12
	v_pk_fma_f16 v31, v7, v4, v9
	;; [unrolled: 1-line block ×4, first 2 shown]
	v_mov_b32_e32 v7, v14
	v_pk_fma_f16 v28, v5, v3, v17
	v_pk_fma_f16 v27, v5, v4, v16
	;; [unrolled: 1-line block ×4, first 2 shown]
	v_mov_b32_e32 v8, v15
	s_barrier
.LBB46_29:
	v_cmp_lt_i32_e32 vcc, v43, v41
	v_cndmask_b32_e32 v1, v40, v43, vcc
	v_lshlrev_b32_e32 v1, 2, v1
	ds_bpermute_b32 v2, v1, v37
	ds_bpermute_b32 v1, v1, v36
	v_cmp_lt_i32_e32 vcc, v42, v41
	v_cndmask_b32_e32 v3, v40, v42, vcc
	v_lshlrev_b32_e32 v3, 2, v3
	s_waitcnt lgkmcnt(1)
	v_add_f32_e32 v2, v37, v2
	s_waitcnt lgkmcnt(0)
	v_add_f32_e32 v1, v36, v1
	ds_bpermute_b32 v4, v3, v2
	ds_bpermute_b32 v3, v3, v1
	v_cmp_lt_i32_e32 vcc, v44, v41
	v_cndmask_b32_e32 v5, v40, v44, vcc
	v_lshlrev_b32_e32 v5, 2, v5
	s_waitcnt lgkmcnt(1)
	v_add_f32_e32 v2, v2, v4
	s_waitcnt lgkmcnt(0)
	v_add_f32_e32 v1, v1, v3
	ds_bpermute_b32 v4, v5, v2
	ds_bpermute_b32 v3, v5, v1
	v_cmp_lt_i32_e32 vcc, v45, v41
	v_cndmask_b32_e32 v5, v40, v45, vcc
	v_lshlrev_b32_e32 v5, 2, v5
	s_waitcnt lgkmcnt(1)
	v_add_f32_e32 v2, v2, v4
	s_waitcnt lgkmcnt(0)
	v_add_f32_e32 v1, v1, v3
	ds_bpermute_b32 v4, v5, v2
	ds_bpermute_b32 v3, v5, v1
	v_cmp_lt_i32_e32 vcc, v46, v41
	v_cndmask_b32_e32 v5, v40, v46, vcc
	v_lshlrev_b32_e32 v5, 2, v5
	s_waitcnt lgkmcnt(1)
	v_add_f32_e32 v2, v2, v4
	s_waitcnt lgkmcnt(0)
	v_add_f32_e32 v3, v1, v3
	ds_bpermute_b32 v4, v5, v2
	ds_bpermute_b32 v5, v5, v3
	s_cmp_eq_u64 s[20:21], 0
	s_cselect_b64 s[6:7], -1, 0
	s_cmp_lg_u32 s9, 0
	s_cselect_b64 s[10:11], -1, 0
	s_or_b64 s[6:7], s[10:11], s[6:7]
	s_waitcnt lgkmcnt(1)
	v_add_f32_e32 v1, v2, v4
	s_waitcnt lgkmcnt(0)
	v_add_f32_e32 v2, v3, v5
	s_and_b64 vcc, exec, s[6:7]
	s_cbranch_vccnz .LBB46_32
; %bb.30:
	s_lshl_b64 s[6:7], s[34:35], 2
	s_add_u32 s6, s20, s6
	s_addc_u32 s7, s21, s7
	v_mov_b32_e32 v3, 0
	global_load_dword v3, v3, s[6:7]
	v_max_f32_e32 v4, v7, v7
	v_max_f32_e32 v6, v8, v8
	s_mov_b32 s6, 0x3fb8aa3b
	s_mov_b32 s7, 0xc2ce8ed0
	;; [unrolled: 1-line block ×3, first 2 shown]
	v_mov_b32_e32 v9, 0x7f800000
	s_waitcnt vmcnt(0)
	v_max_f32_e32 v10, v3, v3
	v_max_f32_e32 v5, v4, v10
	;; [unrolled: 1-line block ×3, first 2 shown]
	v_sub_f32_e32 v4, v7, v5
	v_sub_f32_e32 v7, v3, v5
	;; [unrolled: 1-line block ×3, first 2 shown]
	v_mul_f32_e32 v3, 0x3fb8aa3b, v4
	v_sub_f32_e32 v8, v8, v6
	v_mul_f32_e32 v11, 0x3fb8aa3b, v7
	v_fma_f32 v14, v4, s6, -v3
	v_rndne_f32_e32 v15, v3
	v_mul_f32_e32 v12, 0x3fb8aa3b, v8
	v_fma_f32 v16, v7, s6, -v11
	v_rndne_f32_e32 v17, v11
	v_fmac_f32_e32 v14, 0x32a5705f, v4
	v_sub_f32_e32 v3, v3, v15
	v_mul_f32_e32 v13, 0x3fb8aa3b, v10
	v_fma_f32 v18, v8, s6, -v12
	v_rndne_f32_e32 v19, v12
	v_fmac_f32_e32 v16, 0x32a5705f, v7
	v_sub_f32_e32 v11, v11, v17
	v_add_f32_e32 v3, v3, v14
	v_fma_f32 v25, v10, s6, -v13
	v_rndne_f32_e32 v26, v13
	v_cvt_i32_f32_e32 v15, v15
	v_fmac_f32_e32 v18, 0x32a5705f, v8
	v_sub_f32_e32 v12, v12, v19
	v_add_f32_e32 v11, v11, v16
	v_exp_f32_e32 v3, v3
	v_cvt_i32_f32_e32 v17, v17
	v_fmac_f32_e32 v25, 0x32a5705f, v10
	v_sub_f32_e32 v13, v13, v26
	v_add_f32_e32 v12, v12, v18
	v_exp_f32_e32 v11, v11
	v_cvt_i32_f32_e32 v19, v19
	v_add_f32_e32 v13, v13, v25
	v_exp_f32_e32 v12, v12
	v_cvt_i32_f32_e32 v26, v26
	v_exp_f32_e32 v13, v13
	v_ldexp_f32 v3, v3, v15
	v_cmp_ngt_f32_e32 vcc, s7, v4
	v_ldexp_f32 v11, v11, v17
	v_cndmask_b32_e32 v3, 0, v3, vcc
	v_cmp_ngt_f32_e32 vcc, s7, v7
	v_ldexp_f32 v12, v12, v19
	v_cndmask_b32_e32 v11, 0, v11, vcc
	v_cmp_ngt_f32_e32 vcc, s7, v8
	v_ldexp_f32 v13, v13, v26
	v_cndmask_b32_e32 v12, 0, v12, vcc
	v_cmp_ngt_f32_e32 vcc, s7, v10
	v_cndmask_b32_e32 v13, 0, v13, vcc
	v_cmp_nlt_f32_e32 vcc, s8, v4
	v_cndmask_b32_e32 v14, v9, v3, vcc
	v_cmp_nlt_f32_e32 vcc, s8, v7
	;; [unrolled: 2-line block ×4, first 2 shown]
	v_cndmask_b32_e32 v4, v9, v13, vcc
	v_cvt_f16_f32_e32 v8, v14
	v_cvt_f16_f32_e32 v9, v7
	v_fmac_f32_e32 v3, v1, v14
	v_fmac_f32_e32 v4, v2, v7
	v_mul_u32_u24_e32 v7, 0x10001, v8
	v_mul_u32_u24_e32 v8, 0x10001, v9
	v_mov_b32_e32 v1, v3
	v_pk_mul_f16 v28, v28, v7
	v_pk_mul_f16 v35, v35, v7
	;; [unrolled: 1-line block ×8, first 2 shown]
	v_mov_b32_e32 v8, v6
	v_mov_b32_e32 v2, v4
	;; [unrolled: 1-line block ×3, first 2 shown]
	v_cmp_gt_i32_e32 vcc, s30, v24
	s_and_saveexec_b64 s[6:7], vcc
	s_cbranch_execnz .LBB46_33
.LBB46_31:
	s_endpgm
.LBB46_32:
	v_mov_b32_e32 v3, v1
	v_mov_b32_e32 v4, v2
	v_cmp_gt_i32_e32 vcc, s30, v24
	s_and_saveexec_b64 s[6:7], vcc
	s_cbranch_execz .LBB46_31
.LBB46_33:
	s_load_dword s8, s[4:5], 0xd4
	v_mov_b32_e32 v6, 1.0
	s_waitcnt lgkmcnt(0)
	s_cmp_lg_u32 s8, 1
	s_cselect_b64 s[10:11], -1, 0
	s_cmp_eq_u32 s8, 1
	s_cselect_b64 s[6:7], -1, 0
	s_and_b64 vcc, exec, s[10:11]
	s_cbranch_vccnz .LBB46_35
; %bb.34:
	v_div_scale_f32 v5, s[4:5], v3, v3, 1.0
	v_div_scale_f32 v6, vcc, 1.0, v3, 1.0
	v_rcp_f32_e32 v9, v5
	v_fma_f32 v10, -v5, v9, 1.0
	v_fmac_f32_e32 v9, v10, v9
	v_mul_f32_e32 v10, v6, v9
	v_fma_f32 v11, -v5, v10, v6
	v_fmac_f32_e32 v10, v11, v9
	v_fma_f32 v5, -v5, v10, v6
	v_div_fmas_f32 v5, v5, v9, v10
	v_div_fixup_f32 v6, v5, v3, 1.0
.LBB46_35:
	s_mul_i32 s12, s33, s30
	s_add_i32 s12, s12, s18
	v_add_u32_e32 v3, s12, v23
	v_mul_lo_u32 v3, v3, s31
	v_cvt_f32_f16_e32 v9, v35
	v_cvt_f32_f16_e32 v14, v28
	v_cmp_eq_u32_e32 vcc, 0, v0
	v_add_u32_e32 v3, s34, v3
	v_mul_lo_u32 v3, s8, v3
	v_cvt_f32_f16_sdwa v0, v35 dst_sel:DWORD dst_unused:UNUSED_PAD src0_sel:WORD_1
	v_mul_f32_e32 v11, v6, v9
	v_mul_f32_e32 v9, v6, v14
	v_add_u32_e32 v5, s9, v3
	v_lshl_add_u32 v13, v5, 8, v21
	v_mov_b32_e32 v14, 0
	v_cvt_f32_f16_sdwa v10, v28 dst_sel:DWORD dst_unused:UNUSED_PAD src0_sel:WORD_1
	v_lshlrev_b64 v[15:16], 2, v[13:14]
	v_mul_f32_e32 v12, v6, v0
	v_mov_b32_e32 v0, s25
	v_add_co_u32_e64 v15, s[4:5], s24, v15
	v_addc_co_u32_e64 v16, s[4:5], v0, v16, s[4:5]
	v_cvt_f32_f16_sdwa v0, v34 dst_sel:DWORD dst_unused:UNUSED_PAD src0_sel:WORD_1
	v_mul_f32_e32 v10, v6, v10
	v_add_u32_e32 v13, 0x80, v13
	global_store_dwordx4 v[15:16], v[9:12], off
	v_cvt_f32_f16_e32 v3, v34
	v_cvt_f32_f16_sdwa v9, v33 dst_sel:DWORD dst_unused:UNUSED_PAD src0_sel:WORD_1
	v_cvt_f32_f16_e32 v15, v33
	v_lshlrev_b64 v[13:14], 2, v[13:14]
	v_mul_f32_e32 v12, v6, v0
	v_mov_b32_e32 v0, s25
	v_add_co_u32_e64 v13, s[4:5], s24, v13
	v_addc_co_u32_e64 v14, s[4:5], v0, v14, s[4:5]
	v_mul_f32_e32 v11, v6, v3
	v_mul_f32_e32 v10, v6, v9
	;; [unrolled: 1-line block ×3, first 2 shown]
	s_and_b64 s[4:5], vcc, s[10:11]
	global_store_dwordx4 v[13:14], v[9:12], off
	s_and_saveexec_b64 s[10:11], s[4:5]
	s_cbranch_execz .LBB46_37
; %bb.36:
	v_ashrrev_i32_e32 v6, 31, v5
	v_lshlrev_b64 v[5:6], 3, v[5:6]
	v_mov_b32_e32 v0, s27
	v_add_co_u32_e32 v5, vcc, s26, v5
	v_addc_co_u32_e32 v6, vcc, v0, v6, vcc
	v_mov_b32_e32 v0, v7
	global_store_dwordx2 v[5:6], v[0:1], off
.LBB46_37:
	s_or_b64 exec, exec, s[10:11]
	v_cmp_gt_i32_e32 vcc, s30, v22
	s_and_b64 exec, exec, vcc
	s_cbranch_execz .LBB46_31
; %bb.38:
	s_andn2_b64 vcc, exec, s[6:7]
	v_mov_b32_e32 v1, 1.0
	s_cbranch_vccnz .LBB46_40
; %bb.39:
	v_div_scale_f32 v0, s[6:7], v4, v4, 1.0
	v_div_scale_f32 v1, vcc, 1.0, v4, 1.0
	v_rcp_f32_e32 v3, v0
	v_fma_f32 v5, -v0, v3, 1.0
	v_fmac_f32_e32 v3, v5, v3
	v_mul_f32_e32 v5, v1, v3
	v_fma_f32 v6, -v0, v5, v1
	v_fmac_f32_e32 v5, v6, v3
	v_fma_f32 v0, -v0, v5, v1
	v_div_fmas_f32 v0, v0, v3, v5
	v_div_fixup_f32 v1, v0, v4, 1.0
.LBB46_40:
	v_add_u32_e32 v0, s12, v20
	v_mul_lo_u32 v0, v0, s31
	v_cvt_f32_f16_sdwa v3, v32 dst_sel:DWORD dst_unused:UNUSED_PAD src0_sel:WORD_1
	v_cvt_f32_f16_e32 v10, v27
	v_cvt_f32_f16_e32 v4, v32
	v_add_u32_e32 v0, s34, v0
	v_mul_lo_u32 v0, s8, v0
	v_cvt_f32_f16_sdwa v7, v27 dst_sel:DWORD dst_unused:UNUSED_PAD src0_sel:WORD_1
	v_mul_f32_e32 v6, v1, v3
	v_mul_f32_e32 v3, v1, v10
	v_add_u32_e32 v0, s9, v0
	v_lshl_add_u32 v9, v0, 8, v21
	v_mov_b32_e32 v10, 0
	v_lshlrev_b64 v[11:12], 2, v[9:10]
	v_mul_f32_e32 v5, v1, v4
	v_mul_f32_e32 v4, v1, v7
	v_mov_b32_e32 v7, s25
	v_add_co_u32_e32 v11, vcc, s24, v11
	v_addc_co_u32_e32 v12, vcc, v7, v12, vcc
	global_store_dwordx4 v[11:12], v[3:6], off
	v_cvt_f32_f16_sdwa v7, v31 dst_sel:DWORD dst_unused:UNUSED_PAD src0_sel:WORD_1
	v_cvt_f32_f16_sdwa v3, v30 dst_sel:DWORD dst_unused:UNUSED_PAD src0_sel:WORD_1
	v_cvt_f32_f16_e32 v4, v30
	v_cvt_f32_f16_e32 v11, v31
	v_add_u32_e32 v9, 0x80, v9
	v_lshlrev_b64 v[9:10], 2, v[9:10]
	v_mul_f32_e32 v6, v1, v3
	v_mul_f32_e32 v5, v1, v4
	;; [unrolled: 1-line block ×4, first 2 shown]
	v_mov_b32_e32 v1, s25
	v_add_co_u32_e32 v9, vcc, s24, v9
	v_addc_co_u32_e32 v10, vcc, v1, v10, vcc
	global_store_dwordx4 v[9:10], v[3:6], off
	s_and_b64 exec, exec, s[4:5]
	s_cbranch_execz .LBB46_31
; %bb.41:
	v_ashrrev_i32_e32 v1, 31, v0
	v_lshlrev_b64 v[0:1], 3, v[0:1]
	v_mov_b32_e32 v4, s27
	v_add_co_u32_e32 v3, vcc, s26, v0
	v_addc_co_u32_e32 v4, vcc, v4, v1, vcc
	v_mov_b32_e32 v1, v8
	global_store_dwordx2 v[3:4], v[1:2], off
	s_endpgm
	.section	.rodata,"a",@progbits
	.p2align	6, 0x0
	.amdhsa_kernel _ZL15flash_attn_tileILi256ELi256ELi16ELi1ELb0EEvPKcS1_S1_S1_S1_PKiPfP15HIP_vector_typeIfLj2EEffffjfiS5_IjLj3EEiiiiiiiiiiiliiliiiiil
		.amdhsa_group_segment_fixed_size 17920
		.amdhsa_private_segment_fixed_size 32
		.amdhsa_kernarg_size 464
		.amdhsa_user_sgpr_count 8
		.amdhsa_user_sgpr_private_segment_buffer 1
		.amdhsa_user_sgpr_dispatch_ptr 0
		.amdhsa_user_sgpr_queue_ptr 0
		.amdhsa_user_sgpr_kernarg_segment_ptr 1
		.amdhsa_user_sgpr_dispatch_id 0
		.amdhsa_user_sgpr_flat_scratch_init 1
		.amdhsa_user_sgpr_private_segment_size 0
		.amdhsa_uses_dynamic_stack 0
		.amdhsa_system_sgpr_private_segment_wavefront_offset 1
		.amdhsa_system_sgpr_workgroup_id_x 1
		.amdhsa_system_sgpr_workgroup_id_y 1
		.amdhsa_system_sgpr_workgroup_id_z 1
		.amdhsa_system_sgpr_workgroup_info 0
		.amdhsa_system_vgpr_workitem_id 1
		.amdhsa_next_free_vgpr 72
		.amdhsa_next_free_sgpr 96
		.amdhsa_reserve_vcc 1
		.amdhsa_reserve_flat_scratch 1
		.amdhsa_float_round_mode_32 0
		.amdhsa_float_round_mode_16_64 0
		.amdhsa_float_denorm_mode_32 3
		.amdhsa_float_denorm_mode_16_64 3
		.amdhsa_dx10_clamp 1
		.amdhsa_ieee_mode 1
		.amdhsa_fp16_overflow 0
		.amdhsa_exception_fp_ieee_invalid_op 0
		.amdhsa_exception_fp_denorm_src 0
		.amdhsa_exception_fp_ieee_div_zero 0
		.amdhsa_exception_fp_ieee_overflow 0
		.amdhsa_exception_fp_ieee_underflow 0
		.amdhsa_exception_fp_ieee_inexact 0
		.amdhsa_exception_int_div_zero 0
	.end_amdhsa_kernel
	.section	.text._ZL15flash_attn_tileILi256ELi256ELi16ELi1ELb0EEvPKcS1_S1_S1_S1_PKiPfP15HIP_vector_typeIfLj2EEffffjfiS5_IjLj3EEiiiiiiiiiiiliiliiiiil,"axG",@progbits,_ZL15flash_attn_tileILi256ELi256ELi16ELi1ELb0EEvPKcS1_S1_S1_S1_PKiPfP15HIP_vector_typeIfLj2EEffffjfiS5_IjLj3EEiiiiiiiiiiiliiliiiiil,comdat
.Lfunc_end46:
	.size	_ZL15flash_attn_tileILi256ELi256ELi16ELi1ELb0EEvPKcS1_S1_S1_S1_PKiPfP15HIP_vector_typeIfLj2EEffffjfiS5_IjLj3EEiiiiiiiiiiiliiliiiiil, .Lfunc_end46-_ZL15flash_attn_tileILi256ELi256ELi16ELi1ELb0EEvPKcS1_S1_S1_S1_PKiPfP15HIP_vector_typeIfLj2EEffffjfiS5_IjLj3EEiiiiiiiiiiiliiliiiiil
                                        ; -- End function
	.set _ZL15flash_attn_tileILi256ELi256ELi16ELi1ELb0EEvPKcS1_S1_S1_S1_PKiPfP15HIP_vector_typeIfLj2EEffffjfiS5_IjLj3EEiiiiiiiiiiiliiliiiiil.num_vgpr, 72
	.set _ZL15flash_attn_tileILi256ELi256ELi16ELi1ELb0EEvPKcS1_S1_S1_S1_PKiPfP15HIP_vector_typeIfLj2EEffffjfiS5_IjLj3EEiiiiiiiiiiiliiliiiiil.num_agpr, 0
	.set _ZL15flash_attn_tileILi256ELi256ELi16ELi1ELb0EEvPKcS1_S1_S1_S1_PKiPfP15HIP_vector_typeIfLj2EEffffjfiS5_IjLj3EEiiiiiiiiiiiliiliiiiil.numbered_sgpr, 52
	.set _ZL15flash_attn_tileILi256ELi256ELi16ELi1ELb0EEvPKcS1_S1_S1_S1_PKiPfP15HIP_vector_typeIfLj2EEffffjfiS5_IjLj3EEiiiiiiiiiiiliiliiiiil.num_named_barrier, 0
	.set _ZL15flash_attn_tileILi256ELi256ELi16ELi1ELb0EEvPKcS1_S1_S1_S1_PKiPfP15HIP_vector_typeIfLj2EEffffjfiS5_IjLj3EEiiiiiiiiiiiliiliiiiil.private_seg_size, 32
	.set _ZL15flash_attn_tileILi256ELi256ELi16ELi1ELb0EEvPKcS1_S1_S1_S1_PKiPfP15HIP_vector_typeIfLj2EEffffjfiS5_IjLj3EEiiiiiiiiiiiliiliiiiil.uses_vcc, 1
	.set _ZL15flash_attn_tileILi256ELi256ELi16ELi1ELb0EEvPKcS1_S1_S1_S1_PKiPfP15HIP_vector_typeIfLj2EEffffjfiS5_IjLj3EEiiiiiiiiiiiliiliiiiil.uses_flat_scratch, 1
	.set _ZL15flash_attn_tileILi256ELi256ELi16ELi1ELb0EEvPKcS1_S1_S1_S1_PKiPfP15HIP_vector_typeIfLj2EEffffjfiS5_IjLj3EEiiiiiiiiiiiliiliiiiil.has_dyn_sized_stack, 0
	.set _ZL15flash_attn_tileILi256ELi256ELi16ELi1ELb0EEvPKcS1_S1_S1_S1_PKiPfP15HIP_vector_typeIfLj2EEffffjfiS5_IjLj3EEiiiiiiiiiiiliiliiiiil.has_recursion, 0
	.set _ZL15flash_attn_tileILi256ELi256ELi16ELi1ELb0EEvPKcS1_S1_S1_S1_PKiPfP15HIP_vector_typeIfLj2EEffffjfiS5_IjLj3EEiiiiiiiiiiiliiliiiiil.has_indirect_call, 0
	.section	.AMDGPU.csdata,"",@progbits
; Kernel info:
; codeLenInByte = 19960
; TotalNumSgprs: 58
; NumVgprs: 72
; ScratchSize: 32
; MemoryBound: 0
; FloatMode: 240
; IeeeMode: 1
; LDSByteSize: 17920 bytes/workgroup (compile time only)
; SGPRBlocks: 12
; VGPRBlocks: 17
; NumSGPRsForWavesPerEU: 102
; NumVGPRsForWavesPerEU: 72
; Occupancy: 3
; WaveLimiterHint : 1
; COMPUTE_PGM_RSRC2:SCRATCH_EN: 1
; COMPUTE_PGM_RSRC2:USER_SGPR: 8
; COMPUTE_PGM_RSRC2:TRAP_HANDLER: 0
; COMPUTE_PGM_RSRC2:TGID_X_EN: 1
; COMPUTE_PGM_RSRC2:TGID_Y_EN: 1
; COMPUTE_PGM_RSRC2:TGID_Z_EN: 1
; COMPUTE_PGM_RSRC2:TIDIG_COMP_CNT: 1
	.section	.text._ZL33flash_attn_stream_k_fixup_uniformILi256ELi16ELi1EEvPfPK15HIP_vector_typeIfLj2EEiiiiiiS1_IjLj3EES5_S5_,"axG",@progbits,_ZL33flash_attn_stream_k_fixup_uniformILi256ELi16ELi1EEvPfPK15HIP_vector_typeIfLj2EEiiiiiiS1_IjLj3EES5_S5_,comdat
	.globl	_ZL33flash_attn_stream_k_fixup_uniformILi256ELi16ELi1EEvPfPK15HIP_vector_typeIfLj2EEiiiiiiS1_IjLj3EES5_S5_ ; -- Begin function _ZL33flash_attn_stream_k_fixup_uniformILi256ELi16ELi1EEvPfPK15HIP_vector_typeIfLj2EEiiiiiiS1_IjLj3EES5_S5_
	.p2align	8
	.type	_ZL33flash_attn_stream_k_fixup_uniformILi256ELi16ELi1EEvPfPK15HIP_vector_typeIfLj2EEiiiiiiS1_IjLj3EES5_S5_,@function
_ZL33flash_attn_stream_k_fixup_uniformILi256ELi16ELi1EEvPfPK15HIP_vector_typeIfLj2EEiiiiiiS1_IjLj3EES5_S5_: ; @_ZL33flash_attn_stream_k_fixup_uniformILi256ELi16ELi1EEvPfPK15HIP_vector_typeIfLj2EEiiiiiiS1_IjLj3EES5_S5_
; %bb.0:
	s_load_dwordx8 s[12:19], s[4:5], 0x1c
	s_load_dwordx2 s[10:11], s[4:5], 0x10
	s_load_dwordx4 s[0:3], s[4:5], 0x3c
	s_waitcnt lgkmcnt(0)
	s_mul_hi_u32 s9, s15, s6
	s_add_i32 s9, s6, s9
	s_lshr_b32 s9, s9, s16
	s_mul_i32 s15, s9, s17
	s_sub_i32 s15, s6, s15
	s_mul_hi_u32 s16, s15, s18
	s_add_i32 s16, s15, s16
	s_lshr_b32 s16, s16, s19
	s_mul_i32 s0, s16, s0
	s_sub_i32 s0, s15, s0
	;; [unrolled: 5-line block ×3, first 2 shown]
	s_lshl_b32 s0, s17, 4
	s_add_i32 s0, s0, s7
	s_cmp_lt_i32 s0, s10
	s_cselect_b64 s[0:1], -1, 0
	s_add_i32 s2, s15, s8
	s_cmp_lt_i32 s2, s13
	s_cselect_b64 s[2:3], -1, 0
	s_and_b64 s[0:1], s[0:1], s[2:3]
	s_andn2_b64 vcc, exec, s[0:1]
	s_cbranch_vccnz .LBB47_6
; %bb.1:
	s_load_dwordx4 s[0:3], s[4:5], 0x0
	s_mul_i32 s4, s9, s10
	s_add_i32 s4, s4, s7
	s_mul_i32 s4, s4, s11
	s_mul_i32 s16, s16, s13
	s_add_i32 s4, s4, s8
	s_add_i32 s4, s4, s16
	s_mul_i32 s5, s11, s17
	s_add_i32 s4, s4, s15
	s_lshl_b32 s5, s5, 12
	s_lshl_b32 s4, s4, 8
	s_add_i32 s5, s5, s4
	v_or_b32_e32 v1, s5, v0
	v_ashrrev_i32_e32 v2, 31, v1
	v_lshlrev_b64 v[1:2], 2, v[1:2]
	s_waitcnt lgkmcnt(0)
	v_mov_b32_e32 v3, s1
	v_add_co_u32_e32 v1, vcc, s0, v1
	v_addc_co_u32_e32 v2, vcc, v3, v2, vcc
	global_load_dword v8, v[1:2], off
	s_add_i32 s4, s7, s8
	s_mul_i32 s7, s14, s6
	s_add_i32 s5, s7, s14
	s_lshl_b32 s0, s5, 4
	s_add_i32 s0, s4, s0
	s_add_i32 s0, s0, -16
	s_ashr_i32 s1, s0, 31
	s_lshl_b64 s[0:1], s[0:1], 3
	s_add_u32 s0, s2, s0
	s_addc_u32 s1, s3, s1
	s_load_dword s10, s[0:1], 0x4
	s_add_i32 s8, s5, -2
	s_cmp_lt_i32 s8, s7
	s_cbranch_scc1 .LBB47_4
; %bb.2:
	s_lshl_b32 s8, s12, 6
	s_ashr_i32 s9, s8, 31
	s_lshl_b64 s[8:9], s[8:9], 2
	s_add_u32 s8, s2, s8
	s_addc_u32 s11, s3, s9
	s_add_i32 s6, s6, 1
	s_add_i32 s9, s5, -1
	s_mul_i32 s5, s14, s6
	s_load_dword s0, s[0:1], 0x0
	s_lshl_b32 s1, s4, 8
	s_lshl_b32 s6, s5, 12
	s_add_i32 s1, s1, s6
	v_or_b32_e32 v0, s1, v0
	s_lshl_b32 s1, s5, 4
	s_add_i32 s1, s4, s1
	s_lshl_b32 s4, s12, 4
	s_add_i32 s1, s1, s4
	v_add_u32_e32 v3, 0xffffe000, v0
	s_sub_i32 s4, s1, 32
	s_waitcnt lgkmcnt(0)
	v_mov_b32_e32 v7, s10
	v_mov_b32_e32 v6, s0
	;; [unrolled: 1-line block ×3, first 2 shown]
	s_mov_b32 s6, 0x3fb8aa3b
	s_mov_b32 s10, 0xc2ce8ed0
	;; [unrolled: 1-line block ×3, first 2 shown]
	v_mov_b32_e32 v5, 0x7f800000
	s_mov_b32 s12, 0xc1a00000
.LBB47_3:                               ; =>This Inner Loop Header: Depth=1
	v_ashrrev_i32_e32 v4, 31, v3
	v_lshlrev_b64 v[9:10], 2, v[3:4]
	s_ashr_i32 s5, s4, 31
	v_add_co_u32_e32 v9, vcc, s8, v9
	v_addc_co_u32_e32 v10, vcc, v0, v10, vcc
	global_load_dword v4, v[9:10], off
	s_lshl_b64 s[0:1], s[4:5], 3
	s_add_u32 s0, s2, s0
	s_addc_u32 s1, s3, s1
	s_load_dwordx2 s[14:15], s[0:1], 0x0
	s_waitcnt vmcnt(1)
	v_mov_b32_e32 v9, v8
	v_max_f32_e32 v8, v6, v6
	v_mov_b32_e32 v10, v7
	s_add_i32 s9, s9, -1
	s_waitcnt lgkmcnt(0)
	v_max_f32_e64 v7, s14, s14
	v_max_f32_e32 v7, v8, v7
	v_sub_f32_e32 v11, s14, v7
	v_sub_f32_e32 v8, v6, v7
	v_mul_f32_e32 v12, 0x3fb8aa3b, v11
	v_mov_b32_e32 v6, v7
	v_mul_f32_e32 v7, 0x3fb8aa3b, v8
	v_fma_f32 v15, v11, s6, -v12
	v_rndne_f32_e32 v16, v12
	v_fma_f32 v13, v8, s6, -v7
	v_rndne_f32_e32 v14, v7
	v_fmac_f32_e32 v15, 0x32a5705f, v11
	v_sub_f32_e32 v12, v12, v16
	v_fmac_f32_e32 v13, 0x32a5705f, v8
	v_sub_f32_e32 v7, v7, v14
	v_add_f32_e32 v12, v12, v15
	v_cvt_i32_f32_e32 v16, v16
	v_add_f32_e32 v7, v7, v13
	v_exp_f32_e32 v12, v12
	v_cvt_i32_f32_e32 v14, v14
	v_exp_f32_e32 v7, v7
	v_cmp_ngt_f32_e32 vcc, s10, v11
	v_ldexp_f32 v12, v12, v16
	v_cmp_ngt_f32_e64 s[0:1], s10, v8
	v_ldexp_f32 v7, v7, v14
	v_cndmask_b32_e32 v12, 0, v12, vcc
	v_cmp_nlt_f32_e32 vcc, s11, v11
	v_cndmask_b32_e64 v7, 0, v7, s[0:1]
	v_cmp_nlt_f32_e64 s[0:1], s11, v8
	v_cndmask_b32_e32 v12, v5, v12, vcc
	v_cmp_le_f32_e32 vcc, s12, v11
	v_cndmask_b32_e64 v7, v5, v7, s[0:1]
	v_cmp_le_f32_e64 s[0:1], s12, v8
	v_cndmask_b32_e32 v8, 0, v12, vcc
	s_add_i32 s4, s4, -16
	v_cndmask_b32_e64 v11, 0, v7, s[0:1]
	v_mul_f32_e32 v7, s15, v8
	v_add_u32_e32 v3, 0xfffff000, v3
	s_cmp_le_i32 s9, s7
	v_fmac_f32_e32 v7, v10, v11
	s_waitcnt vmcnt(0)
	v_mul_f32_e32 v8, v4, v8
	v_fmac_f32_e32 v8, v9, v11
	s_cbranch_scc0 .LBB47_3
	s_branch .LBB47_5
.LBB47_4:
	s_waitcnt lgkmcnt(0)
	v_mov_b32_e32 v7, s10
.LBB47_5:
	s_waitcnt vmcnt(0)
	v_div_scale_f32 v0, s[0:1], v7, v7, v8
	v_div_scale_f32 v3, vcc, v8, v7, v8
	v_rcp_f32_e32 v4, v0
	v_fma_f32 v5, -v0, v4, 1.0
	v_fmac_f32_e32 v4, v5, v4
	v_mul_f32_e32 v5, v3, v4
	v_fma_f32 v6, -v0, v5, v3
	v_fmac_f32_e32 v5, v6, v4
	v_fma_f32 v0, -v0, v5, v3
	v_div_fmas_f32 v0, v0, v4, v5
	v_div_fixup_f32 v0, v0, v7, v8
	global_store_dword v[1:2], v0, off
.LBB47_6:
	s_endpgm
	.section	.rodata,"a",@progbits
	.p2align	6, 0x0
	.amdhsa_kernel _ZL33flash_attn_stream_k_fixup_uniformILi256ELi16ELi1EEvPfPK15HIP_vector_typeIfLj2EEiiiiiiS1_IjLj3EES5_S5_
		.amdhsa_group_segment_fixed_size 0
		.amdhsa_private_segment_fixed_size 0
		.amdhsa_kernarg_size 76
		.amdhsa_user_sgpr_count 6
		.amdhsa_user_sgpr_private_segment_buffer 1
		.amdhsa_user_sgpr_dispatch_ptr 0
		.amdhsa_user_sgpr_queue_ptr 0
		.amdhsa_user_sgpr_kernarg_segment_ptr 1
		.amdhsa_user_sgpr_dispatch_id 0
		.amdhsa_user_sgpr_flat_scratch_init 0
		.amdhsa_user_sgpr_private_segment_size 0
		.amdhsa_uses_dynamic_stack 0
		.amdhsa_system_sgpr_private_segment_wavefront_offset 0
		.amdhsa_system_sgpr_workgroup_id_x 1
		.amdhsa_system_sgpr_workgroup_id_y 1
		.amdhsa_system_sgpr_workgroup_id_z 1
		.amdhsa_system_sgpr_workgroup_info 0
		.amdhsa_system_vgpr_workitem_id 0
		.amdhsa_next_free_vgpr 17
		.amdhsa_next_free_sgpr 20
		.amdhsa_reserve_vcc 1
		.amdhsa_reserve_flat_scratch 0
		.amdhsa_float_round_mode_32 0
		.amdhsa_float_round_mode_16_64 0
		.amdhsa_float_denorm_mode_32 3
		.amdhsa_float_denorm_mode_16_64 3
		.amdhsa_dx10_clamp 1
		.amdhsa_ieee_mode 1
		.amdhsa_fp16_overflow 0
		.amdhsa_exception_fp_ieee_invalid_op 0
		.amdhsa_exception_fp_denorm_src 0
		.amdhsa_exception_fp_ieee_div_zero 0
		.amdhsa_exception_fp_ieee_overflow 0
		.amdhsa_exception_fp_ieee_underflow 0
		.amdhsa_exception_fp_ieee_inexact 0
		.amdhsa_exception_int_div_zero 0
	.end_amdhsa_kernel
	.section	.text._ZL33flash_attn_stream_k_fixup_uniformILi256ELi16ELi1EEvPfPK15HIP_vector_typeIfLj2EEiiiiiiS1_IjLj3EES5_S5_,"axG",@progbits,_ZL33flash_attn_stream_k_fixup_uniformILi256ELi16ELi1EEvPfPK15HIP_vector_typeIfLj2EEiiiiiiS1_IjLj3EES5_S5_,comdat
.Lfunc_end47:
	.size	_ZL33flash_attn_stream_k_fixup_uniformILi256ELi16ELi1EEvPfPK15HIP_vector_typeIfLj2EEiiiiiiS1_IjLj3EES5_S5_, .Lfunc_end47-_ZL33flash_attn_stream_k_fixup_uniformILi256ELi16ELi1EEvPfPK15HIP_vector_typeIfLj2EEiiiiiiS1_IjLj3EES5_S5_
                                        ; -- End function
	.set _ZL33flash_attn_stream_k_fixup_uniformILi256ELi16ELi1EEvPfPK15HIP_vector_typeIfLj2EEiiiiiiS1_IjLj3EES5_S5_.num_vgpr, 17
	.set _ZL33flash_attn_stream_k_fixup_uniformILi256ELi16ELi1EEvPfPK15HIP_vector_typeIfLj2EEiiiiiiS1_IjLj3EES5_S5_.num_agpr, 0
	.set _ZL33flash_attn_stream_k_fixup_uniformILi256ELi16ELi1EEvPfPK15HIP_vector_typeIfLj2EEiiiiiiS1_IjLj3EES5_S5_.numbered_sgpr, 20
	.set _ZL33flash_attn_stream_k_fixup_uniformILi256ELi16ELi1EEvPfPK15HIP_vector_typeIfLj2EEiiiiiiS1_IjLj3EES5_S5_.num_named_barrier, 0
	.set _ZL33flash_attn_stream_k_fixup_uniformILi256ELi16ELi1EEvPfPK15HIP_vector_typeIfLj2EEiiiiiiS1_IjLj3EES5_S5_.private_seg_size, 0
	.set _ZL33flash_attn_stream_k_fixup_uniformILi256ELi16ELi1EEvPfPK15HIP_vector_typeIfLj2EEiiiiiiS1_IjLj3EES5_S5_.uses_vcc, 1
	.set _ZL33flash_attn_stream_k_fixup_uniformILi256ELi16ELi1EEvPfPK15HIP_vector_typeIfLj2EEiiiiiiS1_IjLj3EES5_S5_.uses_flat_scratch, 0
	.set _ZL33flash_attn_stream_k_fixup_uniformILi256ELi16ELi1EEvPfPK15HIP_vector_typeIfLj2EEiiiiiiS1_IjLj3EES5_S5_.has_dyn_sized_stack, 0
	.set _ZL33flash_attn_stream_k_fixup_uniformILi256ELi16ELi1EEvPfPK15HIP_vector_typeIfLj2EEiiiiiiS1_IjLj3EES5_S5_.has_recursion, 0
	.set _ZL33flash_attn_stream_k_fixup_uniformILi256ELi16ELi1EEvPfPK15HIP_vector_typeIfLj2EEiiiiiiS1_IjLj3EES5_S5_.has_indirect_call, 0
	.section	.AMDGPU.csdata,"",@progbits
; Kernel info:
; codeLenInByte = 836
; TotalNumSgprs: 24
; NumVgprs: 17
; ScratchSize: 0
; MemoryBound: 0
; FloatMode: 240
; IeeeMode: 1
; LDSByteSize: 0 bytes/workgroup (compile time only)
; SGPRBlocks: 2
; VGPRBlocks: 4
; NumSGPRsForWavesPerEU: 24
; NumVGPRsForWavesPerEU: 17
; Occupancy: 10
; WaveLimiterHint : 0
; COMPUTE_PGM_RSRC2:SCRATCH_EN: 0
; COMPUTE_PGM_RSRC2:USER_SGPR: 6
; COMPUTE_PGM_RSRC2:TRAP_HANDLER: 0
; COMPUTE_PGM_RSRC2:TGID_X_EN: 1
; COMPUTE_PGM_RSRC2:TGID_Y_EN: 1
; COMPUTE_PGM_RSRC2:TGID_Z_EN: 1
; COMPUTE_PGM_RSRC2:TIDIG_COMP_CNT: 0
	.section	.text._ZL33flash_attn_stream_k_fixup_generalILi256ELi16ELi1EEvPfPK15HIP_vector_typeIfLj2EEiiiiS1_IjLj3EES5_S5_S5_,"axG",@progbits,_ZL33flash_attn_stream_k_fixup_generalILi256ELi16ELi1EEvPfPK15HIP_vector_typeIfLj2EEiiiiS1_IjLj3EES5_S5_S5_,comdat
	.globl	_ZL33flash_attn_stream_k_fixup_generalILi256ELi16ELi1EEvPfPK15HIP_vector_typeIfLj2EEiiiiS1_IjLj3EES5_S5_S5_ ; -- Begin function _ZL33flash_attn_stream_k_fixup_generalILi256ELi16ELi1EEvPfPK15HIP_vector_typeIfLj2EEiiiiS1_IjLj3EES5_S5_S5_
	.p2align	8
	.type	_ZL33flash_attn_stream_k_fixup_generalILi256ELi16ELi1EEvPfPK15HIP_vector_typeIfLj2EEiiiiS1_IjLj3EES5_S5_S5_,@function
_ZL33flash_attn_stream_k_fixup_generalILi256ELi16ELi1EEvPfPK15HIP_vector_typeIfLj2EEiiiiS1_IjLj3EES5_S5_S5_: ; @_ZL33flash_attn_stream_k_fixup_generalILi256ELi16ELi1EEvPfPK15HIP_vector_typeIfLj2EEiiiiS1_IjLj3EES5_S5_S5_
; %bb.0:
	s_load_dwordx4 s[0:3], s[4:5], 0x10
	s_load_dword s22, s[4:5], 0x50
	s_mov_b32 s12, 0
	s_waitcnt lgkmcnt(0)
	s_mul_hi_i32 s13, s3, s6
	s_cmp_lg_u64 s[12:13], 0
	s_mul_i32 s9, s3, s6
	s_cbranch_scc0 .LBB48_20
; %bb.1:
	s_add_u32 s10, s22, 0
	s_addc_u32 s11, 0, 0
	s_xor_b64 s[10:11], s[10:11], 0
	v_cvt_f32_u32_e32 v1, s10
	v_cvt_f32_u32_e32 v2, s11
	s_sub_u32 s12, 0, s10
	s_subb_u32 s18, 0, s11
	v_madmk_f32 v1, v2, 0x4f800000, v1
	v_rcp_f32_e32 v1, v1
	v_mul_f32_e32 v1, 0x5f7ffffc, v1
	v_mul_f32_e32 v2, 0x2f800000, v1
	v_trunc_f32_e32 v2, v2
	v_madmk_f32 v1, v2, 0xcf800000, v1
	v_cvt_u32_f32_e32 v2, v2
	v_cvt_u32_f32_e32 v1, v1
	v_readfirstlane_b32 s19, v2
	v_readfirstlane_b32 s14, v1
	s_mul_i32 s15, s12, s19
	s_mul_hi_u32 s21, s12, s14
	s_mul_i32 s20, s18, s14
	s_add_i32 s15, s21, s15
	s_add_i32 s15, s15, s20
	s_mul_i32 s23, s12, s14
	s_mul_i32 s21, s14, s15
	s_mul_hi_u32 s24, s14, s23
	s_mul_hi_u32 s20, s14, s15
	s_add_u32 s21, s24, s21
	s_addc_u32 s20, 0, s20
	s_mul_hi_u32 s25, s19, s23
	s_mul_i32 s23, s19, s23
	s_add_u32 s21, s21, s23
	s_mul_hi_u32 s24, s19, s15
	s_addc_u32 s20, s20, s25
	s_addc_u32 s21, s24, 0
	s_mul_i32 s15, s19, s15
	s_add_u32 s15, s20, s15
	s_addc_u32 s20, 0, s21
	s_add_u32 s21, s14, s15
	s_cselect_b64 s[14:15], -1, 0
	s_cmp_lg_u64 s[14:15], 0
	s_addc_u32 s19, s19, s20
	s_mul_i32 s14, s12, s19
	s_mul_hi_u32 s15, s12, s21
	s_add_i32 s14, s15, s14
	s_mul_i32 s18, s18, s21
	s_add_i32 s14, s14, s18
	s_mul_i32 s12, s12, s21
	s_mul_hi_u32 s18, s19, s12
	s_mul_i32 s20, s19, s12
	s_mul_i32 s24, s21, s14
	s_mul_hi_u32 s12, s21, s12
	s_mul_hi_u32 s23, s21, s14
	s_add_u32 s12, s12, s24
	s_addc_u32 s23, 0, s23
	s_add_u32 s12, s12, s20
	s_mul_hi_u32 s15, s19, s14
	s_addc_u32 s12, s23, s18
	s_addc_u32 s15, s15, 0
	s_mul_i32 s14, s19, s14
	s_add_u32 s12, s12, s14
	s_addc_u32 s18, 0, s15
	s_add_u32 s20, s21, s12
	s_cselect_b64 s[14:15], -1, 0
	s_cmp_lg_u64 s[14:15], 0
	s_addc_u32 s18, s19, s18
	s_ashr_i32 s14, s13, 31
	s_add_u32 s12, s9, s14
	s_mov_b32 s15, s14
	s_addc_u32 s13, s13, s14
	s_xor_b64 s[12:13], s[12:13], s[14:15]
	s_mul_i32 s21, s12, s18
	s_mul_hi_u32 s23, s12, s20
	s_mul_hi_u32 s19, s12, s18
	s_add_u32 s21, s23, s21
	s_addc_u32 s19, 0, s19
	s_mul_hi_u32 s24, s13, s20
	s_mul_i32 s20, s13, s20
	s_add_u32 s20, s21, s20
	s_mul_hi_u32 s23, s13, s18
	s_addc_u32 s19, s19, s24
	s_addc_u32 s20, s23, 0
	s_mul_i32 s18, s13, s18
	s_add_u32 s23, s19, s18
	s_addc_u32 s24, 0, s20
	s_mul_i32 s18, s10, s24
	s_mul_hi_u32 s19, s10, s23
	s_add_i32 s18, s19, s18
	s_mul_i32 s19, s11, s23
	s_add_i32 s25, s18, s19
	s_sub_i32 s20, s13, s25
	s_mul_i32 s18, s10, s23
	s_sub_u32 s12, s12, s18
	s_cselect_b64 s[18:19], -1, 0
	s_cmp_lg_u64 s[18:19], 0
	s_subb_u32 s26, s20, s11
	s_sub_u32 s27, s12, s10
	s_cselect_b64 s[20:21], -1, 0
	s_cmp_lg_u64 s[20:21], 0
	s_subb_u32 s20, s26, 0
	s_cmp_ge_u32 s20, s11
	s_cselect_b32 s21, -1, 0
	s_cmp_ge_u32 s27, s10
	s_cselect_b32 s26, -1, 0
	s_cmp_eq_u32 s20, s11
	s_cselect_b32 s20, s26, s21
	s_add_u32 s21, s23, 1
	s_addc_u32 s26, s24, 0
	s_add_u32 s27, s23, 2
	s_addc_u32 s28, s24, 0
	s_cmp_lg_u32 s20, 0
	s_cselect_b32 s20, s27, s21
	s_cselect_b32 s21, s28, s26
	s_cmp_lg_u64 s[18:19], 0
	s_subb_u32 s13, s13, s25
	s_cmp_ge_u32 s13, s11
	s_cselect_b32 s18, -1, 0
	s_cmp_ge_u32 s12, s10
	s_cselect_b32 s10, -1, 0
	s_cmp_eq_u32 s13, s11
	s_cselect_b32 s10, s10, s18
	s_cmp_lg_u32 s10, 0
	s_cselect_b32 s11, s21, s24
	s_cselect_b32 s10, s20, s23
	s_xor_b64 s[12:13], s[14:15], 0
	s_xor_b64 s[10:11], s[10:11], s[12:13]
	s_sub_u32 s10, s10, s12
	s_load_dwordx4 s[12:15], s[4:5], 0x44
	s_cbranch_execnz .LBB48_3
.LBB48_2:
	v_cvt_f32_u32_e32 v1, s22
	s_sub_i32 s10, 0, s22
	v_rcp_iflag_f32_e32 v1, v1
	v_mul_f32_e32 v1, 0x4f7ffffe, v1
	v_cvt_u32_f32_e32 v1, v1
	v_readfirstlane_b32 s11, v1
	s_mul_i32 s10, s10, s11
	s_mul_hi_u32 s10, s11, s10
	s_add_i32 s11, s11, s10
	s_mul_hi_u32 s10, s9, s11
	s_waitcnt lgkmcnt(0)
	s_mul_i32 s15, s10, s22
	s_sub_i32 s9, s9, s15
	s_add_i32 s11, s10, 1
	s_sub_i32 s15, s9, s22
	s_cmp_ge_u32 s9, s22
	s_cselect_b32 s10, s11, s10
	s_cselect_b32 s9, s15, s9
	s_add_i32 s11, s10, 1
	s_cmp_ge_u32 s9, s22
	s_cselect_b32 s10, s11, s10
.LBB48_3:
	s_add_i32 s9, s6, 1
	s_mul_hi_i32 s21, s3, s9
	s_mov_b32 s20, 0
	s_cmp_lg_u64 s[20:21], 0
	s_mul_i32 s9, s3, s9
	s_cbranch_scc0 .LBB48_21
; %bb.4:
	s_add_u32 s16, s22, 0
	s_addc_u32 s17, 0, 0
	s_xor_b64 s[18:19], s[16:17], 0
	v_cvt_f32_u32_e32 v1, s18
	v_cvt_f32_u32_e32 v2, s19
	s_sub_u32 s11, 0, s18
	s_waitcnt lgkmcnt(0)
	s_subb_u32 s15, 0, s19
	v_madmk_f32 v1, v2, 0x4f800000, v1
	v_rcp_f32_e32 v1, v1
	v_mul_f32_e32 v1, 0x5f7ffffc, v1
	v_mul_f32_e32 v2, 0x2f800000, v1
	v_trunc_f32_e32 v2, v2
	v_madmk_f32 v1, v2, 0xcf800000, v1
	v_cvt_u32_f32_e32 v2, v2
	v_cvt_u32_f32_e32 v1, v1
	v_readfirstlane_b32 s20, v2
	v_readfirstlane_b32 s23, v1
	s_mul_i32 s24, s11, s20
	s_mul_hi_u32 s26, s11, s23
	s_mul_i32 s25, s15, s23
	s_add_i32 s24, s26, s24
	s_add_i32 s24, s24, s25
	s_mul_i32 s27, s11, s23
	s_mul_i32 s26, s23, s24
	s_mul_hi_u32 s28, s23, s27
	s_mul_hi_u32 s25, s23, s24
	s_add_u32 s26, s28, s26
	s_addc_u32 s25, 0, s25
	s_mul_hi_u32 s29, s20, s27
	s_mul_i32 s27, s20, s27
	s_add_u32 s26, s26, s27
	s_mul_hi_u32 s28, s20, s24
	s_addc_u32 s25, s25, s29
	s_addc_u32 s26, s28, 0
	s_mul_i32 s24, s20, s24
	s_add_u32 s24, s25, s24
	s_addc_u32 s26, 0, s26
	s_add_u32 s23, s23, s24
	s_cselect_b64 s[24:25], -1, 0
	s_cmp_lg_u64 s[24:25], 0
	s_addc_u32 s20, s20, s26
	s_mul_i32 s24, s11, s20
	s_mul_hi_u32 s25, s11, s23
	s_add_i32 s24, s25, s24
	s_mul_i32 s15, s15, s23
	s_add_i32 s24, s24, s15
	s_mul_i32 s11, s11, s23
	s_mul_hi_u32 s25, s20, s11
	s_mul_i32 s26, s20, s11
	s_mul_i32 s28, s23, s24
	s_mul_hi_u32 s11, s23, s11
	s_mul_hi_u32 s27, s23, s24
	s_add_u32 s11, s11, s28
	s_addc_u32 s27, 0, s27
	s_add_u32 s11, s11, s26
	s_mul_hi_u32 s15, s20, s24
	s_addc_u32 s11, s27, s25
	s_addc_u32 s15, s15, 0
	s_mul_i32 s24, s20, s24
	s_add_u32 s11, s11, s24
	s_addc_u32 s15, 0, s15
	s_add_u32 s11, s23, s11
	s_cselect_b64 s[24:25], -1, 0
	s_cmp_lg_u64 s[24:25], 0
	s_addc_u32 s15, s20, s15
	s_ashr_i32 s24, s21, 31
	s_add_u32 s20, s9, s24
	s_mov_b32 s25, s24
	s_addc_u32 s21, s21, s24
	s_xor_b64 s[20:21], s[20:21], s[24:25]
	s_mul_i32 s26, s20, s15
	s_mul_hi_u32 s27, s20, s11
	s_mul_hi_u32 s23, s20, s15
	s_add_u32 s26, s27, s26
	s_addc_u32 s23, 0, s23
	s_mul_hi_u32 s28, s21, s11
	s_mul_i32 s11, s21, s11
	s_add_u32 s11, s26, s11
	s_mul_hi_u32 s27, s21, s15
	s_addc_u32 s11, s23, s28
	s_addc_u32 s23, s27, 0
	s_mul_i32 s15, s21, s15
	s_add_u32 s11, s11, s15
	s_addc_u32 s15, 0, s23
	s_mul_i32 s23, s18, s15
	s_mul_hi_u32 s26, s18, s11
	s_add_i32 s23, s26, s23
	s_mul_i32 s26, s19, s11
	s_add_i32 s23, s23, s26
	s_sub_i32 s28, s21, s23
	s_mul_i32 s26, s18, s11
	s_sub_u32 s20, s20, s26
	s_cselect_b64 s[26:27], -1, 0
	s_cmp_lg_u64 s[26:27], 0
	s_subb_u32 s30, s28, s19
	s_sub_u32 s31, s20, s18
	s_cselect_b64 s[28:29], -1, 0
	s_cmp_lg_u64 s[28:29], 0
	s_subb_u32 s28, s30, 0
	s_cmp_ge_u32 s28, s19
	s_cselect_b32 s29, -1, 0
	s_cmp_ge_u32 s31, s18
	s_cselect_b32 s30, -1, 0
	s_cmp_eq_u32 s28, s19
	s_cselect_b32 s28, s30, s29
	s_add_u32 s29, s11, 1
	s_addc_u32 s30, s15, 0
	s_add_u32 s31, s11, 2
	s_addc_u32 s33, s15, 0
	s_cmp_lg_u32 s28, 0
	s_cselect_b32 s28, s31, s29
	s_cselect_b32 s29, s33, s30
	s_cmp_lg_u64 s[26:27], 0
	s_subb_u32 s21, s21, s23
	s_cmp_ge_u32 s21, s19
	s_cselect_b32 s23, -1, 0
	s_cmp_ge_u32 s20, s18
	s_cselect_b32 s18, -1, 0
	s_cmp_eq_u32 s21, s19
	s_cselect_b32 s18, s18, s23
	s_cmp_lg_u32 s18, 0
	s_cselect_b32 s19, s29, s15
	s_cselect_b32 s18, s28, s11
	s_xor_b64 s[20:21], s[24:25], 0
	s_xor_b64 s[18:19], s[18:19], s[20:21]
	s_sub_u32 s18, s18, s20
	s_cbranch_execnz .LBB48_6
.LBB48_5:
	v_cvt_f32_u32_e32 v1, s22
	s_sub_i32 s11, 0, s22
	v_rcp_iflag_f32_e32 v1, v1
	v_mul_f32_e32 v1, 0x4f7ffffe, v1
	v_cvt_u32_f32_e32 v1, v1
	s_waitcnt lgkmcnt(0)
	v_readfirstlane_b32 s15, v1
	s_mul_i32 s11, s11, s15
	s_mul_hi_u32 s11, s15, s11
	s_add_i32 s15, s15, s11
	s_mul_hi_u32 s11, s9, s15
	s_mul_i32 s16, s11, s22
	s_sub_i32 s9, s9, s16
	s_add_i32 s15, s11, 1
	s_sub_i32 s16, s9, s22
	s_cmp_ge_u32 s9, s22
	s_cselect_b32 s11, s15, s11
	s_cselect_b32 s9, s16, s9
	s_add_i32 s15, s11, 1
	s_cmp_ge_u32 s9, s22
	s_cselect_b32 s18, s15, s11
.LBB48_6:
	s_cmp_eq_u32 s10, s18
	s_waitcnt lgkmcnt(0)
	s_mul_hi_u32 s9, s10, s12
	s_cselect_b64 s[16:17], -1, 0
	s_add_i32 s9, s9, s10
	s_lshr_b32 s11, s9, s13
	s_mul_i32 s9, s11, s14
	s_cmp_eq_u32 s9, s10
	s_mul_hi_u32 s9, s18, s12
	s_cselect_b64 s[20:21], -1, 0
	s_add_i32 s9, s9, s18
	s_lshr_b32 s9, s9, s13
	s_cmp_eq_u32 s11, s9
	s_mul_i32 s9, s9, s14
	s_cselect_b64 s[24:25], -1, 0
	s_cmp_lg_u32 s9, s18
	s_cselect_b64 s[18:19], -1, 0
	s_and_b64 s[18:19], s[24:25], s[18:19]
	s_or_b64 s[16:17], s[16:17], s[20:21]
	s_or_b64 s[16:17], s[16:17], s[18:19]
	s_and_b64 vcc, exec, s[16:17]
	s_cbranch_vccnz .LBB48_23
; %bb.7:
	s_load_dwordx8 s[24:31], s[4:5], 0x20
	s_load_dword s15, s[4:5], 0x40
	s_waitcnt lgkmcnt(0)
	s_mul_hi_u32 s9, s10, s24
	s_add_i32 s9, s9, s10
	s_lshr_b32 s9, s9, s25
	s_mul_i32 s16, s9, s26
	s_sub_i32 s16, s10, s16
	s_mul_hi_u32 s17, s16, s27
	s_add_i32 s17, s16, s17
	s_lshr_b32 s24, s17, s28
	s_mul_i32 s17, s24, s29
	s_sub_i32 s16, s16, s17
	;; [unrolled: 5-line block ×3, first 2 shown]
	s_mul_hi_u32 s16, s15, s12
	s_add_i32 s15, s15, s16
	s_lshr_b32 s25, s15, s13
	s_lshl_b32 s15, s25, 4
	s_add_i32 s15, s15, s7
	s_cmp_lt_i32 s15, s0
	s_cselect_b64 s[16:17], -1, 0
	s_add_i32 s15, s23, s8
	s_cmp_lt_i32 s15, s2
	s_cselect_b64 s[18:19], -1, 0
	s_and_b64 s[16:17], s[16:17], s[18:19]
	s_andn2_b64 vcc, exec, s[16:17]
	s_cbranch_vccnz .LBB48_23
; %bb.8:
	s_load_dwordx4 s[16:19], s[4:5], 0x0
	s_mov_b32 s4, 0
	s_lshl_b32 s20, s22, 6
	s_mov_b32 s21, s4
	s_add_i32 s15, s7, s8
	s_lshl_b64 s[20:21], s[20:21], 2
	s_waitcnt lgkmcnt(0)
	s_add_u32 s20, s18, s20
	s_mul_i32 s0, s9, s0
	s_addc_u32 s21, s19, s21
	s_add_i32 s0, s0, s7
	s_mul_i32 s0, s0, s1
	s_mul_i32 s24, s24, s2
	s_add_i32 s0, s0, s8
	s_add_i32 s0, s0, s24
	s_mul_i32 s2, s1, s25
	s_add_i32 s0, s0, s23
	s_lshl_b32 s2, s2, 12
	s_lshl_b32 s0, s0, 8
	s_add_i32 s2, s2, s0
	v_or_b32_e32 v1, s2, v0
	v_ashrrev_i32_e32 v2, 31, v1
	v_lshlrev_b64 v[1:2], 2, v[1:2]
	v_mov_b32_e32 v3, s17
	v_add_co_u32_e32 v1, vcc, s16, v1
	v_addc_co_u32_e32 v2, vcc, v3, v2, vcc
	global_load_dword v3, v[1:2], off
	v_cvt_f32_u32_e32 v4, s22
	s_lshl_b32 s0, s6, 4
	s_add_i32 s0, s0, s15
	s_ashr_i32 s1, s0, 31
	s_lshl_b64 s[0:1], s[0:1], 3
	v_rcp_iflag_f32_e32 v4, v4
	s_add_u32 s0, s18, s0
	s_addc_u32 s1, s19, s1
	s_load_dwordx2 s[0:1], s[0:1], 0x0
	v_mul_f32_e32 v4, 0x4f7ffffe, v4
	v_cvt_u32_f32_e32 v4, v4
	s_add_i32 s24, s6, -1
	v_lshl_or_b32 v0, s15, 8, v0
	s_waitcnt lgkmcnt(0)
	v_mov_b32_e32 v6, s1
	v_mov_b32_e32 v7, s0
	s_mov_b32 s2, 0x3fb8aa3b
	s_mov_b32 s16, 0xc2ce8ed0
	s_mov_b32 s17, 0x42b17218
	s_mov_b32 s23, 0xc1a00000
	v_mov_b32_e32 v5, 0x7f800000
	s_mul_hi_i32 s5, s24, s3
	s_cmp_lg_u64 s[4:5], 0
	s_mul_i32 s8, s24, s3
	s_cbranch_scc0 .LBB48_19
.LBB48_9:
	s_add_u32 s0, s22, 0
	s_addc_u32 s1, 0, 0
	s_xor_b64 s[0:1], s[0:1], 0
	v_cvt_f32_u32_e32 v8, s0
	v_cvt_f32_u32_e32 v9, s1
	s_sub_u32 s9, 0, s0
	s_subb_u32 s25, 0, s1
	v_mac_f32_e32 v8, 0x4f800000, v9
	v_rcp_f32_e32 v8, v8
	v_mul_f32_e32 v8, 0x5f7ffffc, v8
	v_mul_f32_e32 v9, 0x2f800000, v8
	v_trunc_f32_e32 v9, v9
	v_mac_f32_e32 v8, 0xcf800000, v9
	v_cvt_u32_f32_e32 v9, v9
	v_cvt_u32_f32_e32 v8, v8
	v_readfirstlane_b32 s26, v9
	v_readfirstlane_b32 s6, v8
	s_mul_i32 s7, s9, s26
	s_mul_hi_u32 s28, s9, s6
	s_mul_i32 s27, s25, s6
	s_add_i32 s7, s28, s7
	s_mul_i32 s29, s9, s6
	s_add_i32 s7, s7, s27
	s_mul_i32 s28, s6, s7
	s_mul_hi_u32 s30, s6, s29
	s_mul_hi_u32 s27, s6, s7
	s_add_u32 s28, s30, s28
	s_addc_u32 s27, 0, s27
	s_mul_hi_u32 s31, s26, s29
	s_mul_i32 s29, s26, s29
	s_add_u32 s28, s28, s29
	s_mul_hi_u32 s30, s26, s7
	s_addc_u32 s27, s27, s31
	s_addc_u32 s28, s30, 0
	s_mul_i32 s7, s26, s7
	s_add_u32 s7, s27, s7
	s_addc_u32 s27, 0, s28
	s_add_u32 s28, s6, s7
	s_cselect_b64 s[6:7], -1, 0
	s_cmp_lg_u64 s[6:7], 0
	s_addc_u32 s26, s26, s27
	s_mul_i32 s6, s9, s26
	s_mul_hi_u32 s7, s9, s28
	s_add_i32 s6, s7, s6
	s_mul_i32 s25, s25, s28
	s_add_i32 s6, s6, s25
	s_mul_i32 s9, s9, s28
	s_mul_hi_u32 s25, s26, s9
	s_mul_i32 s27, s26, s9
	s_mul_i32 s30, s28, s6
	s_mul_hi_u32 s9, s28, s9
	s_mul_hi_u32 s29, s28, s6
	s_add_u32 s9, s9, s30
	s_addc_u32 s29, 0, s29
	s_add_u32 s9, s9, s27
	s_mul_hi_u32 s7, s26, s6
	s_addc_u32 s9, s29, s25
	s_addc_u32 s7, s7, 0
	s_mul_i32 s6, s26, s6
	s_add_u32 s6, s9, s6
	s_addc_u32 s9, 0, s7
	s_add_u32 s25, s28, s6
	s_cselect_b64 s[6:7], -1, 0
	s_cmp_lg_u64 s[6:7], 0
	s_addc_u32 s9, s26, s9
	s_ashr_i32 s6, s5, 31
	s_add_u32 s26, s8, s6
	s_mov_b32 s7, s6
	s_addc_u32 s27, s5, s6
	s_xor_b64 s[26:27], s[26:27], s[6:7]
	s_mul_i32 s28, s26, s9
	s_mul_hi_u32 s29, s26, s25
	s_mul_hi_u32 s5, s26, s9
	s_add_u32 s28, s29, s28
	s_addc_u32 s5, 0, s5
	s_mul_hi_u32 s30, s27, s25
	s_mul_i32 s25, s27, s25
	s_add_u32 s25, s28, s25
	s_mul_hi_u32 s29, s27, s9
	s_addc_u32 s5, s5, s30
	s_addc_u32 s25, s29, 0
	s_mul_i32 s9, s27, s9
	s_add_u32 s5, s5, s9
	s_addc_u32 s9, 0, s25
	s_mul_i32 s25, s0, s9
	s_mul_hi_u32 s28, s0, s5
	s_add_i32 s25, s28, s25
	s_mul_i32 s28, s1, s5
	s_add_i32 s25, s25, s28
	s_sub_i32 s30, s27, s25
	s_mul_i32 s28, s0, s5
	s_sub_u32 s26, s26, s28
	s_cselect_b64 s[28:29], -1, 0
	s_cmp_lg_u64 s[28:29], 0
	s_subb_u32 s33, s30, s1
	s_sub_u32 s34, s26, s0
	s_cselect_b64 s[30:31], -1, 0
	s_cmp_lg_u64 s[30:31], 0
	s_subb_u32 s30, s33, 0
	s_cmp_ge_u32 s30, s1
	s_cselect_b32 s31, -1, 0
	s_cmp_ge_u32 s34, s0
	s_cselect_b32 s33, -1, 0
	s_cmp_eq_u32 s30, s1
	s_cselect_b32 s30, s33, s31
	s_add_u32 s31, s5, 1
	s_addc_u32 s33, s9, 0
	s_add_u32 s34, s5, 2
	s_addc_u32 s35, s9, 0
	s_cmp_lg_u32 s30, 0
	s_cselect_b32 s30, s34, s31
	s_cselect_b32 s31, s35, s33
	s_cmp_lg_u64 s[28:29], 0
	s_subb_u32 s25, s27, s25
	s_cmp_ge_u32 s25, s1
	s_cselect_b32 s27, -1, 0
	s_cmp_ge_u32 s26, s0
	s_cselect_b32 s0, -1, 0
	s_cmp_eq_u32 s25, s1
	s_cselect_b32 s0, s0, s27
	s_cmp_lg_u32 s0, 0
	s_cselect_b32 s1, s31, s9
	s_cselect_b32 s0, s30, s5
	s_xor_b64 s[6:7], s[6:7], 0
	s_xor_b64 s[0:1], s[0:1], s[6:7]
	s_sub_u32 s6, s0, s6
	s_cbranch_execnz .LBB48_11
.LBB48_10:
	s_sub_i32 s0, 0, s22
	v_readfirstlane_b32 s1, v4
	s_mul_i32 s0, s0, s1
	s_mul_hi_u32 s0, s1, s0
	s_add_i32 s1, s1, s0
	s_mul_hi_u32 s0, s8, s1
	s_mul_i32 s5, s0, s22
	s_sub_i32 s5, s8, s5
	s_add_i32 s1, s0, 1
	s_sub_i32 s6, s5, s22
	s_cmp_ge_u32 s5, s22
	s_cselect_b32 s0, s1, s0
	s_cselect_b32 s5, s6, s5
	s_add_i32 s1, s0, 1
	s_cmp_ge_u32 s5, s22
	s_cselect_b32 s6, s1, s0
.LBB48_11:
	s_cmp_lg_u32 s10, s6
	s_mov_b64 s[8:9], -1
                                        ; implicit-def: $sgpr0_sgpr1
                                        ; implicit-def: $vgpr10
                                        ; implicit-def: $vgpr8
                                        ; implicit-def: $vgpr9
                                        ; implicit-def: $sgpr5
                                        ; implicit-def: $sgpr7
	s_cbranch_scc1 .LBB48_14
; %bb.12:
	s_andn2_b64 vcc, exec, s[8:9]
	s_cbranch_vccz .LBB48_17
.LBB48_13:
	s_andn2_b64 vcc, exec, s[0:1]
	s_cbranch_vccnz .LBB48_18
	s_branch .LBB48_22
.LBB48_14:
	s_add_i32 s0, s24, s22
	s_lshl_b32 s0, s0, 4
	s_add_i32 s0, s0, s15
	s_mov_b32 s1, s4
	s_lshl_b64 s[0:1], s[0:1], 3
	s_add_u32 s8, s18, s0
	s_mul_hi_u32 s0, s6, s12
	s_addc_u32 s9, s19, s1
	s_add_i32 s0, s0, s6
	s_lshr_b32 s5, s0, s13
	s_mul_i32 s0, s5, s14
	s_cmp_eq_u32 s0, s6
	s_cselect_b64 s[0:1], -1, 0
	s_cmp_lt_u32 s5, s11
	s_cselect_b64 s[26:27], -1, 0
	s_or_b64 s[26:27], s[26:27], s[0:1]
	s_mov_b64 s[0:1], -1
	s_and_b64 vcc, exec, s[26:27]
	s_mov_b32 s5, s24
	s_mov_b32 s7, s10
	s_cbranch_vccnz .LBB48_16
; %bb.15:
	s_add_i32 s5, s24, -1
	s_mov_b64 s[0:1], 0
	s_mov_b32 s7, s6
.LBB48_16:
	v_lshl_add_u32 v8, s24, 12, v0
	v_ashrrev_i32_e32 v9, 31, v8
	v_lshlrev_b64 v[8:9], 2, v[8:9]
	v_mov_b32_e32 v10, s21
	v_add_co_u32_e32 v8, vcc, s20, v8
	v_addc_co_u32_e32 v9, vcc, v10, v9, vcc
	global_load_dword v10, v[8:9], off
	s_load_dwordx2 s[8:9], s[8:9], 0x0
	v_max_f32_e32 v8, v7, v7
	s_waitcnt lgkmcnt(0)
	v_max_f32_e64 v9, s8, s8
	v_max_f32_e32 v8, v8, v9
	v_sub_f32_e32 v9, v7, v8
	v_sub_f32_e32 v11, s8, v8
	v_mul_f32_e32 v12, 0x3fb8aa3b, v9
	v_mul_f32_e32 v13, 0x3fb8aa3b, v11
	v_fma_f32 v14, v9, s2, -v12
	v_rndne_f32_e32 v15, v12
	v_fma_f32 v16, v11, s2, -v13
	v_rndne_f32_e32 v17, v13
	v_fmac_f32_e32 v14, 0x32a5705f, v9
	v_sub_f32_e32 v12, v12, v15
	v_fmac_f32_e32 v16, 0x32a5705f, v11
	v_sub_f32_e32 v13, v13, v17
	v_add_f32_e32 v12, v12, v14
	v_cvt_i32_f32_e32 v15, v15
	v_add_f32_e32 v13, v13, v16
	v_exp_f32_e32 v12, v12
	v_cvt_i32_f32_e32 v17, v17
	v_exp_f32_e32 v13, v13
	v_cmp_ngt_f32_e32 vcc, s16, v9
	v_ldexp_f32 v12, v12, v15
	v_cndmask_b32_e32 v12, 0, v12, vcc
	v_ldexp_f32 v13, v13, v17
	v_cmp_ngt_f32_e32 vcc, s16, v11
	v_cndmask_b32_e32 v13, 0, v13, vcc
	v_cmp_nlt_f32_e32 vcc, s17, v9
	v_cndmask_b32_e32 v12, v5, v12, vcc
	v_cmp_nlt_f32_e32 vcc, s17, v11
	v_cndmask_b32_e32 v13, v5, v13, vcc
	v_cmp_le_f32_e32 vcc, s23, v9
	v_cndmask_b32_e32 v12, 0, v12, vcc
	v_cmp_le_f32_e32 vcc, s23, v11
	v_cndmask_b32_e32 v11, 0, v13, vcc
	v_mul_f32_e32 v9, s9, v11
	v_fmac_f32_e32 v9, v6, v12
	s_waitcnt vmcnt(0)
	v_mul_f32_e32 v10, v10, v11
	v_fmac_f32_e32 v10, v3, v12
	s_cbranch_execnz .LBB48_13
.LBB48_17:
	s_add_i32 s5, s24, -1
	s_mov_b32 s7, s10
	v_mov_b32_e32 v9, v6
	v_mov_b32_e32 v8, v7
	s_waitcnt vmcnt(0)
	v_mov_b32_e32 v10, v3
	s_cbranch_execz .LBB48_22
.LBB48_18:
	s_mov_b32 s10, s7
	s_mov_b32 s24, s5
	v_mov_b32_e32 v6, v9
	v_mov_b32_e32 v7, v8
	s_waitcnt vmcnt(0)
	v_mov_b32_e32 v3, v10
	s_mul_hi_i32 s5, s24, s3
	s_cmp_lg_u64 s[4:5], 0
	s_mul_i32 s8, s24, s3
	s_cbranch_scc1 .LBB48_9
.LBB48_19:
                                        ; implicit-def: $sgpr6_sgpr7
	s_branch .LBB48_10
.LBB48_20:
                                        ; implicit-def: $sgpr10_sgpr11
	s_load_dwordx4 s[12:15], s[4:5], 0x44
	s_branch .LBB48_2
.LBB48_21:
                                        ; implicit-def: $sgpr18_sgpr19
	s_branch .LBB48_5
.LBB48_22:
	v_div_scale_f32 v0, s[0:1], v9, v9, v10
	s_waitcnt vmcnt(0)
	v_div_scale_f32 v3, vcc, v10, v9, v10
	v_rcp_f32_e32 v4, v0
	v_fma_f32 v5, -v0, v4, 1.0
	v_fmac_f32_e32 v4, v5, v4
	v_mul_f32_e32 v5, v3, v4
	v_fma_f32 v6, -v0, v5, v3
	v_fmac_f32_e32 v5, v6, v4
	v_fma_f32 v0, -v0, v5, v3
	v_div_fmas_f32 v0, v0, v4, v5
	v_div_fixup_f32 v0, v0, v9, v10
	global_store_dword v[1:2], v0, off
.LBB48_23:
	s_endpgm
	.section	.rodata,"a",@progbits
	.p2align	6, 0x0
	.amdhsa_kernel _ZL33flash_attn_stream_k_fixup_generalILi256ELi16ELi1EEvPfPK15HIP_vector_typeIfLj2EEiiiiS1_IjLj3EES5_S5_S5_
		.amdhsa_group_segment_fixed_size 0
		.amdhsa_private_segment_fixed_size 0
		.amdhsa_kernarg_size 336
		.amdhsa_user_sgpr_count 6
		.amdhsa_user_sgpr_private_segment_buffer 1
		.amdhsa_user_sgpr_dispatch_ptr 0
		.amdhsa_user_sgpr_queue_ptr 0
		.amdhsa_user_sgpr_kernarg_segment_ptr 1
		.amdhsa_user_sgpr_dispatch_id 0
		.amdhsa_user_sgpr_flat_scratch_init 0
		.amdhsa_user_sgpr_private_segment_size 0
		.amdhsa_uses_dynamic_stack 0
		.amdhsa_system_sgpr_private_segment_wavefront_offset 0
		.amdhsa_system_sgpr_workgroup_id_x 1
		.amdhsa_system_sgpr_workgroup_id_y 1
		.amdhsa_system_sgpr_workgroup_id_z 1
		.amdhsa_system_sgpr_workgroup_info 0
		.amdhsa_system_vgpr_workitem_id 0
		.amdhsa_next_free_vgpr 18
		.amdhsa_next_free_sgpr 36
		.amdhsa_reserve_vcc 1
		.amdhsa_reserve_flat_scratch 0
		.amdhsa_float_round_mode_32 0
		.amdhsa_float_round_mode_16_64 0
		.amdhsa_float_denorm_mode_32 3
		.amdhsa_float_denorm_mode_16_64 3
		.amdhsa_dx10_clamp 1
		.amdhsa_ieee_mode 1
		.amdhsa_fp16_overflow 0
		.amdhsa_exception_fp_ieee_invalid_op 0
		.amdhsa_exception_fp_denorm_src 0
		.amdhsa_exception_fp_ieee_div_zero 0
		.amdhsa_exception_fp_ieee_overflow 0
		.amdhsa_exception_fp_ieee_underflow 0
		.amdhsa_exception_fp_ieee_inexact 0
		.amdhsa_exception_int_div_zero 0
	.end_amdhsa_kernel
	.section	.text._ZL33flash_attn_stream_k_fixup_generalILi256ELi16ELi1EEvPfPK15HIP_vector_typeIfLj2EEiiiiS1_IjLj3EES5_S5_S5_,"axG",@progbits,_ZL33flash_attn_stream_k_fixup_generalILi256ELi16ELi1EEvPfPK15HIP_vector_typeIfLj2EEiiiiS1_IjLj3EES5_S5_S5_,comdat
.Lfunc_end48:
	.size	_ZL33flash_attn_stream_k_fixup_generalILi256ELi16ELi1EEvPfPK15HIP_vector_typeIfLj2EEiiiiS1_IjLj3EES5_S5_S5_, .Lfunc_end48-_ZL33flash_attn_stream_k_fixup_generalILi256ELi16ELi1EEvPfPK15HIP_vector_typeIfLj2EEiiiiS1_IjLj3EES5_S5_S5_
                                        ; -- End function
	.set _ZL33flash_attn_stream_k_fixup_generalILi256ELi16ELi1EEvPfPK15HIP_vector_typeIfLj2EEiiiiS1_IjLj3EES5_S5_S5_.num_vgpr, 18
	.set _ZL33flash_attn_stream_k_fixup_generalILi256ELi16ELi1EEvPfPK15HIP_vector_typeIfLj2EEiiiiS1_IjLj3EES5_S5_S5_.num_agpr, 0
	.set _ZL33flash_attn_stream_k_fixup_generalILi256ELi16ELi1EEvPfPK15HIP_vector_typeIfLj2EEiiiiS1_IjLj3EES5_S5_S5_.numbered_sgpr, 36
	.set _ZL33flash_attn_stream_k_fixup_generalILi256ELi16ELi1EEvPfPK15HIP_vector_typeIfLj2EEiiiiS1_IjLj3EES5_S5_S5_.num_named_barrier, 0
	.set _ZL33flash_attn_stream_k_fixup_generalILi256ELi16ELi1EEvPfPK15HIP_vector_typeIfLj2EEiiiiS1_IjLj3EES5_S5_S5_.private_seg_size, 0
	.set _ZL33flash_attn_stream_k_fixup_generalILi256ELi16ELi1EEvPfPK15HIP_vector_typeIfLj2EEiiiiS1_IjLj3EES5_S5_S5_.uses_vcc, 1
	.set _ZL33flash_attn_stream_k_fixup_generalILi256ELi16ELi1EEvPfPK15HIP_vector_typeIfLj2EEiiiiS1_IjLj3EES5_S5_S5_.uses_flat_scratch, 0
	.set _ZL33flash_attn_stream_k_fixup_generalILi256ELi16ELi1EEvPfPK15HIP_vector_typeIfLj2EEiiiiS1_IjLj3EES5_S5_S5_.has_dyn_sized_stack, 0
	.set _ZL33flash_attn_stream_k_fixup_generalILi256ELi16ELi1EEvPfPK15HIP_vector_typeIfLj2EEiiiiS1_IjLj3EES5_S5_S5_.has_recursion, 0
	.set _ZL33flash_attn_stream_k_fixup_generalILi256ELi16ELi1EEvPfPK15HIP_vector_typeIfLj2EEiiiiS1_IjLj3EES5_S5_S5_.has_indirect_call, 0
	.section	.AMDGPU.csdata,"",@progbits
; Kernel info:
; codeLenInByte = 2932
; TotalNumSgprs: 40
; NumVgprs: 18
; ScratchSize: 0
; MemoryBound: 0
; FloatMode: 240
; IeeeMode: 1
; LDSByteSize: 0 bytes/workgroup (compile time only)
; SGPRBlocks: 4
; VGPRBlocks: 4
; NumSGPRsForWavesPerEU: 40
; NumVGPRsForWavesPerEU: 18
; Occupancy: 10
; WaveLimiterHint : 0
; COMPUTE_PGM_RSRC2:SCRATCH_EN: 0
; COMPUTE_PGM_RSRC2:USER_SGPR: 6
; COMPUTE_PGM_RSRC2:TRAP_HANDLER: 0
; COMPUTE_PGM_RSRC2:TGID_X_EN: 1
; COMPUTE_PGM_RSRC2:TGID_Y_EN: 1
; COMPUTE_PGM_RSRC2:TGID_Z_EN: 1
; COMPUTE_PGM_RSRC2:TIDIG_COMP_CNT: 0
	.section	.text._ZL15flash_attn_tileILi256ELi256ELi8ELi1ELb0EEvPKcS1_S1_S1_S1_PKiPfP15HIP_vector_typeIfLj2EEffffjfiS5_IjLj3EEiiiiiiiiiiiliiliiiiil,"axG",@progbits,_ZL15flash_attn_tileILi256ELi256ELi8ELi1ELb0EEvPKcS1_S1_S1_S1_PKiPfP15HIP_vector_typeIfLj2EEffffjfiS5_IjLj3EEiiiiiiiiiiiliiliiiiil,comdat
	.globl	_ZL15flash_attn_tileILi256ELi256ELi8ELi1ELb0EEvPKcS1_S1_S1_S1_PKiPfP15HIP_vector_typeIfLj2EEffffjfiS5_IjLj3EEiiiiiiiiiiiliiliiiiil ; -- Begin function _ZL15flash_attn_tileILi256ELi256ELi8ELi1ELb0EEvPKcS1_S1_S1_S1_PKiPfP15HIP_vector_typeIfLj2EEffffjfiS5_IjLj3EEiiiiiiiiiiiliiliiiiil
	.p2align	8
	.type	_ZL15flash_attn_tileILi256ELi256ELi8ELi1ELb0EEvPKcS1_S1_S1_S1_PKiPfP15HIP_vector_typeIfLj2EEffffjfiS5_IjLj3EEiiiiiiiiiiiliiliiiiil,@function
_ZL15flash_attn_tileILi256ELi256ELi8ELi1ELb0EEvPKcS1_S1_S1_S1_PKiPfP15HIP_vector_typeIfLj2EEffffjfiS5_IjLj3EEiiiiiiiiiiiliiliiiiil: ; @_ZL15flash_attn_tileILi256ELi256ELi8ELi1ELb0EEvPKcS1_S1_S1_S1_PKiPfP15HIP_vector_typeIfLj2EEffffjfiS5_IjLj3EEiiiiiiiiiiiliiliiiiil
; %bb.0:
	s_load_dwordx4 s[28:31], s[4:5], 0x5c
	s_load_dwordx2 s[42:43], s[4:5], 0x80
	s_add_u32 flat_scratch_lo, s6, s11
	s_addc_u32 flat_scratch_hi, s7, 0
	s_add_u32 s0, s0, s11
	s_waitcnt lgkmcnt(0)
	v_cvt_f32_u32_e32 v2, s31
	s_addc_u32 s1, s1, 0
	s_sub_i32 s6, 0, s31
	s_load_dwordx2 s[44:45], s[4:5], 0xb8
	v_rcp_iflag_f32_e32 v2, v2
	s_mov_b64 s[40:41], 0
	v_mul_f32_e32 v2, 0x4f7ffffe, v2
	v_cvt_u32_f32_e32 v2, v2
	v_readfirstlane_b32 s7, v2
	s_mul_i32 s6, s6, s7
	s_mul_hi_u32 s6, s7, s6
	s_add_i32 s7, s7, s6
	s_mul_hi_u32 s6, s10, s7
	s_mul_i32 s7, s6, s31
	s_sub_i32 s7, s10, s7
	s_add_i32 s11, s6, 1
	s_sub_i32 s12, s7, s31
	s_cmp_ge_u32 s7, s31
	s_cselect_b32 s6, s11, s6
	s_cselect_b32 s7, s12, s7
	s_add_i32 s11, s6, 1
	s_cmp_ge_u32 s7, s31
	s_cselect_b32 s33, s11, s6
	s_abs_i32 s6, s43
	v_cvt_f32_u32_e32 v2, s6
	s_mul_i32 s12, s33, s31
	s_sub_i32 s13, 0, s6
	s_sub_i32 s34, s10, s12
	v_rcp_iflag_f32_e32 v2, v2
	s_abs_i32 s11, s31
	s_xor_b32 s7, s31, s43
	s_ashr_i32 s7, s7, 31
	v_mul_f32_e32 v2, 0x4f7ffffe, v2
	v_cvt_u32_f32_e32 v2, v2
	v_readfirstlane_b32 s10, v2
	s_mul_i32 s13, s13, s10
	s_mul_hi_u32 s12, s10, s13
	s_add_i32 s10, s10, s12
	s_mul_hi_u32 s10, s11, s10
	s_mul_i32 s12, s10, s6
	s_sub_i32 s11, s11, s12
	s_add_i32 s13, s10, 1
	s_sub_i32 s12, s11, s6
	s_cmp_ge_u32 s11, s6
	s_cselect_b32 s10, s13, s10
	s_cselect_b32 s11, s12, s11
	s_add_i32 s12, s10, 1
	s_cmp_ge_u32 s11, s6
	s_cselect_b32 s6, s12, s10
	s_xor_b32 s6, s6, s7
	s_sub_i32 s47, s6, s7
	s_abs_i32 s43, s47
	v_cvt_f32_u32_e32 v2, s43
	s_load_dwordx16 s[12:27], s[4:5], 0x0
	s_sub_i32 s6, 0, s43
	s_abs_i32 s46, s34
	v_rcp_iflag_f32_e32 v2, v2
	v_mul_f32_e32 v2, 0x4f7ffffe, v2
	v_cvt_u32_f32_e32 v2, v2
	v_readfirstlane_b32 s7, v2
	s_mul_i32 s6, s6, s7
	s_mul_hi_u32 s6, s7, s6
	s_add_i32 s6, s7, s6
	s_waitcnt lgkmcnt(0)
	s_cmp_eq_u64 s[18:19], 0
	s_cbranch_scc1 .LBB49_2
; %bb.1:
	s_abs_i32 s7, s44
	v_cvt_f32_u32_e32 v2, s7
	s_sub_i32 s37, 0, s7
	s_abs_i32 s36, s33
	s_ashr_i32 s35, s33, 31
	v_rcp_iflag_f32_e32 v2, v2
	s_load_dwordx2 s[10:11], s[4:5], 0xc8
	v_mul_f32_e32 v2, 0x4f7ffffe, v2
	v_cvt_u32_f32_e32 v2, v2
	v_readfirstlane_b32 s38, v2
	s_mul_i32 s37, s37, s38
	s_mul_hi_u32 s37, s38, s37
	s_add_i32 s38, s38, s37
	s_mul_hi_u32 s37, s36, s38
	s_mul_i32 s37, s37, s7
	s_sub_i32 s36, s36, s37
	s_sub_i32 s37, s36, s7
	s_cmp_ge_u32 s36, s7
	s_cselect_b32 s36, s37, s36
	s_sub_i32 s37, s36, s7
	s_cmp_ge_u32 s36, s7
	s_cselect_b32 s7, s37, s36
	s_xor_b32 s7, s7, s35
	s_sub_i32 s7, s7, s35
	s_ashr_i32 s35, s7, 31
	s_waitcnt lgkmcnt(0)
	s_mul_hi_u32 s36, s10, s7
	s_mul_i32 s35, s10, s35
	s_mul_i32 s11, s11, s7
	s_add_i32 s35, s36, s35
	s_add_i32 s35, s35, s11
	s_mul_i32 s7, s10, s7
	s_add_u32 s40, s18, s7
	s_addc_u32 s41, s19, s35
.LBB49_2:
	s_load_dwordx4 s[36:39], s[4:5], 0x40
	s_mul_hi_u32 s18, s46, s6
	s_load_dword s6, s[4:5], 0x50
	v_mov_b32_e32 v40, 1.0
	s_waitcnt lgkmcnt(0)
	v_cmp_le_f32_e64 s[10:11], s37, 0
	s_and_b64 vcc, exec, s[10:11]
	s_cbranch_vccnz .LBB49_4
; %bb.3:
	v_mov_b32_e32 v2, s6
	v_sub_co_u32_e32 v2, vcc, s34, v2
	v_mov_b32_e32 v3, s39
	v_mov_b32_e32 v4, s38
	s_add_i32 s6, s34, 1
	v_lshlrev_b32_e32 v2, 1, v2
	v_cndmask_b32_e32 v3, v3, v4, vcc
	v_or_b32_e32 v2, 1, v2
	v_mov_b32_e32 v4, s6
	v_cndmask_b32_e32 v2, v2, v4, vcc
	v_cvt_f32_i32_e32 v2, v2
	v_cmp_neq_f32_e32 vcc, 1.0, v3
	s_mov_b32 s6, 0x3f2aaaab
	s_movk_i32 s10, 0x204
	v_cndmask_b32_e32 v4, 1.0, v2, vcc
	v_cmp_neq_f32_e32 vcc, 0, v4
	v_cndmask_b32_e32 v5, 1.0, v3, vcc
	v_frexp_mant_f32_e64 v2, |v5|
	v_cmp_gt_f32_e32 vcc, s6, v2
	v_cndmask_b32_e64 v3, 1.0, 2.0, vcc
	v_mul_f32_e32 v2, v2, v3
	v_add_f32_e32 v3, 1.0, v2
	v_rcp_f32_e32 v6, v3
	v_add_f32_e32 v7, -1.0, v2
	v_add_f32_e32 v8, -1.0, v3
	v_sub_f32_e32 v2, v2, v8
	v_mul_f32_e32 v8, v7, v6
	v_mul_f32_e32 v9, v3, v8
	v_fma_f32 v3, v8, v3, -v9
	v_fmac_f32_e32 v3, v8, v2
	v_add_f32_e32 v2, v9, v3
	v_sub_f32_e32 v10, v7, v2
	v_sub_f32_e32 v9, v2, v9
	;; [unrolled: 1-line block ×5, first 2 shown]
	v_add_f32_e32 v2, v3, v2
	v_add_f32_e32 v2, v10, v2
	v_mul_f32_e32 v2, v6, v2
	v_add_f32_e32 v6, v8, v2
	v_sub_f32_e32 v3, v6, v8
	v_sub_f32_e32 v7, v2, v3
	v_mul_f32_e32 v2, v6, v6
	v_fma_f32 v3, v6, v6, -v2
	v_add_f32_e32 v8, v7, v7
	v_fmac_f32_e32 v3, v6, v8
	v_add_f32_e32 v8, v2, v3
	v_mov_b32_e32 v9, 0x3e91f4c4
	v_sub_f32_e32 v2, v8, v2
	v_fmac_f32_e32 v9, 0x3e76c4e1, v8
	v_mov_b32_e32 v10, 0x3ecccdef
	v_sub_f32_e32 v2, v3, v2
	v_mul_f32_e32 v3, v6, v8
	v_fmac_f32_e32 v10, v8, v9
	v_fma_f32 v9, v8, v6, -v3
	v_fmac_f32_e32 v9, v8, v7
	v_fmac_f32_e32 v9, v2, v6
	v_add_f32_e32 v11, v3, v9
	v_sub_f32_e32 v3, v11, v3
	v_sub_f32_e32 v9, v9, v3
	v_mul_f32_e32 v3, v8, v10
	v_fma_f32 v8, v8, v10, -v3
	v_fmac_f32_e32 v8, v2, v10
	v_add_f32_e32 v10, v3, v8
	v_sub_f32_e32 v2, v10, v3
	v_sub_f32_e32 v8, v8, v2
	v_cvt_f64_f32_e64 v[2:3], |v5|
	v_add_f32_e32 v12, 0x3f2aaaaa, v10
	v_add_f32_e32 v13, 0xbf2aaaaa, v12
	;; [unrolled: 1-line block ×3, first 2 shown]
	v_frexp_exp_i32_f64_e32 v2, v[2:3]
	v_sub_f32_e32 v10, v10, v13
	v_add_f32_e32 v3, v8, v10
	v_add_f32_e32 v8, v12, v3
	v_sub_f32_e32 v10, v12, v8
	v_add_f32_e32 v3, v3, v10
	v_mul_f32_e32 v10, v11, v8
	v_fma_f32 v12, v11, v8, -v10
	v_subbrev_co_u32_e32 v2, vcc, 0, v2, vcc
	v_cvt_f32_i32_e32 v2, v2
	v_fmac_f32_e32 v12, v11, v3
	s_mov_b32 s6, 0x3f317218
	v_fmac_f32_e32 v12, v9, v8
	v_mul_f32_e32 v3, 0x3f317218, v2
	v_fma_f32 v8, v2, s6, -v3
	v_fmac_f32_e32 v8, 0xb102e308, v2
	v_ldexp_f32 v2, v7, 1
	v_add_f32_e32 v7, v3, v8
	v_sub_f32_e32 v3, v7, v3
	v_ldexp_f32 v6, v6, 1
	v_sub_f32_e32 v3, v8, v3
	v_add_f32_e32 v8, v10, v12
	v_sub_f32_e32 v9, v8, v10
	v_add_f32_e32 v10, v6, v8
	v_sub_f32_e32 v9, v12, v9
	v_sub_f32_e32 v6, v10, v6
	;; [unrolled: 1-line block ×3, first 2 shown]
	v_add_f32_e32 v2, v2, v9
	v_add_f32_e32 v2, v2, v6
	;; [unrolled: 1-line block ×3, first 2 shown]
	v_sub_f32_e32 v8, v6, v10
	v_sub_f32_e32 v2, v2, v8
	v_add_f32_e32 v8, v7, v6
	v_sub_f32_e32 v9, v8, v7
	v_sub_f32_e32 v10, v8, v9
	;; [unrolled: 1-line block ×4, first 2 shown]
	v_add_f32_e32 v6, v6, v7
	v_add_f32_e32 v7, v3, v2
	v_sub_f32_e32 v9, v7, v3
	v_sub_f32_e32 v10, v7, v9
	;; [unrolled: 1-line block ×4, first 2 shown]
	v_add_f32_e32 v2, v2, v3
	v_add_f32_e32 v3, v7, v6
	;; [unrolled: 1-line block ×3, first 2 shown]
	v_sub_f32_e32 v7, v6, v8
	v_sub_f32_e32 v3, v3, v7
	v_add_f32_e32 v2, v2, v3
	v_add_f32_e32 v3, v6, v2
	v_sub_f32_e32 v6, v3, v6
	v_sub_f32_e32 v2, v2, v6
	v_mul_f32_e32 v6, v4, v3
	v_fma_f32 v3, v4, v3, -v6
	v_fmac_f32_e32 v3, v4, v2
	v_add_f32_e32 v2, v6, v3
	v_cmp_class_f32_e64 vcc, v6, s10
	v_sub_f32_e32 v7, v2, v6
	v_cndmask_b32_e32 v2, v2, v6, vcc
	s_mov_b32 s7, 0x42b17218
	v_mov_b32_e32 v6, 0x37000000
	v_cmp_eq_f32_e32 vcc, s7, v2
	v_cndmask_b32_e32 v6, 0, v6, vcc
	v_sub_f32_e32 v3, v3, v7
	v_sub_f32_e32 v7, v2, v6
	s_mov_b32 s11, 0x3fb8aa3b
	v_mul_f32_e32 v8, 0x3fb8aa3b, v7
	v_fma_f32 v9, v7, s11, -v8
	v_rndne_f32_e32 v10, v8
	v_fmac_f32_e32 v9, 0x32a5705f, v7
	v_sub_f32_e32 v8, v8, v10
	v_add_f32_e32 v8, v8, v9
	v_exp_f32_e32 v8, v8
	v_cvt_i32_f32_e32 v9, v10
	s_mov_b32 s6, 0x7f800000
	v_cmp_neq_f32_e64 vcc, |v2|, s6
	s_mov_b32 s6, 0xc2ce8ed0
	v_cndmask_b32_e32 v2, 0, v3, vcc
	v_ldexp_f32 v3, v8, v9
	v_cmp_ngt_f32_e32 vcc, s6, v7
	v_add_f32_e32 v2, v6, v2
	v_cndmask_b32_e32 v3, 0, v3, vcc
	v_mov_b32_e32 v6, 0x7f800000
	v_cmp_nlt_f32_e32 vcc, s7, v7
	v_cndmask_b32_e32 v3, v6, v3, vcc
	v_fma_f32 v2, v3, v2, v3
	v_cmp_class_f32_e64 vcc, v3, s10
	v_cndmask_b32_e32 v2, v2, v3, vcc
	v_trunc_f32_e32 v3, v4
	v_cmp_eq_f32_e32 vcc, v3, v4
	v_mul_f32_e32 v3, 0.5, v4
	v_trunc_f32_e32 v8, v3
	v_cmp_neq_f32_e64 s[6:7], v8, v3
	s_and_b64 s[6:7], vcc, s[6:7]
	v_cndmask_b32_e64 v3, 1.0, v5, s[6:7]
	s_brev_b32 s19, -2
	v_mov_b32_e32 v7, 0x7fc00000
	v_bfi_b32 v2, s19, v2, v3
	v_cndmask_b32_e32 v3, v7, v2, vcc
	v_cmp_gt_f32_e32 vcc, 0, v5
	v_cndmask_b32_e32 v2, v2, v3, vcc
	v_cmp_class_f32_e64 s[38:39], v5, s10
	v_cmp_eq_f32_e32 vcc, 0, v5
	v_cmp_gt_f32_e64 s[10:11], 0, v4
	s_xor_b64 s[10:11], s[10:11], vcc
	v_cndmask_b32_e64 v3, v6, 0, s[10:11]
	v_cndmask_b32_e64 v4, 0, v5, s[6:7]
	v_bfi_b32 v3, s19, v3, v4
	s_or_b64 vcc, vcc, s[38:39]
	v_cndmask_b32_e32 v2, v2, v3, vcc
	v_cmp_o_f32_e32 vcc, v5, v5
	v_cndmask_b32_e32 v40, v7, v2, vcc
.LBB49_4:
	s_load_dwordx4 s[48:51], s[4:5], 0x70
	v_lshl_add_u32 v33, s8, 3, v1
	v_mul_hi_u32 v2, s28, v33
	s_ashr_i32 s35, s34, 31
	s_ashr_i32 s6, s47, 31
	s_waitcnt lgkmcnt(0)
	s_mul_i32 s7, s33, s50
	v_add_u32_e32 v2, v33, v2
	s_ashr_i32 s10, s7, 31
	v_lshrrev_b32_e32 v2, s29, v2
	s_add_u32 s7, s12, s7
	s_mul_i32 s11, s34, s49
	v_mul_lo_u32 v2, v2, s30
	s_addc_u32 s10, s13, s10
	s_ashr_i32 s12, s11, 31
	s_add_u32 s7, s7, s11
	s_addc_u32 s12, s10, s12
	s_ashr_i32 s49, s48, 31
	v_sub_u32_e32 v41, v33, v2
	s_lshr_b64 s[10:11], s[48:49], 2
	v_mad_u64_u32 v[2:3], s[10:11], s10, v41, 0
	s_lshr_b32 s10, s49, 2
	v_lshlrev_b32_e32 v39, 9, v1
	v_mad_u64_u32 v[3:4], s[10:11], s10, v41, v[3:4]
	v_mov_b32_e32 v4, s12
	v_lshlrev_b32_e32 v35, 3, v0
	v_lshlrev_b64 v[2:3], 2, v[2:3]
	v_add_u32_e32 v42, 0x4400, v39
	v_add_co_u32_e32 v2, vcc, s7, v2
	v_addc_co_u32_e32 v3, vcc, v4, v3, vcc
	v_lshlrev_b32_e32 v4, 4, v0
	v_add_co_u32_e32 v10, vcc, v2, v4
	v_addc_co_u32_e32 v11, vcc, 0, v3, vcc
	global_load_dwordx4 v[2:5], v[10:11], off
	global_load_dwordx4 v[6:9], v[10:11], off offset:512
	v_lshlrev_b32_e32 v34, 2, v0
	v_mov_b32_e32 v44, 0
	v_add_u32_e32 v10, v42, v35
	s_cmp_eq_u64 s[22:23], 0
	s_waitcnt vmcnt(1)
	v_fma_mixlo_f16 v2, s36, v2, 0
	v_fma_mixlo_f16 v3, s36, v3, 0
	;; [unrolled: 1-line block ×4, first 2 shown]
	s_waitcnt vmcnt(0)
	v_fma_mixlo_f16 v6, s36, v6, 0
	v_fma_mixlo_f16 v7, s36, v7, 0
	;; [unrolled: 1-line block ×4, first 2 shown]
	v_lshlrev_b32_e32 v3, 16, v3
	v_and_b32_e32 v2, 0xffff, v2
	v_lshlrev_b32_e32 v5, 16, v5
	v_and_b32_e32 v4, 0xffff, v4
	;; [unrolled: 2-line block ×4, first 2 shown]
	v_or_b32_e32 v2, v3, v2
	v_or3_b32 v3, v5, v4, 0
	v_or_b32_e32 v4, v7, v6
	v_or3_b32 v5, v9, v8, 0
	v_or3_b32 v2, 0, 0, v2
	;; [unrolled: 1-line block ×3, first 2 shown]
	ds_write2_b64 v10, v[2:3], v[4:5] offset1:32
	s_waitcnt lgkmcnt(0)
	s_barrier
	s_cbranch_scc1 .LBB49_6
; %bb.5:
	s_load_dword s7, s[4:5], 0xd0
	s_mov_b32 s11, 0
	s_waitcnt lgkmcnt(0)
	s_mul_i32 s7, s7, s33
	s_add_i32 s10, s7, s8
	s_lshl_b64 s[10:11], s[10:11], 2
	s_add_u32 s10, s22, s10
	s_addc_u32 s11, s23, s11
	s_load_dword s42, s[10:11], 0x0
.LBB49_6:
	s_nop 0
	s_load_dwordx2 s[10:11], s[4:5], 0x8c
	s_load_dwordx4 s[36:39], s[4:5], 0x98
	s_load_dwordx2 s[22:23], s[4:5], 0xa8
	s_ashr_i32 s7, s33, 31
	s_ashr_i32 s19, s45, 1
	s_waitcnt lgkmcnt(0)
	s_ashr_i32 s12, s10, 2
	s_mul_hi_u32 s10, s36, s33
	s_mul_i32 s13, s36, s7
	s_add_i32 s10, s10, s13
	s_mul_i32 s13, s37, s33
	s_ashr_i32 s8, s38, 2
	s_add_i32 s10, s10, s13
	s_mul_i32 s13, s36, s33
	s_add_u32 s13, s14, s13
	s_mul_i32 s14, s18, s43
	s_addc_u32 s10, s15, s10
	s_sub_i32 s14, s46, s14
	s_xor_b32 s6, s35, s6
	s_add_i32 s15, s18, 1
	s_sub_i32 s28, s14, s43
	s_cmp_ge_u32 s14, s43
	s_cselect_b32 s15, s15, s18
	s_cselect_b32 s14, s28, s14
	s_add_i32 s18, s15, 1
	s_cmp_ge_u32 s14, s43
	s_cselect_b32 s14, s18, s15
	s_xor_b32 s14, s14, s6
	s_sub_i32 s6, s14, s6
	s_mul_i32 s11, s6, s11
	s_ashr_i32 s14, s11, 31
	s_add_u32 s13, s13, s11
	s_addc_u32 s14, s10, s14
	s_mul_hi_u32 s10, s22, s33
	s_mul_i32 s7, s22, s7
	s_add_i32 s7, s10, s7
	s_mul_i32 s10, s23, s33
	s_add_i32 s7, s7, s10
	s_mul_i32 s10, s22, s33
	s_add_u32 s10, s16, s10
	s_mul_i32 s6, s6, s39
	s_addc_u32 s7, s17, s7
	s_ashr_i32 s11, s6, 31
	v_mul_lo_u32 v14, s8, v1
	s_add_u32 s16, s10, s6
	s_addc_u32 s17, s7, s11
	s_lshl_b32 s18, s9, 6
	s_sub_i32 s15, s42, 64
	s_cmp_ge_i32 s18, s15
	v_lshrrev_b32_e32 v46, 4, v0
	v_and_b32_e32 v45, 60, v34
	v_lshlrev_b32_e32 v36, 2, v34
	v_mbcnt_lo_u32_b32 v43, -1, 0
	s_cbranch_scc1 .LBB49_15
; %bb.7:
	v_lshl_add_u32 v3, v1, 1, v46
	v_mul_lo_u32 v2, s12, v3
	v_lshlrev_b32_e32 v4, 2, v45
	s_movk_i32 s6, 0x110
	v_mad_u32_u24 v47, v3, s6, v4
	s_lshl_b32 s6, s12, 4
	v_add_u32_e32 v4, s6, v2
	v_add_u32_e32 v6, s6, v4
	s_cmp_lg_u64 s[40:41], 0
	v_mad_u64_u32 v[16:17], s[10:11], v41, s19, v[0:1]
	v_add_u32_e32 v8, s6, v6
	s_cselect_b64 s[6:7], -1, 0
	v_mov_b32_e32 v11, 0x5400
	s_lshl_b32 s10, s8, 3
	v_lshl_add_u32 v52, v1, 7, v11
	v_add_u32_e32 v11, s10, v14
	v_add_u32_e32 v29, s10, v11
	;; [unrolled: 1-line block ×3, first 2 shown]
	v_ashrrev_i32_e32 v3, 31, v2
	v_ashrrev_i32_e32 v5, 31, v4
	;; [unrolled: 1-line block ×8, first 2 shown]
	v_lshl_add_u32 v13, v1, 9, v36
	s_add_u32 s10, s4, 0xd0
	v_lshlrev_b64 v[17:18], 2, v[2:3]
	v_lshlrev_b64 v[19:20], 2, v[4:5]
	;; [unrolled: 1-line block ×4, first 2 shown]
	v_cndmask_b32_e64 v2, 0, 1, s[6:7]
	v_lshlrev_b64 v[25:26], 2, v[14:15]
	v_lshlrev_b64 v[27:28], 2, v[11:12]
	;; [unrolled: 1-line block ×4, first 2 shown]
	v_mov_b32_e32 v10, 0
	v_add_u32_e32 v48, 0x1100, v47
	v_add_u32_e32 v49, 0x2200, v47
	;; [unrolled: 1-line block ×3, first 2 shown]
	v_mul_u32_u24_e32 v51, 0x110, v0
	v_lshl_add_u32 v53, v0, 1, v52
	v_add_u32_e32 v54, v39, v36
	v_add_u32_e32 v55, 0x1000, v13
	;; [unrolled: 1-line block ×4, first 2 shown]
	s_addc_u32 s11, s5, 0
	v_mov_b32_e32 v13, 0xfeffffff
	v_lshlrev_b32_e32 v58, 2, v45
	s_mov_b32 s22, 0x3fb8aa3b
	s_mov_b32 s23, 0xc2ce8ed0
	;; [unrolled: 1-line block ×4, first 2 shown]
	v_cmp_ne_u32_e64 s[6:7], 1, v2
	v_mbcnt_hi_u32_b32 v59, -1, v43
	v_mov_b32_e32 v60, 0x7f800000
	v_mov_b32_e32 v11, 0
	;; [unrolled: 1-line block ×5, first 2 shown]
.LBB49_8:                               ; =>This Inner Loop Header: Depth=1
	s_mul_hi_i32 s37, s18, s12
	s_mul_i32 s36, s18, s12
	s_lshl_b64 s[36:37], s[36:37], 2
	s_add_u32 s36, s13, s36
	s_addc_u32 s37, s14, s37
	v_mov_b32_e32 v2, s37
	v_add_co_u32_e32 v3, vcc, s36, v17
	v_addc_co_u32_e32 v4, vcc, v2, v18, vcc
	v_add_co_u32_e32 v2, vcc, v3, v58
	v_addc_co_u32_e32 v3, vcc, 0, v4, vcc
	v_mov_b32_e32 v4, s37
	v_add_co_u32_e32 v5, vcc, s36, v19
	v_addc_co_u32_e32 v6, vcc, v4, v20, vcc
	v_add_co_u32_e32 v4, vcc, v5, v58
	v_addc_co_u32_e32 v5, vcc, 0, v6, vcc
	;; [unrolled: 5-line block ×3, first 2 shown]
	v_mov_b32_e32 v8, s37
	v_add_co_u32_e32 v9, vcc, s36, v23
	v_addc_co_u32_e32 v15, vcc, v8, v24, vcc
	v_add_co_u32_e32 v8, vcc, v9, v58
	global_load_dwordx4 v[61:64], v[2:3], off
	global_load_dwordx4 v[65:68], v[4:5], off
	v_addc_co_u32_e32 v9, vcc, 0, v15, vcc
	global_load_dwordx4 v[69:72], v[6:7], off
	global_load_dwordx4 v[73:76], v[8:9], off
	v_mov_b32_e32 v44, 0
	v_mov_b32_e32 v15, 0
	s_and_b64 vcc, exec, s[6:7]
	s_waitcnt vmcnt(3)
	ds_write_b128 v47, v[61:64]
	s_waitcnt vmcnt(2)
	ds_write_b128 v48, v[65:68]
	;; [unrolled: 2-line block ×4, first 2 shown]
	s_waitcnt lgkmcnt(0)
	s_barrier
	ds_read_b128 v[61:64], v51
	ds_read_b128 v[65:68], v42
	ds_read_b128 v[69:72], v51 offset:8704
	s_waitcnt lgkmcnt(1)
	;;#ASMSTART
	v_dot2_f32_f16 v44, v61, v65, v44
	;;#ASMEND
	;;#ASMSTART
	v_dot2_f32_f16 v44, v62, v66, v44
	;;#ASMEND
	;;#ASMSTART
	v_dot2_f32_f16 v44, v63, v67, v44
	;;#ASMEND
	;;#ASMSTART
	v_dot2_f32_f16 v44, v64, v68, v44
	;;#ASMEND
	s_waitcnt lgkmcnt(0)
	;;#ASMSTART
	v_dot2_f32_f16 v15, v69, v65, v15
	;;#ASMEND
	;;#ASMSTART
	v_dot2_f32_f16 v15, v70, v66, v15
	;;#ASMEND
	;;#ASMSTART
	v_dot2_f32_f16 v15, v71, v67, v15
	;;#ASMEND
	;;#ASMSTART
	v_dot2_f32_f16 v15, v72, v68, v15
	;;#ASMEND
	ds_read_b128 v[61:64], v51 offset:16
	ds_read_b128 v[65:68], v42 offset:16
	ds_read_b128 v[69:72], v51 offset:8720
	s_waitcnt lgkmcnt(1)
	;;#ASMSTART
	v_dot2_f32_f16 v44, v61, v65, v44
	;;#ASMEND
	;;#ASMSTART
	v_dot2_f32_f16 v44, v62, v66, v44
	;;#ASMEND
	;;#ASMSTART
	v_dot2_f32_f16 v44, v63, v67, v44
	;;#ASMEND
	;;#ASMSTART
	v_dot2_f32_f16 v44, v64, v68, v44
	;;#ASMEND
	s_waitcnt lgkmcnt(0)
	;;#ASMSTART
	v_dot2_f32_f16 v15, v69, v65, v15
	;;#ASMEND
	;;#ASMSTART
	v_dot2_f32_f16 v15, v70, v66, v15
	;;#ASMEND
	;;#ASMSTART
	v_dot2_f32_f16 v15, v71, v67, v15
	;;#ASMEND
	;;#ASMSTART
	v_dot2_f32_f16 v15, v72, v68, v15
	;;#ASMEND
	ds_read_b128 v[61:64], v51 offset:32
	ds_read_b128 v[65:68], v42 offset:32
	;; [unrolled: 29-line block ×15, first 2 shown]
	ds_read_b128 v[69:72], v51 offset:8944
	s_waitcnt lgkmcnt(1)
	;;#ASMSTART
	v_dot2_f32_f16 v44, v61, v65, v44
	;;#ASMEND
	;;#ASMSTART
	v_dot2_f32_f16 v44, v62, v66, v44
	;;#ASMEND
	;; [unrolled: 3-line block ×4, first 2 shown]
	s_waitcnt lgkmcnt(0)
	;;#ASMSTART
	v_dot2_f32_f16 v15, v69, v65, v15
	;;#ASMEND
	;;#ASMSTART
	v_dot2_f32_f16 v15, v70, v66, v15
	;;#ASMEND
	;; [unrolled: 3-line block ×4, first 2 shown]
	s_barrier
	global_load_dwordx4 v[61:64], v[2:3], off offset:256
	s_nop 0
	global_load_dwordx4 v[2:5], v[4:5], off offset:256
	s_nop 0
	global_load_dwordx4 v[65:68], v[6:7], off offset:256
	s_nop 0
	global_load_dwordx4 v[6:9], v[8:9], off offset:256
	s_waitcnt vmcnt(3)
	ds_write_b128 v47, v[61:64]
	s_waitcnt vmcnt(2)
	ds_write_b128 v48, v[2:5]
	;; [unrolled: 2-line block ×4, first 2 shown]
	s_waitcnt lgkmcnt(0)
	s_barrier
	ds_read_b128 v[2:5], v51
	ds_read_b128 v[6:9], v42 offset:256
	ds_read_b128 v[61:64], v51 offset:8704
	s_waitcnt lgkmcnt(1)
	;;#ASMSTART
	v_dot2_f32_f16 v44, v2, v6, v44
	;;#ASMEND
	;;#ASMSTART
	v_dot2_f32_f16 v44, v3, v7, v44
	;;#ASMEND
	;;#ASMSTART
	v_dot2_f32_f16 v44, v4, v8, v44
	;;#ASMEND
	;;#ASMSTART
	v_dot2_f32_f16 v44, v5, v9, v44
	;;#ASMEND
	s_waitcnt lgkmcnt(0)
	;;#ASMSTART
	v_dot2_f32_f16 v15, v61, v6, v15
	;;#ASMEND
	;;#ASMSTART
	v_dot2_f32_f16 v15, v62, v7, v15
	;;#ASMEND
	;;#ASMSTART
	v_dot2_f32_f16 v15, v63, v8, v15
	;;#ASMEND
	;;#ASMSTART
	v_dot2_f32_f16 v15, v64, v9, v15
	;;#ASMEND
	ds_read_b128 v[2:5], v51 offset:16
	ds_read_b128 v[6:9], v42 offset:272
	ds_read_b128 v[61:64], v51 offset:8720
	s_waitcnt lgkmcnt(1)
	;;#ASMSTART
	v_dot2_f32_f16 v44, v2, v6, v44
	;;#ASMEND
	;;#ASMSTART
	v_dot2_f32_f16 v44, v3, v7, v44
	;;#ASMEND
	;;#ASMSTART
	v_dot2_f32_f16 v44, v4, v8, v44
	;;#ASMEND
	;;#ASMSTART
	v_dot2_f32_f16 v44, v5, v9, v44
	;;#ASMEND
	s_waitcnt lgkmcnt(0)
	;;#ASMSTART
	v_dot2_f32_f16 v15, v61, v6, v15
	;;#ASMEND
	;;#ASMSTART
	v_dot2_f32_f16 v15, v62, v7, v15
	;;#ASMEND
	;;#ASMSTART
	v_dot2_f32_f16 v15, v63, v8, v15
	;;#ASMEND
	;;#ASMSTART
	v_dot2_f32_f16 v15, v64, v9, v15
	;;#ASMEND
	ds_read_b128 v[2:5], v51 offset:32
	;; [unrolled: 29-line block ×15, first 2 shown]
	ds_read_b128 v[61:64], v42 offset:496
	ds_read_b128 v[65:68], v51 offset:8944
	s_waitcnt lgkmcnt(1)
	;;#ASMSTART
	v_dot2_f32_f16 v44, v4, v61, v44
	;;#ASMEND
	;;#ASMSTART
	v_dot2_f32_f16 v44, v5, v62, v44
	;;#ASMEND
	;; [unrolled: 3-line block ×4, first 2 shown]
	s_waitcnt lgkmcnt(0)
	;;#ASMSTART
	v_dot2_f32_f16 v15, v65, v61, v15
	;;#ASMEND
	v_add_u32_e32 v2, s18, v16
	;;#ASMSTART
	v_dot2_f32_f16 v15, v66, v62, v15
	;;#ASMEND
	v_ashrrev_i32_e32 v3, 31, v2
	;;#ASMSTART
	v_dot2_f32_f16 v15, v67, v63, v15
	;;#ASMEND
	v_mov_b32_e32 v4, 0
	;;#ASMSTART
	v_dot2_f32_f16 v15, v68, v64, v15
	;;#ASMEND
	s_cbranch_vccnz .LBB49_10
; %bb.9:                                ;   in Loop: Header=BB49_8 Depth=1
	v_lshlrev_b64 v[4:5], 1, v[2:3]
	v_mov_b32_e32 v6, s41
	v_add_co_u32_e32 v4, vcc, s40, v4
	v_addc_co_u32_e32 v5, vcc, v6, v5, vcc
	global_load_ushort v4, v[4:5], off
	s_waitcnt vmcnt(0)
	v_cvt_f32_f16_e32 v4, v4
	v_mul_f32_e32 v4, v40, v4
.LBB49_10:                              ;   in Loop: Header=BB49_8 Depth=1
	s_and_b64 vcc, exec, s[6:7]
	s_cbranch_vccnz .LBB49_12
; %bb.11:                               ;   in Loop: Header=BB49_8 Depth=1
	v_lshlrev_b64 v[2:3], 1, v[2:3]
	v_mov_b32_e32 v5, s41
	v_add_co_u32_e32 v2, vcc, s40, v2
	v_addc_co_u32_e32 v3, vcc, v5, v3, vcc
	global_load_ushort v2, v[2:3], off offset:64
	s_waitcnt vmcnt(0)
	v_cvt_f32_f16_e32 v2, v2
	v_mul_f32_e32 v2, v40, v2
	s_branch .LBB49_13
.LBB49_12:                              ;   in Loop: Header=BB49_8 Depth=1
	v_mov_b32_e32 v2, 0
.LBB49_13:                              ;   in Loop: Header=BB49_8 Depth=1
	v_and_b32_e32 v6, 0x60, v59
	v_xor_b32_e32 v5, 1, v59
	v_add_u32_e32 v6, 32, v6
	v_cmp_lt_i32_e32 vcc, v5, v6
	v_xor_b32_e32 v7, 2, v59
	v_cndmask_b32_e32 v5, v59, v5, vcc
	v_cmp_lt_i32_e32 vcc, v7, v6
	v_xor_b32_e32 v8, 4, v59
	v_cndmask_b32_e32 v7, v59, v7, vcc
	v_cmp_lt_i32_e32 vcc, v8, v6
	v_xor_b32_e32 v9, 8, v59
	v_add_f32_e32 v3, v44, v4
	v_cndmask_b32_e32 v8, v59, v8, vcc
	v_cmp_lt_i32_e32 vcc, v9, v6
	v_xor_b32_e32 v44, 16, v59
	v_cndmask_b32_e32 v9, v59, v9, vcc
	v_cmp_lt_i32_e32 vcc, v44, v6
	v_add_f32_e32 v2, v15, v2
	v_add_f32_e32 v4, 0x40051340, v3
	v_cndmask_b32_e32 v6, v59, v44, vcc
	v_add_f32_e32 v15, 0x40051340, v2
	v_max3_f32 v4, v13, v4, v15
	v_lshlrev_b32_e32 v6, 2, v6
	ds_bpermute_b32 v6, v6, v4
	v_lshlrev_b32_e32 v9, 2, v9
	v_lshlrev_b32_e32 v8, 2, v8
	;; [unrolled: 1-line block ×4, first 2 shown]
	s_waitcnt lgkmcnt(0)
	v_max_f32_e32 v6, v6, v6
	v_max_f32_e32 v4, v4, v6
	ds_bpermute_b32 v6, v9, v4
	s_mul_hi_i32 s37, s18, s8
	s_mul_i32 s36, s18, s8
	s_lshl_b64 s[36:37], s[36:37], 2
	s_add_u32 s36, s16, s36
	s_waitcnt lgkmcnt(0)
	v_max_f32_e32 v6, v6, v6
	v_max_f32_e32 v4, v4, v6
	ds_bpermute_b32 v6, v8, v4
	s_addc_u32 s37, s17, s37
	s_waitcnt lgkmcnt(0)
	s_barrier
	v_max_f32_e32 v6, v6, v6
	v_max_f32_e32 v4, v4, v6
	ds_bpermute_b32 v6, v7, v4
	s_waitcnt lgkmcnt(0)
	v_max_f32_e32 v6, v6, v6
	v_max_f32_e32 v4, v4, v6
	ds_bpermute_b32 v5, v5, v4
	s_waitcnt lgkmcnt(0)
	v_max_f32_e32 v5, v5, v5
	v_max_f32_e32 v15, v4, v5
	v_sub_f32_e32 v3, v3, v15
	v_mul_f32_e32 v5, 0x3fb8aa3b, v3
	v_fma_f32 v6, v3, s22, -v5
	v_rndne_f32_e32 v7, v5
	v_fmac_f32_e32 v6, 0x32a5705f, v3
	v_sub_f32_e32 v5, v5, v7
	v_add_f32_e32 v5, v5, v6
	v_exp_f32_e32 v5, v5
	v_cvt_i32_f32_e32 v6, v7
	v_sub_f32_e32 v2, v2, v15
	v_cmp_ngt_f32_e32 vcc, s23, v3
	v_sub_f32_e32 v4, v13, v15
	v_ldexp_f32 v5, v5, v6
	v_mul_f32_e32 v6, 0x3fb8aa3b, v2
	v_fma_f32 v7, v2, s22, -v6
	v_rndne_f32_e32 v8, v6
	v_fmac_f32_e32 v7, 0x32a5705f, v2
	v_sub_f32_e32 v6, v6, v8
	v_add_f32_e32 v6, v6, v7
	v_exp_f32_e32 v6, v6
	v_cvt_i32_f32_e32 v7, v8
	v_cndmask_b32_e32 v5, 0, v5, vcc
	v_cmp_nlt_f32_e32 vcc, s28, v3
	v_cndmask_b32_e32 v3, v60, v5, vcc
	v_ldexp_f32 v6, v6, v7
	v_cmp_ngt_f32_e32 vcc, s23, v2
	v_cndmask_b32_e32 v6, 0, v6, vcc
	v_cmp_nlt_f32_e32 vcc, s28, v2
	v_cndmask_b32_e32 v2, v60, v6, vcc
	v_cvt_f16_f32_e32 v5, v3
	v_add_f32_e32 v44, v3, v2
	v_mul_f32_e32 v3, 0x3fb8aa3b, v4
	v_fma_f32 v6, v4, s22, -v3
	v_rndne_f32_e32 v7, v3
	v_fmac_f32_e32 v6, 0x32a5705f, v4
	v_sub_f32_e32 v3, v3, v7
	v_add_f32_e32 v3, v3, v6
	v_exp_f32_e32 v3, v3
	v_cvt_i32_f32_e32 v6, v7
	v_cmp_ngt_f32_e32 vcc, s23, v4
	v_cvt_f16_f32_e32 v2, v2
	ds_write_b16 v53, v5
	ds_write_b16 v53, v2 offset:64
	v_ldexp_f32 v3, v3, v6
	v_cndmask_b32_e32 v3, 0, v3, vcc
	v_cmp_nlt_f32_e32 vcc, s28, v4
	v_cndmask_b32_e32 v3, v60, v3, vcc
	v_fmac_f32_e32 v44, v12, v3
	v_cvt_f16_f32_e32 v3, v3
	v_add_co_u32_e32 v2, vcc, s36, v25
	v_mul_u32_u24_e32 v61, 0x10001, v3
	v_mov_b32_e32 v3, s37
	v_addc_co_u32_e32 v3, vcc, v3, v26, vcc
	v_add_co_u32_e32 v2, vcc, v2, v36
	v_addc_co_u32_e32 v3, vcc, 0, v3, vcc
	global_load_dwordx4 v[2:5], v[2:3], off
	v_pk_mul_f16 v62, v11, v61
	v_pk_mul_f16 v63, v10, v61
	s_waitcnt vmcnt(0)
	ds_write_b128 v54, v[2:5]
	v_add_co_u32_e32 v2, vcc, s36, v27
	v_mov_b32_e32 v3, s37
	v_addc_co_u32_e32 v3, vcc, v3, v28, vcc
	v_add_co_u32_e32 v2, vcc, v2, v36
	v_addc_co_u32_e32 v3, vcc, 0, v3, vcc
	global_load_dwordx4 v[2:5], v[2:3], off
	s_waitcnt vmcnt(0)
	ds_write_b128 v55, v[2:5]
	v_add_co_u32_e32 v2, vcc, s36, v29
	v_mov_b32_e32 v3, s37
	v_addc_co_u32_e32 v3, vcc, v3, v30, vcc
	v_add_co_u32_e32 v2, vcc, v2, v36
	v_addc_co_u32_e32 v3, vcc, 0, v3, vcc
	global_load_dwordx4 v[2:5], v[2:3], off
	;; [unrolled: 8-line block ×3, first 2 shown]
	s_or_b32 s36, s18, 32
	s_mul_hi_i32 s37, s36, s8
	s_mul_i32 s36, s36, s8
	s_lshl_b64 s[36:37], s[36:37], 2
	s_add_u32 s36, s16, s36
	s_addc_u32 s37, s17, s37
	s_waitcnt vmcnt(0)
	ds_write_b128 v57, v[2:5]
	s_waitcnt lgkmcnt(0)
	s_barrier
	ds_read2_b64 v[64:67], v35 offset1:32
	ds_read_b128 v[68:71], v52
	ds_read_b128 v[10:13], v52 offset:16
	ds_read_b128 v[6:9], v52 offset:32
	;; [unrolled: 1-line block ×3, first 2 shown]
	s_waitcnt lgkmcnt(3)
	v_mul_u32_u24_sdwa v72, v68, s29 dst_sel:DWORD dst_unused:UNUSED_PAD src0_sel:WORD_0 src1_sel:DWORD
	v_pk_mul_f16 v64, v64, v72
	v_pk_fma_f16 v37, v37, v61, v64
	v_pk_mul_f16 v64, v65, v72
	v_pk_fma_f16 v38, v38, v61, v64
	v_pk_fma_f16 v65, v66, v72, v62
	;; [unrolled: 1-line block ×3, first 2 shown]
	ds_read2_b64 v[61:64], v35 offset0:64 offset1:96
	v_mul_u32_u24_sdwa v67, v68, s29 dst_sel:DWORD dst_unused:UNUSED_PAD src0_sel:WORD_1 src1_sel:DWORD
	v_mul_u32_u24_sdwa v68, v70, s29 dst_sel:DWORD dst_unused:UNUSED_PAD src0_sel:WORD_0 src1_sel:DWORD
	s_waitcnt lgkmcnt(0)
	v_pk_fma_f16 v37, v61, v67, v37
	v_pk_fma_f16 v38, v62, v67, v38
	;; [unrolled: 1-line block ×4, first 2 shown]
	ds_read2_b64 v[61:64], v35 offset0:128 offset1:160
	v_mul_u32_u24_sdwa v67, v69, s29 dst_sel:DWORD dst_unused:UNUSED_PAD src0_sel:WORD_0 src1_sel:DWORD
	s_waitcnt lgkmcnt(0)
	v_pk_fma_f16 v37, v61, v67, v37
	v_pk_fma_f16 v38, v62, v67, v38
	;; [unrolled: 1-line block ×4, first 2 shown]
	ds_read2_b64 v[61:64], v35 offset0:192 offset1:224
	v_mul_u32_u24_sdwa v67, v69, s29 dst_sel:DWORD dst_unused:UNUSED_PAD src0_sel:WORD_1 src1_sel:DWORD
	v_mul_u32_u24_sdwa v69, v10, s29 dst_sel:DWORD dst_unused:UNUSED_PAD src0_sel:WORD_0 src1_sel:DWORD
	v_mul_u32_u24_sdwa v10, v10, s29 dst_sel:DWORD dst_unused:UNUSED_PAD src0_sel:WORD_1 src1_sel:DWORD
	s_waitcnt lgkmcnt(0)
	v_pk_fma_f16 v38, v62, v67, v38
	v_add_u32_e32 v62, 0x800, v35
	v_pk_fma_f16 v37, v61, v67, v37
	v_pk_fma_f16 v61, v63, v67, v65
	;; [unrolled: 1-line block ×3, first 2 shown]
	ds_read2_b64 v[63:66], v62 offset1:32
	s_waitcnt lgkmcnt(0)
	v_pk_fma_f16 v37, v63, v68, v37
	v_pk_fma_f16 v38, v64, v68, v38
	;; [unrolled: 1-line block ×4, first 2 shown]
	ds_read2_b64 v[63:66], v62 offset0:64 offset1:96
	v_mul_u32_u24_sdwa v68, v70, s29 dst_sel:DWORD dst_unused:UNUSED_PAD src0_sel:WORD_1 src1_sel:DWORD
	s_waitcnt lgkmcnt(0)
	v_pk_fma_f16 v37, v63, v68, v37
	v_pk_fma_f16 v38, v64, v68, v38
	v_pk_fma_f16 v61, v65, v68, v61
	v_pk_fma_f16 v67, v66, v68, v67
	ds_read2_b64 v[63:66], v62 offset0:128 offset1:160
	v_mul_u32_u24_sdwa v68, v71, s29 dst_sel:DWORD dst_unused:UNUSED_PAD src0_sel:WORD_0 src1_sel:DWORD
	s_waitcnt lgkmcnt(0)
	v_pk_fma_f16 v37, v63, v68, v37
	v_pk_fma_f16 v38, v64, v68, v38
	;; [unrolled: 1-line block ×4, first 2 shown]
	ds_read2_b64 v[63:66], v62 offset0:192 offset1:224
	v_mul_u32_u24_sdwa v68, v71, s29 dst_sel:DWORD dst_unused:UNUSED_PAD src0_sel:WORD_1 src1_sel:DWORD
	s_waitcnt lgkmcnt(0)
	v_pk_fma_f16 v37, v63, v68, v37
	v_add_u32_e32 v63, 0x1000, v35
	v_pk_fma_f16 v38, v64, v68, v38
	v_pk_fma_f16 v61, v65, v68, v61
	;; [unrolled: 1-line block ×3, first 2 shown]
	ds_read2_b64 v[64:67], v63 offset1:32
	s_waitcnt lgkmcnt(0)
	v_pk_fma_f16 v37, v64, v69, v37
	v_pk_fma_f16 v38, v65, v69, v38
	;; [unrolled: 1-line block ×4, first 2 shown]
	ds_read2_b64 v[64:67], v63 offset0:64 offset1:96
	s_waitcnt lgkmcnt(0)
	v_pk_fma_f16 v37, v64, v10, v37
	v_pk_fma_f16 v38, v65, v10, v38
	v_pk_fma_f16 v61, v66, v10, v61
	v_pk_fma_f16 v10, v67, v10, v68
	ds_read2_b64 v[64:67], v63 offset0:128 offset1:160
	v_mul_u32_u24_sdwa v68, v11, s29 dst_sel:DWORD dst_unused:UNUSED_PAD src0_sel:WORD_0 src1_sel:DWORD
	v_mul_u32_u24_sdwa v11, v11, s29 dst_sel:DWORD dst_unused:UNUSED_PAD src0_sel:WORD_1 src1_sel:DWORD
	s_waitcnt lgkmcnt(0)
	v_pk_fma_f16 v37, v64, v68, v37
	v_pk_fma_f16 v38, v65, v68, v38
	;; [unrolled: 1-line block ×4, first 2 shown]
	ds_read2_b64 v[64:67], v63 offset0:192 offset1:224
	s_waitcnt lgkmcnt(0)
	v_pk_fma_f16 v37, v64, v11, v37
	v_add_u32_e32 v64, 0x1800, v35
	v_pk_fma_f16 v38, v65, v11, v38
	v_pk_fma_f16 v61, v66, v11, v61
	;; [unrolled: 1-line block ×3, first 2 shown]
	ds_read2_b64 v[65:68], v64 offset1:32
	v_mul_u32_u24_sdwa v11, v12, s29 dst_sel:DWORD dst_unused:UNUSED_PAD src0_sel:WORD_0 src1_sel:DWORD
	s_waitcnt lgkmcnt(0)
	v_pk_fma_f16 v37, v65, v11, v37
	v_pk_fma_f16 v38, v66, v11, v38
	;; [unrolled: 1-line block ×4, first 2 shown]
	ds_read2_b64 v[65:68], v64 offset0:64 offset1:96
	v_mul_u32_u24_sdwa v11, v12, s29 dst_sel:DWORD dst_unused:UNUSED_PAD src0_sel:WORD_1 src1_sel:DWORD
	s_waitcnt lgkmcnt(0)
	v_pk_fma_f16 v12, v65, v11, v37
	v_pk_fma_f16 v37, v66, v11, v38
	;; [unrolled: 1-line block ×4, first 2 shown]
	ds_read2_b64 v[65:68], v64 offset0:128 offset1:160
	v_mul_u32_u24_sdwa v11, v13, s29 dst_sel:DWORD dst_unused:UNUSED_PAD src0_sel:WORD_0 src1_sel:DWORD
	s_waitcnt lgkmcnt(0)
	v_pk_fma_f16 v12, v65, v11, v12
	v_pk_fma_f16 v37, v66, v11, v37
	;; [unrolled: 1-line block ×4, first 2 shown]
	ds_read2_b64 v[65:68], v64 offset0:192 offset1:224
	v_mul_u32_u24_sdwa v11, v13, s29 dst_sel:DWORD dst_unused:UNUSED_PAD src0_sel:WORD_1 src1_sel:DWORD
	s_waitcnt lgkmcnt(0)
	v_pk_fma_f16 v61, v65, v11, v12
	v_add_u32_e32 v65, 0x2000, v35
	v_pk_fma_f16 v37, v66, v11, v37
	v_pk_fma_f16 v38, v67, v11, v38
	;; [unrolled: 1-line block ×3, first 2 shown]
	ds_read2_b64 v[10:13], v65 offset1:32
	v_mul_u32_u24_sdwa v67, v6, s29 dst_sel:DWORD dst_unused:UNUSED_PAD src0_sel:WORD_0 src1_sel:DWORD
	v_mul_u32_u24_sdwa v6, v6, s29 dst_sel:DWORD dst_unused:UNUSED_PAD src0_sel:WORD_1 src1_sel:DWORD
	s_waitcnt lgkmcnt(0)
	v_pk_fma_f16 v61, v10, v67, v61
	v_pk_fma_f16 v37, v11, v67, v37
	;; [unrolled: 1-line block ×4, first 2 shown]
	ds_read2_b64 v[10:13], v65 offset0:64 offset1:96
	s_waitcnt lgkmcnt(0)
	v_pk_fma_f16 v61, v10, v6, v61
	v_pk_fma_f16 v37, v11, v6, v37
	;; [unrolled: 1-line block ×4, first 2 shown]
	ds_read2_b64 v[10:13], v65 offset0:128 offset1:160
	v_mul_u32_u24_sdwa v66, v7, s29 dst_sel:DWORD dst_unused:UNUSED_PAD src0_sel:WORD_0 src1_sel:DWORD
	v_mul_u32_u24_sdwa v7, v7, s29 dst_sel:DWORD dst_unused:UNUSED_PAD src0_sel:WORD_1 src1_sel:DWORD
	s_waitcnt lgkmcnt(0)
	v_pk_fma_f16 v61, v10, v66, v61
	v_pk_fma_f16 v37, v11, v66, v37
	;; [unrolled: 1-line block ×4, first 2 shown]
	ds_read2_b64 v[10:13], v65 offset0:192 offset1:224
	s_waitcnt lgkmcnt(0)
	v_pk_fma_f16 v66, v10, v7, v61
	v_add_u32_e32 v61, 0x2800, v35
	v_pk_fma_f16 v37, v11, v7, v37
	v_pk_fma_f16 v38, v12, v7, v38
	;; [unrolled: 1-line block ×3, first 2 shown]
	ds_read2_b64 v[10:13], v61 offset1:32
	v_mul_u32_u24_sdwa v7, v8, s29 dst_sel:DWORD dst_unused:UNUSED_PAD src0_sel:WORD_0 src1_sel:DWORD
	s_waitcnt lgkmcnt(0)
	v_pk_fma_f16 v66, v10, v7, v66
	v_pk_fma_f16 v37, v11, v7, v37
	;; [unrolled: 1-line block ×4, first 2 shown]
	ds_read2_b64 v[10:13], v61 offset0:64 offset1:96
	v_mul_u32_u24_sdwa v7, v8, s29 dst_sel:DWORD dst_unused:UNUSED_PAD src0_sel:WORD_1 src1_sel:DWORD
	s_waitcnt lgkmcnt(0)
	v_pk_fma_f16 v8, v10, v7, v66
	v_pk_fma_f16 v37, v11, v7, v37
	;; [unrolled: 1-line block ×4, first 2 shown]
	ds_read2_b64 v[10:13], v61 offset0:128 offset1:160
	v_mul_u32_u24_sdwa v7, v9, s29 dst_sel:DWORD dst_unused:UNUSED_PAD src0_sel:WORD_0 src1_sel:DWORD
	s_waitcnt lgkmcnt(0)
	v_pk_fma_f16 v8, v10, v7, v8
	v_pk_fma_f16 v37, v11, v7, v37
	;; [unrolled: 1-line block ×4, first 2 shown]
	ds_read2_b64 v[10:13], v61 offset0:192 offset1:224
	v_mul_u32_u24_sdwa v7, v9, s29 dst_sel:DWORD dst_unused:UNUSED_PAD src0_sel:WORD_1 src1_sel:DWORD
	s_waitcnt lgkmcnt(0)
	v_pk_fma_f16 v12, v12, v7, v38
	v_add_u32_e32 v38, 0x3000, v35
	v_pk_fma_f16 v10, v10, v7, v8
	v_pk_fma_f16 v11, v11, v7, v37
	;; [unrolled: 1-line block ×3, first 2 shown]
	ds_read2_b64 v[6:9], v38 offset1:32
	v_mul_u32_u24_sdwa v37, v2, s29 dst_sel:DWORD dst_unused:UNUSED_PAD src0_sel:WORD_0 src1_sel:DWORD
	v_mul_u32_u24_sdwa v2, v2, s29 dst_sel:DWORD dst_unused:UNUSED_PAD src0_sel:WORD_1 src1_sel:DWORD
	s_waitcnt lgkmcnt(0)
	v_pk_fma_f16 v10, v6, v37, v10
	v_pk_fma_f16 v11, v7, v37, v11
	;; [unrolled: 1-line block ×4, first 2 shown]
	ds_read2_b64 v[6:9], v38 offset0:64 offset1:96
	v_add_u32_e32 v37, 0x3800, v35
	s_waitcnt lgkmcnt(0)
	v_pk_fma_f16 v10, v6, v2, v10
	v_pk_fma_f16 v11, v7, v2, v11
	;; [unrolled: 1-line block ×4, first 2 shown]
	ds_read2_b64 v[6:9], v38 offset0:128 offset1:160
	v_mul_u32_u24_sdwa v13, v3, s29 dst_sel:DWORD dst_unused:UNUSED_PAD src0_sel:WORD_0 src1_sel:DWORD
	v_mul_u32_u24_sdwa v3, v3, s29 dst_sel:DWORD dst_unused:UNUSED_PAD src0_sel:WORD_1 src1_sel:DWORD
	s_waitcnt lgkmcnt(0)
	v_pk_fma_f16 v10, v6, v13, v10
	v_pk_fma_f16 v11, v7, v13, v11
	;; [unrolled: 1-line block ×4, first 2 shown]
	ds_read2_b64 v[6:9], v38 offset0:192 offset1:224
	s_waitcnt lgkmcnt(0)
	v_pk_fma_f16 v10, v6, v3, v10
	v_pk_fma_f16 v11, v7, v3, v11
	;; [unrolled: 1-line block ×4, first 2 shown]
	ds_read2_b64 v[6:9], v37 offset1:32
	v_mul_u32_u24_sdwa v3, v4, s29 dst_sel:DWORD dst_unused:UNUSED_PAD src0_sel:WORD_0 src1_sel:DWORD
	s_waitcnt lgkmcnt(0)
	v_pk_fma_f16 v10, v6, v3, v10
	v_pk_fma_f16 v11, v7, v3, v11
	;; [unrolled: 1-line block ×4, first 2 shown]
	ds_read2_b64 v[6:9], v37 offset0:64 offset1:96
	v_mul_u32_u24_sdwa v3, v4, s29 dst_sel:DWORD dst_unused:UNUSED_PAD src0_sel:WORD_1 src1_sel:DWORD
	s_waitcnt lgkmcnt(0)
	v_pk_fma_f16 v4, v6, v3, v10
	v_pk_fma_f16 v10, v7, v3, v11
	;; [unrolled: 1-line block ×4, first 2 shown]
	ds_read2_b64 v[6:9], v37 offset0:128 offset1:160
	v_mul_u32_u24_sdwa v3, v5, s29 dst_sel:DWORD dst_unused:UNUSED_PAD src0_sel:WORD_0 src1_sel:DWORD
	s_waitcnt lgkmcnt(0)
	v_pk_fma_f16 v4, v6, v3, v4
	v_pk_fma_f16 v10, v7, v3, v10
	;; [unrolled: 1-line block ×4, first 2 shown]
	ds_read2_b64 v[6:9], v37 offset0:192 offset1:224
	v_mul_u32_u24_sdwa v3, v5, s29 dst_sel:DWORD dst_unused:UNUSED_PAD src0_sel:WORD_1 src1_sel:DWORD
	s_waitcnt lgkmcnt(0)
	s_barrier
	v_pk_fma_f16 v74, v6, v3, v4
	v_pk_fma_f16 v75, v7, v3, v10
	;; [unrolled: 1-line block ×4, first 2 shown]
	v_add_co_u32_e32 v2, vcc, s36, v25
	v_mov_b32_e32 v3, s37
	v_addc_co_u32_e32 v3, vcc, v3, v26, vcc
	v_add_co_u32_e32 v2, vcc, v2, v36
	v_addc_co_u32_e32 v3, vcc, 0, v3, vcc
	global_load_dwordx4 v[2:5], v[2:3], off
	s_waitcnt vmcnt(0)
	ds_write_b128 v54, v[2:5]
	v_add_co_u32_e32 v2, vcc, s36, v27
	v_mov_b32_e32 v3, s37
	v_addc_co_u32_e32 v3, vcc, v3, v28, vcc
	v_add_co_u32_e32 v2, vcc, v2, v36
	v_addc_co_u32_e32 v3, vcc, 0, v3, vcc
	global_load_dwordx4 v[2:5], v[2:3], off
	s_waitcnt vmcnt(0)
	ds_write_b128 v55, v[2:5]
	;; [unrolled: 8-line block ×4, first 2 shown]
	s_waitcnt lgkmcnt(0)
	s_barrier
	ds_read2_b64 v[66:69], v35 offset1:32
	ds_read_b128 v[70:73], v52 offset:64
	ds_read_b128 v[10:13], v52 offset:80
	ds_read_b128 v[6:9], v52 offset:96
	ds_read_b128 v[2:5], v52 offset:112
	s_waitcnt lgkmcnt(3)
	v_mul_u32_u24_sdwa v78, v70, s29 dst_sel:DWORD dst_unused:UNUSED_PAD src0_sel:WORD_0 src1_sel:DWORD
	v_pk_fma_f16 v74, v66, v78, v74
	v_pk_fma_f16 v75, v67, v78, v75
	;; [unrolled: 1-line block ×4, first 2 shown]
	ds_read2_b64 v[66:69], v35 offset0:64 offset1:96
	v_mul_u32_u24_sdwa v70, v70, s29 dst_sel:DWORD dst_unused:UNUSED_PAD src0_sel:WORD_1 src1_sel:DWORD
	s_waitcnt lgkmcnt(0)
	v_pk_fma_f16 v74, v66, v70, v74
	v_pk_fma_f16 v75, v67, v70, v75
	;; [unrolled: 1-line block ×4, first 2 shown]
	ds_read2_b64 v[66:69], v35 offset0:128 offset1:160
	v_mul_u32_u24_sdwa v77, v71, s29 dst_sel:DWORD dst_unused:UNUSED_PAD src0_sel:WORD_0 src1_sel:DWORD
	v_mul_u32_u24_sdwa v71, v71, s29 dst_sel:DWORD dst_unused:UNUSED_PAD src0_sel:WORD_1 src1_sel:DWORD
	s_waitcnt lgkmcnt(0)
	v_pk_fma_f16 v74, v66, v77, v74
	v_pk_fma_f16 v75, v67, v77, v75
	;; [unrolled: 1-line block ×4, first 2 shown]
	ds_read2_b64 v[66:69], v35 offset0:192 offset1:224
	s_waitcnt lgkmcnt(0)
	v_pk_fma_f16 v74, v66, v71, v74
	v_pk_fma_f16 v75, v67, v71, v75
	;; [unrolled: 1-line block ×4, first 2 shown]
	ds_read2_b64 v[66:69], v62 offset1:32
	v_mul_u32_u24_sdwa v71, v72, s29 dst_sel:DWORD dst_unused:UNUSED_PAD src0_sel:WORD_0 src1_sel:DWORD
	s_waitcnt lgkmcnt(0)
	v_pk_fma_f16 v74, v66, v71, v74
	v_pk_fma_f16 v75, v67, v71, v75
	;; [unrolled: 1-line block ×4, first 2 shown]
	ds_read2_b64 v[66:69], v62 offset0:64 offset1:96
	v_mul_u32_u24_sdwa v71, v72, s29 dst_sel:DWORD dst_unused:UNUSED_PAD src0_sel:WORD_1 src1_sel:DWORD
	s_waitcnt lgkmcnt(0)
	v_pk_fma_f16 v72, v66, v71, v74
	v_pk_fma_f16 v74, v67, v71, v75
	;; [unrolled: 1-line block ×4, first 2 shown]
	ds_read2_b64 v[66:69], v62 offset0:128 offset1:160
	v_mul_u32_u24_sdwa v71, v73, s29 dst_sel:DWORD dst_unused:UNUSED_PAD src0_sel:WORD_0 src1_sel:DWORD
	s_waitcnt lgkmcnt(0)
	v_pk_fma_f16 v72, v66, v71, v72
	v_pk_fma_f16 v74, v67, v71, v74
	;; [unrolled: 1-line block ×4, first 2 shown]
	ds_read2_b64 v[66:69], v62 offset0:192 offset1:224
	v_mul_u32_u24_sdwa v62, v73, s29 dst_sel:DWORD dst_unused:UNUSED_PAD src0_sel:WORD_1 src1_sel:DWORD
	s_waitcnt lgkmcnt(0)
	v_pk_fma_f16 v71, v66, v62, v72
	v_pk_fma_f16 v72, v67, v62, v74
	;; [unrolled: 1-line block ×4, first 2 shown]
	ds_read2_b64 v[66:69], v63 offset1:32
	v_mul_u32_u24_sdwa v70, v10, s29 dst_sel:DWORD dst_unused:UNUSED_PAD src0_sel:WORD_0 src1_sel:DWORD
	v_mul_u32_u24_sdwa v10, v10, s29 dst_sel:DWORD dst_unused:UNUSED_PAD src0_sel:WORD_1 src1_sel:DWORD
	s_waitcnt lgkmcnt(0)
	v_pk_fma_f16 v71, v66, v70, v71
	v_pk_fma_f16 v72, v67, v70, v72
	;; [unrolled: 1-line block ×4, first 2 shown]
	ds_read2_b64 v[66:69], v63 offset0:64 offset1:96
	s_waitcnt lgkmcnt(0)
	v_pk_fma_f16 v70, v66, v10, v71
	v_pk_fma_f16 v71, v67, v10, v72
	;; [unrolled: 1-line block ×4, first 2 shown]
	ds_read2_b64 v[66:69], v63 offset0:128 offset1:160
	v_mul_u32_u24_sdwa v62, v11, s29 dst_sel:DWORD dst_unused:UNUSED_PAD src0_sel:WORD_0 src1_sel:DWORD
	v_mul_u32_u24_sdwa v11, v11, s29 dst_sel:DWORD dst_unused:UNUSED_PAD src0_sel:WORD_1 src1_sel:DWORD
	s_waitcnt lgkmcnt(0)
	v_pk_fma_f16 v70, v66, v62, v70
	v_pk_fma_f16 v71, v67, v62, v71
	;; [unrolled: 1-line block ×4, first 2 shown]
	ds_read2_b64 v[66:69], v63 offset0:192 offset1:224
	s_waitcnt lgkmcnt(0)
	v_pk_fma_f16 v62, v66, v11, v70
	v_pk_fma_f16 v63, v67, v11, v71
	;; [unrolled: 1-line block ×4, first 2 shown]
	ds_read2_b64 v[66:69], v64 offset1:32
	v_mul_u32_u24_sdwa v11, v12, s29 dst_sel:DWORD dst_unused:UNUSED_PAD src0_sel:WORD_0 src1_sel:DWORD
	s_waitcnt lgkmcnt(0)
	v_pk_fma_f16 v62, v66, v11, v62
	v_pk_fma_f16 v63, v67, v11, v63
	;; [unrolled: 1-line block ×4, first 2 shown]
	ds_read2_b64 v[66:69], v64 offset0:64 offset1:96
	v_mul_u32_u24_sdwa v11, v12, s29 dst_sel:DWORD dst_unused:UNUSED_PAD src0_sel:WORD_1 src1_sel:DWORD
	s_waitcnt lgkmcnt(0)
	v_pk_fma_f16 v12, v66, v11, v62
	v_pk_fma_f16 v62, v67, v11, v63
	;; [unrolled: 1-line block ×4, first 2 shown]
	ds_read2_b64 v[66:69], v64 offset0:128 offset1:160
	v_mul_u32_u24_sdwa v11, v13, s29 dst_sel:DWORD dst_unused:UNUSED_PAD src0_sel:WORD_0 src1_sel:DWORD
	s_waitcnt lgkmcnt(0)
	v_pk_fma_f16 v12, v66, v11, v12
	v_pk_fma_f16 v62, v67, v11, v62
	;; [unrolled: 1-line block ×4, first 2 shown]
	ds_read2_b64 v[66:69], v64 offset0:192 offset1:224
	v_mul_u32_u24_sdwa v11, v13, s29 dst_sel:DWORD dst_unused:UNUSED_PAD src0_sel:WORD_1 src1_sel:DWORD
	s_waitcnt lgkmcnt(0)
	v_pk_fma_f16 v64, v66, v11, v12
	v_pk_fma_f16 v62, v67, v11, v62
	v_pk_fma_f16 v63, v68, v11, v63
	v_pk_fma_f16 v66, v69, v11, v10
	ds_read2_b64 v[10:13], v65 offset1:32
	v_mul_u32_u24_sdwa v67, v6, s29 dst_sel:DWORD dst_unused:UNUSED_PAD src0_sel:WORD_0 src1_sel:DWORD
	v_mul_u32_u24_sdwa v6, v6, s29 dst_sel:DWORD dst_unused:UNUSED_PAD src0_sel:WORD_1 src1_sel:DWORD
	s_waitcnt lgkmcnt(0)
	v_pk_fma_f16 v64, v10, v67, v64
	v_pk_fma_f16 v62, v11, v67, v62
	;; [unrolled: 1-line block ×4, first 2 shown]
	ds_read2_b64 v[10:13], v65 offset0:64 offset1:96
	s_waitcnt lgkmcnt(0)
	v_pk_fma_f16 v64, v10, v6, v64
	v_pk_fma_f16 v62, v11, v6, v62
	v_pk_fma_f16 v63, v12, v6, v63
	v_pk_fma_f16 v6, v13, v6, v66
	ds_read2_b64 v[10:13], v65 offset0:128 offset1:160
	v_mul_u32_u24_sdwa v66, v7, s29 dst_sel:DWORD dst_unused:UNUSED_PAD src0_sel:WORD_0 src1_sel:DWORD
	v_mul_u32_u24_sdwa v7, v7, s29 dst_sel:DWORD dst_unused:UNUSED_PAD src0_sel:WORD_1 src1_sel:DWORD
	s_waitcnt lgkmcnt(0)
	v_pk_fma_f16 v64, v10, v66, v64
	v_pk_fma_f16 v62, v11, v66, v62
	;; [unrolled: 1-line block ×4, first 2 shown]
	ds_read2_b64 v[10:13], v65 offset0:192 offset1:224
	s_waitcnt lgkmcnt(0)
	v_pk_fma_f16 v64, v10, v7, v64
	v_pk_fma_f16 v62, v11, v7, v62
	;; [unrolled: 1-line block ×4, first 2 shown]
	ds_read2_b64 v[10:13], v61 offset1:32
	v_mul_u32_u24_sdwa v7, v8, s29 dst_sel:DWORD dst_unused:UNUSED_PAD src0_sel:WORD_0 src1_sel:DWORD
	s_waitcnt lgkmcnt(0)
	v_pk_fma_f16 v64, v10, v7, v64
	v_pk_fma_f16 v62, v11, v7, v62
	;; [unrolled: 1-line block ×4, first 2 shown]
	ds_read2_b64 v[10:13], v61 offset0:64 offset1:96
	v_mul_u32_u24_sdwa v7, v8, s29 dst_sel:DWORD dst_unused:UNUSED_PAD src0_sel:WORD_1 src1_sel:DWORD
	s_waitcnt lgkmcnt(0)
	v_pk_fma_f16 v8, v10, v7, v64
	v_pk_fma_f16 v62, v11, v7, v62
	v_pk_fma_f16 v63, v12, v7, v63
	v_pk_fma_f16 v6, v13, v7, v6
	ds_read2_b64 v[10:13], v61 offset0:128 offset1:160
	v_mul_u32_u24_sdwa v7, v9, s29 dst_sel:DWORD dst_unused:UNUSED_PAD src0_sel:WORD_0 src1_sel:DWORD
	s_waitcnt lgkmcnt(0)
	v_pk_fma_f16 v8, v10, v7, v8
	v_pk_fma_f16 v62, v11, v7, v62
	;; [unrolled: 1-line block ×4, first 2 shown]
	ds_read2_b64 v[10:13], v61 offset0:192 offset1:224
	v_mul_u32_u24_sdwa v7, v9, s29 dst_sel:DWORD dst_unused:UNUSED_PAD src0_sel:WORD_1 src1_sel:DWORD
	v_mul_u32_u24_sdwa v61, v2, s29 dst_sel:DWORD dst_unused:UNUSED_PAD src0_sel:WORD_0 src1_sel:DWORD
	v_mul_u32_u24_sdwa v2, v2, s29 dst_sel:DWORD dst_unused:UNUSED_PAD src0_sel:WORD_1 src1_sel:DWORD
	s_waitcnt lgkmcnt(0)
	v_pk_fma_f16 v10, v10, v7, v8
	v_pk_fma_f16 v11, v11, v7, v62
	;; [unrolled: 1-line block ×4, first 2 shown]
	ds_read2_b64 v[6:9], v38 offset1:32
	s_waitcnt lgkmcnt(0)
	v_pk_fma_f16 v10, v6, v61, v10
	v_pk_fma_f16 v11, v7, v61, v11
	;; [unrolled: 1-line block ×4, first 2 shown]
	ds_read2_b64 v[6:9], v38 offset0:64 offset1:96
	s_waitcnt lgkmcnt(0)
	v_pk_fma_f16 v10, v6, v2, v10
	v_pk_fma_f16 v11, v7, v2, v11
	;; [unrolled: 1-line block ×4, first 2 shown]
	ds_read2_b64 v[6:9], v38 offset0:128 offset1:160
	v_mul_u32_u24_sdwa v13, v3, s29 dst_sel:DWORD dst_unused:UNUSED_PAD src0_sel:WORD_0 src1_sel:DWORD
	v_mul_u32_u24_sdwa v3, v3, s29 dst_sel:DWORD dst_unused:UNUSED_PAD src0_sel:WORD_1 src1_sel:DWORD
	s_waitcnt lgkmcnt(0)
	v_pk_fma_f16 v10, v6, v13, v10
	v_pk_fma_f16 v11, v7, v13, v11
	;; [unrolled: 1-line block ×4, first 2 shown]
	ds_read2_b64 v[6:9], v38 offset0:192 offset1:224
	s_waitcnt lgkmcnt(0)
	v_pk_fma_f16 v10, v6, v3, v10
	v_pk_fma_f16 v11, v7, v3, v11
	v_pk_fma_f16 v12, v8, v3, v12
	v_pk_fma_f16 v2, v9, v3, v2
	ds_read2_b64 v[6:9], v37 offset1:32
	v_mul_u32_u24_sdwa v3, v4, s29 dst_sel:DWORD dst_unused:UNUSED_PAD src0_sel:WORD_0 src1_sel:DWORD
	s_waitcnt lgkmcnt(0)
	v_pk_fma_f16 v10, v6, v3, v10
	v_pk_fma_f16 v11, v7, v3, v11
	;; [unrolled: 1-line block ×4, first 2 shown]
	ds_read2_b64 v[6:9], v37 offset0:64 offset1:96
	v_mul_u32_u24_sdwa v3, v4, s29 dst_sel:DWORD dst_unused:UNUSED_PAD src0_sel:WORD_1 src1_sel:DWORD
	s_waitcnt lgkmcnt(0)
	v_pk_fma_f16 v4, v6, v3, v10
	v_pk_fma_f16 v10, v7, v3, v11
	;; [unrolled: 1-line block ×4, first 2 shown]
	ds_read2_b64 v[6:9], v37 offset0:128 offset1:160
	v_mul_u32_u24_sdwa v3, v5, s29 dst_sel:DWORD dst_unused:UNUSED_PAD src0_sel:WORD_0 src1_sel:DWORD
	s_waitcnt lgkmcnt(0)
	v_pk_fma_f16 v4, v6, v3, v4
	v_pk_fma_f16 v10, v7, v3, v10
	;; [unrolled: 1-line block ×4, first 2 shown]
	ds_read2_b64 v[6:9], v37 offset0:192 offset1:224
	s_waitcnt lgkmcnt(0)
	s_barrier
	s_load_dword s36, s[10:11], 0x4
	v_mul_u32_u24_sdwa v3, v5, s29 dst_sel:DWORD dst_unused:UNUSED_PAD src0_sel:WORD_1 src1_sel:DWORD
	v_pk_fma_f16 v37, v6, v3, v4
	v_pk_fma_f16 v38, v7, v3, v10
	;; [unrolled: 1-line block ×3, first 2 shown]
	s_waitcnt lgkmcnt(0)
	s_lshl_b32 s36, s36, 6
	s_add_i32 s18, s36, s18
	v_pk_fma_f16 v10, v9, v3, v2
	s_cmp_lt_i32 s18, s15
	s_cbranch_scc0 .LBB49_16
; %bb.14:                               ;   in Loop: Header=BB49_8 Depth=1
	v_mov_b32_e32 v13, v15
	v_mov_b32_e32 v12, v44
	s_branch .LBB49_8
.LBB49_15:
	v_mov_b32_e32 v37, 0
	v_mov_b32_e32 v15, 0xfeffffff
	v_mov_b32_e32 v38, 0
	v_mov_b32_e32 v11, 0
	v_mov_b32_e32 v10, 0
.LBB49_16:
	s_cmp_gt_i32 s42, s18
	s_cbranch_scc1 .LBB49_18
; %bb.17:
	v_mbcnt_hi_u32_b32 v22, -1, v43
	v_and_b32_e32 v2, 0x60, v22
	v_add_u32_e32 v23, 32, v2
	v_xor_b32_e32 v28, 16, v22
	v_xor_b32_e32 v27, 8, v22
	;; [unrolled: 1-line block ×5, first 2 shown]
	s_cbranch_execz .LBB49_19
	s_branch .LBB49_29
.LBB49_18:
                                        ; implicit-def: $vgpr22
                                        ; implicit-def: $vgpr23
                                        ; implicit-def: $vgpr28
                                        ; implicit-def: $vgpr27
                                        ; implicit-def: $vgpr26
                                        ; implicit-def: $vgpr25
                                        ; implicit-def: $vgpr24
.LBB49_19:
	v_lshl_add_u32 v25, v1, 1, v46
	v_mul_lo_u32 v2, s12, v25
	s_mul_hi_i32 s11, s18, s12
	s_mul_i32 s10, s18, s12
	s_sub_i32 s22, s42, s18
	s_lshl_b64 s[10:11], s[10:11], 2
	v_ashrrev_i32_e32 v3, 31, v2
	s_add_u32 s15, s13, s10
	v_lshlrev_b64 v[5:6], 2, v[2:3]
	s_addc_u32 s14, s14, s11
	v_mov_b32_e32 v3, s14
	v_add_co_u32_e32 v5, vcc, s15, v5
	v_lshlrev_b32_e32 v26, 2, v45
	v_addc_co_u32_e32 v3, vcc, v3, v6, vcc
	v_add_co_u32_e32 v13, vcc, v5, v26
	s_mov_b64 s[6:7], src_private_base
	v_addc_co_u32_e32 v16, vcc, 0, v3, vcc
	v_mov_b32_e32 v4, 0
	v_mov_b32_e32 v7, s7
	v_cmp_gt_i32_e32 vcc, s22, v25
	v_mov_b32_e32 v8, 0
	buffer_store_dword v4, off, s[0:3], 0
	buffer_store_dword v4, off, s[0:3], 0 offset:4
	buffer_store_dword v4, off, s[0:3], 0 offset:8
	;; [unrolled: 1-line block ×3, first 2 shown]
	v_cndmask_b32_e32 v6, v7, v16, vcc
	v_cndmask_b32_e32 v5, v8, v13, vcc
	flat_load_dwordx4 v[17:20], v[5:6]
	s_lshl_b32 s23, s12, 4
	v_add_u32_e32 v2, s23, v2
	v_ashrrev_i32_e32 v3, 31, v2
	v_lshlrev_b64 v[21:22], 2, v[2:3]
	s_movk_i32 s6, 0x110
	v_mad_u32_u24 v6, v25, s6, v26
	v_mov_b32_e32 v9, s14
	v_add_co_u32_e64 v3, s[6:7], s15, v21
	v_addc_co_u32_e64 v12, s[6:7], v9, v22, s[6:7]
	v_add_co_u32_e64 v9, s[6:7], v3, v26
	v_add_u32_e32 v5, 16, v25
	v_addc_co_u32_e64 v12, s[6:7], 0, v12, s[6:7]
	v_cmp_gt_i32_e64 s[6:7], s22, v5
	buffer_store_dword v4, off, s[0:3], 0
	buffer_store_dword v4, off, s[0:3], 0 offset:4
	buffer_store_dword v4, off, s[0:3], 0 offset:8
	;; [unrolled: 1-line block ×3, first 2 shown]
	v_cndmask_b32_e64 v22, v7, v12, s[6:7]
	v_cndmask_b32_e64 v21, v8, v9, s[6:7]
	v_add_u32_e32 v2, s23, v2
	v_ashrrev_i32_e32 v3, 31, v2
	v_mov_b32_e32 v23, s14
	v_add_u32_e32 v5, 32, v25
	v_cmp_gt_i32_e64 s[12:13], s22, v5
	v_add_u32_e32 v5, 48, v25
	s_cmp_lg_u64 s[40:41], 0
	s_waitcnt vmcnt(0) lgkmcnt(0)
	ds_write_b128 v6, v[17:20]
	flat_load_dwordx4 v[19:22], v[21:22]
	v_lshlrev_b64 v[17:18], 2, v[2:3]
	buffer_store_dword v4, off, s[0:3], 0
	buffer_store_dword v4, off, s[0:3], 0 offset:4
	buffer_store_dword v4, off, s[0:3], 0 offset:8
	;; [unrolled: 1-line block ×3, first 2 shown]
	v_add_co_u32_e64 v3, s[10:11], s15, v17
	v_addc_co_u32_e64 v18, s[10:11], v23, v18, s[10:11]
	v_add_co_u32_e64 v17, s[10:11], v3, v26
	v_addc_co_u32_e64 v18, s[10:11], 0, v18, s[10:11]
	v_cndmask_b32_e64 v24, v7, v18, s[12:13]
	v_cndmask_b32_e64 v23, v8, v17, s[12:13]
	v_add_u32_e32 v2, s23, v2
	v_ashrrev_i32_e32 v3, 31, v2
	v_lshlrev_b64 v[2:3], 2, v[2:3]
	s_movk_i32 s23, 0x100
	v_add_co_u32_e64 v2, s[10:11], s15, v2
	s_waitcnt vmcnt(0) lgkmcnt(0)
	ds_write_b128 v6, v[19:22] offset:4352
	flat_load_dwordx4 v[21:24], v[23:24]
	v_mov_b32_e32 v19, s14
	v_addc_co_u32_e64 v3, s[10:11], v19, v3, s[10:11]
	v_add_co_u32_e64 v19, s[10:11], v2, v26
	v_addc_co_u32_e64 v20, s[10:11], 0, v3, s[10:11]
	v_cmp_gt_i32_e64 s[10:11], s22, v5
	v_cndmask_b32_e64 v3, v7, v20, s[10:11]
	v_cndmask_b32_e64 v2, v8, v19, s[10:11]
	buffer_store_dword v4, off, s[0:3], 0
	buffer_store_dword v4, off, s[0:3], 0 offset:4
	buffer_store_dword v4, off, s[0:3], 0 offset:8
	;; [unrolled: 1-line block ×3, first 2 shown]
	v_mul_u32_u24_e32 v5, 0x110, v0
	v_add_co_u32_e64 v13, s[14:15], s23, v13
	v_addc_co_u32_e64 v16, s[14:15], 0, v16, s[14:15]
	v_cndmask_b32_e32 v46, v7, v16, vcc
	v_cndmask_b32_e32 v45, v8, v13, vcc
	v_add_co_u32_e32 v9, vcc, s23, v9
	v_addc_co_u32_e32 v12, vcc, 0, v12, vcc
	v_cndmask_b32_e64 v13, v7, v12, s[6:7]
	v_cndmask_b32_e64 v12, v8, v9, s[6:7]
	v_add_co_u32_e32 v9, vcc, s23, v17
	s_cselect_b64 s[6:7], -1, 0
	s_waitcnt vmcnt(0) lgkmcnt(0)
	ds_write_b128 v6, v[21:24] offset:8704
	flat_load_dwordx4 v[21:24], v[2:3]
	v_mov_b32_e32 v3, 0
	v_mov_b32_e32 v2, 0
	s_waitcnt vmcnt(0) lgkmcnt(0)
	ds_write_b128 v6, v[21:24] offset:13056
	s_waitcnt lgkmcnt(0)
	s_barrier
	ds_read_b128 v[21:24], v5
	ds_read_b128 v[25:28], v42
	ds_read_b128 v[29:32], v5 offset:8704
	s_waitcnt lgkmcnt(1)
	;;#ASMSTART
	v_dot2_f32_f16 v3, v21, v25, v3
	;;#ASMEND
	;;#ASMSTART
	v_dot2_f32_f16 v3, v22, v26, v3
	;;#ASMEND
	;;#ASMSTART
	v_dot2_f32_f16 v3, v23, v27, v3
	;;#ASMEND
	;;#ASMSTART
	v_dot2_f32_f16 v3, v24, v28, v3
	;;#ASMEND
	s_waitcnt lgkmcnt(0)
	;;#ASMSTART
	v_dot2_f32_f16 v2, v29, v25, v2
	;;#ASMEND
	;;#ASMSTART
	v_dot2_f32_f16 v2, v30, v26, v2
	;;#ASMEND
	;;#ASMSTART
	v_dot2_f32_f16 v2, v31, v27, v2
	;;#ASMEND
	;;#ASMSTART
	v_dot2_f32_f16 v2, v32, v28, v2
	;;#ASMEND
	ds_read_b128 v[21:24], v5 offset:16
	ds_read_b128 v[25:28], v42 offset:16
	ds_read_b128 v[29:32], v5 offset:8720
	s_waitcnt lgkmcnt(1)
	;;#ASMSTART
	v_dot2_f32_f16 v3, v21, v25, v3
	;;#ASMEND
	;;#ASMSTART
	v_dot2_f32_f16 v3, v22, v26, v3
	;;#ASMEND
	;;#ASMSTART
	v_dot2_f32_f16 v3, v23, v27, v3
	;;#ASMEND
	;;#ASMSTART
	v_dot2_f32_f16 v3, v24, v28, v3
	;;#ASMEND
	s_waitcnt lgkmcnt(0)
	;;#ASMSTART
	v_dot2_f32_f16 v2, v29, v25, v2
	;;#ASMEND
	;;#ASMSTART
	v_dot2_f32_f16 v2, v30, v26, v2
	;;#ASMEND
	;;#ASMSTART
	v_dot2_f32_f16 v2, v31, v27, v2
	;;#ASMEND
	;;#ASMSTART
	v_dot2_f32_f16 v2, v32, v28, v2
	;;#ASMEND
	ds_read_b128 v[21:24], v5 offset:32
	ds_read_b128 v[25:28], v42 offset:32
	;; [unrolled: 29-line block ×15, first 2 shown]
	ds_read_b128 v[29:32], v5 offset:8944
	s_waitcnt lgkmcnt(1)
	;;#ASMSTART
	v_dot2_f32_f16 v3, v21, v25, v3
	;;#ASMEND
	;;#ASMSTART
	v_dot2_f32_f16 v3, v22, v26, v3
	;;#ASMEND
	;; [unrolled: 3-line block ×4, first 2 shown]
	s_waitcnt lgkmcnt(0)
	;;#ASMSTART
	v_dot2_f32_f16 v2, v29, v25, v2
	;;#ASMEND
	;;#ASMSTART
	v_dot2_f32_f16 v2, v30, v26, v2
	;;#ASMEND
	;; [unrolled: 3-line block ×4, first 2 shown]
	s_barrier
	buffer_store_dword v4, off, s[0:3], 0
	buffer_store_dword v4, off, s[0:3], 0 offset:4
	buffer_store_dword v4, off, s[0:3], 0 offset:8
	;; [unrolled: 1-line block ×3, first 2 shown]
	flat_load_dwordx4 v[21:24], v[45:46]
	s_nop 0
	buffer_store_dword v4, off, s[0:3], 0
	buffer_store_dword v4, off, s[0:3], 0 offset:4
	buffer_store_dword v4, off, s[0:3], 0 offset:8
	;; [unrolled: 1-line block ×3, first 2 shown]
	s_waitcnt vmcnt(0) lgkmcnt(0)
	ds_write_b128 v6, v[21:24]
	flat_load_dwordx4 v[21:24], v[12:13]
	v_addc_co_u32_e32 v12, vcc, 0, v18, vcc
	v_cndmask_b32_e64 v13, v7, v12, s[12:13]
	v_cndmask_b32_e64 v12, v8, v9, s[12:13]
	buffer_store_dword v4, off, s[0:3], 0
	buffer_store_dword v4, off, s[0:3], 0 offset:4
	buffer_store_dword v4, off, s[0:3], 0 offset:8
	;; [unrolled: 1-line block ×3, first 2 shown]
	s_waitcnt vmcnt(0) lgkmcnt(0)
	ds_write_b128 v6, v[21:24] offset:4352
	flat_load_dwordx4 v[21:24], v[12:13]
	v_add_co_u32_e32 v12, vcc, s23, v19
	v_addc_co_u32_e32 v9, vcc, 0, v20, vcc
	v_cndmask_b32_e64 v9, v7, v9, s[10:11]
	v_cndmask_b32_e64 v8, v8, v12, s[10:11]
	buffer_store_dword v4, off, s[0:3], 0
	buffer_store_dword v4, off, s[0:3], 0 offset:4
	buffer_store_dword v4, off, s[0:3], 0 offset:8
	buffer_store_dword v4, off, s[0:3], 0 offset:12
	v_mul_lo_u32 v12, v41, s19
	v_cmp_gt_i32_e32 vcc, s22, v0
	s_waitcnt vmcnt(0) lgkmcnt(0)
	ds_write_b128 v6, v[21:24] offset:8704
	flat_load_dwordx4 v[16:19], v[8:9]
	s_waitcnt vmcnt(0) lgkmcnt(0)
	ds_write_b128 v6, v[16:19] offset:13056
	s_waitcnt lgkmcnt(0)
	s_barrier
	ds_read_b128 v[6:9], v5
	ds_read_b128 v[16:19], v42 offset:256
	ds_read_b128 v[20:23], v5 offset:8704
	s_waitcnt lgkmcnt(1)
	;;#ASMSTART
	v_dot2_f32_f16 v3, v6, v16, v3
	;;#ASMEND
	;;#ASMSTART
	v_dot2_f32_f16 v3, v7, v17, v3
	;;#ASMEND
	;;#ASMSTART
	v_dot2_f32_f16 v3, v8, v18, v3
	;;#ASMEND
	;;#ASMSTART
	v_dot2_f32_f16 v3, v9, v19, v3
	;;#ASMEND
	s_waitcnt lgkmcnt(0)
	;;#ASMSTART
	v_dot2_f32_f16 v2, v20, v16, v2
	;;#ASMEND
	;;#ASMSTART
	v_dot2_f32_f16 v2, v21, v17, v2
	;;#ASMEND
	;;#ASMSTART
	v_dot2_f32_f16 v2, v22, v18, v2
	;;#ASMEND
	;;#ASMSTART
	v_dot2_f32_f16 v2, v23, v19, v2
	;;#ASMEND
	ds_read_b128 v[6:9], v5 offset:16
	ds_read_b128 v[16:19], v42 offset:272
	ds_read_b128 v[20:23], v5 offset:8720
	s_waitcnt lgkmcnt(1)
	;;#ASMSTART
	v_dot2_f32_f16 v3, v6, v16, v3
	;;#ASMEND
	;;#ASMSTART
	v_dot2_f32_f16 v3, v7, v17, v3
	;;#ASMEND
	;;#ASMSTART
	v_dot2_f32_f16 v3, v8, v18, v3
	;;#ASMEND
	;;#ASMSTART
	v_dot2_f32_f16 v3, v9, v19, v3
	;;#ASMEND
	s_waitcnt lgkmcnt(0)
	;;#ASMSTART
	v_dot2_f32_f16 v2, v20, v16, v2
	;;#ASMEND
	;;#ASMSTART
	v_dot2_f32_f16 v2, v21, v17, v2
	;;#ASMEND
	;;#ASMSTART
	v_dot2_f32_f16 v2, v22, v18, v2
	;;#ASMEND
	;;#ASMSTART
	v_dot2_f32_f16 v2, v23, v19, v2
	;;#ASMEND
	ds_read_b128 v[6:9], v5 offset:32
	;; [unrolled: 29-line block ×15, first 2 shown]
	ds_read_b128 v[20:23], v42 offset:496
	ds_read_b128 v[24:27], v5 offset:8944
	s_waitcnt lgkmcnt(1)
	;;#ASMSTART
	v_dot2_f32_f16 v3, v16, v20, v3
	;;#ASMEND
	;;#ASMSTART
	v_dot2_f32_f16 v3, v17, v21, v3
	;;#ASMEND
	;; [unrolled: 3-line block ×4, first 2 shown]
	s_waitcnt lgkmcnt(0)
	;;#ASMSTART
	v_dot2_f32_f16 v2, v24, v20, v2
	;;#ASMEND
	v_cndmask_b32_e64 v7, 0, 1, s[6:7]
	;;#ASMSTART
	v_dot2_f32_f16 v2, v25, v21, v2
	;;#ASMEND
	v_add_u32_e32 v6, s18, v12
	v_cmp_ne_u32_e64 s[6:7], 1, v7
	;;#ASMSTART
	v_dot2_f32_f16 v2, v26, v22, v2
	;;#ASMEND
	v_mov_b32_e32 v5, v15
	;;#ASMSTART
	v_dot2_f32_f16 v2, v27, v23, v2
	;;#ASMEND
	s_and_saveexec_b64 s[10:11], vcc
	s_cbranch_execz .LBB49_23
; %bb.20:
	s_and_b64 vcc, exec, s[6:7]
	s_cbranch_vccnz .LBB49_22
; %bb.21:
	v_add_u32_e32 v4, v6, v0
	v_ashrrev_i32_e32 v5, 31, v4
	v_lshlrev_b64 v[4:5], 1, v[4:5]
	v_mov_b32_e32 v7, s41
	v_add_co_u32_e32 v4, vcc, s40, v4
	v_addc_co_u32_e32 v5, vcc, v7, v5, vcc
	global_load_ushort v4, v[4:5], off
	s_waitcnt vmcnt(0)
	v_cvt_f32_f16_e32 v4, v4
	v_mul_f32_e32 v4, v40, v4
.LBB49_22:
	v_add_f32_e32 v3, v3, v4
	v_add_f32_e32 v4, 0x40051340, v3
	v_max_f32_e32 v5, v15, v15
	v_max_f32_e32 v5, v5, v4
.LBB49_23:
	s_or_b64 exec, exec, s[10:11]
	v_add_u32_e32 v4, 32, v0
	v_cmp_gt_i32_e32 vcc, s22, v4
	s_and_saveexec_b64 s[10:11], vcc
	s_cbranch_execz .LBB49_28
; %bb.24:
	s_and_b64 vcc, exec, s[6:7]
	s_cbranch_vccnz .LBB49_26
; %bb.25:
	v_ashrrev_i32_e32 v7, 31, v6
	v_add_co_u32_e32 v6, vcc, v6, v0
	v_addc_co_u32_e32 v7, vcc, 0, v7, vcc
	v_lshlrev_b64 v[6:7], 1, v[6:7]
	v_mov_b32_e32 v8, s41
	v_add_co_u32_e32 v6, vcc, s40, v6
	v_addc_co_u32_e32 v7, vcc, v8, v7, vcc
	global_load_ushort v6, v[6:7], off offset:64
	s_waitcnt vmcnt(0)
	v_cvt_f32_f16_e32 v6, v6
	v_mul_f32_e32 v6, v40, v6
	s_branch .LBB49_27
.LBB49_26:
	v_mov_b32_e32 v6, 0
.LBB49_27:
	v_add_f32_e32 v2, v2, v6
	v_add_f32_e32 v6, 0x40051340, v2
	v_max_f32_e32 v5, v5, v5
	v_max_f32_e32 v5, v5, v6
.LBB49_28:
	s_or_b64 exec, exec, s[10:11]
	v_mbcnt_hi_u32_b32 v22, -1, v43
	v_and_b32_e32 v6, 0x60, v22
	v_xor_b32_e32 v24, 1, v22
	v_add_u32_e32 v23, 32, v6
	v_cmp_lt_i32_e32 vcc, v24, v23
	v_xor_b32_e32 v25, 2, v22
	v_cndmask_b32_e32 v6, v22, v24, vcc
	v_cmp_lt_i32_e32 vcc, v25, v23
	v_xor_b32_e32 v26, 4, v22
	v_cndmask_b32_e32 v7, v22, v25, vcc
	v_cmp_lt_i32_e32 vcc, v26, v23
	v_xor_b32_e32 v27, 8, v22
	v_cndmask_b32_e32 v8, v22, v26, vcc
	v_cmp_lt_i32_e32 vcc, v27, v23
	v_xor_b32_e32 v28, 16, v22
	v_cndmask_b32_e32 v9, v22, v27, vcc
	v_cmp_lt_i32_e32 vcc, v28, v23
	v_cndmask_b32_e32 v12, v22, v28, vcc
	v_lshlrev_b32_e32 v12, 2, v12
	ds_bpermute_b32 v12, v12, v5
	v_max_f32_e32 v5, v5, v5
	v_lshlrev_b32_e32 v9, 2, v9
	v_lshlrev_b32_e32 v8, 2, v8
	;; [unrolled: 1-line block ×3, first 2 shown]
	s_waitcnt lgkmcnt(0)
	v_max_f32_e32 v12, v12, v12
	v_max_f32_e32 v5, v5, v12
	ds_bpermute_b32 v9, v9, v5
	v_lshlrev_b32_e32 v6, 2, v6
	s_mov_b32 s10, 0x3fb8aa3b
	s_mov_b32 s11, 0xc2ce8ed0
	;; [unrolled: 1-line block ×3, first 2 shown]
	s_waitcnt lgkmcnt(0)
	v_max_f32_e32 v9, v9, v9
	v_max_f32_e32 v5, v5, v9
	ds_bpermute_b32 v8, v8, v5
	v_cmp_gt_u32_e32 vcc, s22, v0
	v_lshlrev_b32_e32 v31, 7, v1
	s_waitcnt lgkmcnt(0)
	s_barrier
	v_max_f32_e32 v8, v8, v8
	v_max_f32_e32 v5, v5, v8
	ds_bpermute_b32 v7, v7, v5
	s_waitcnt lgkmcnt(0)
	v_mov_b32_e32 v32, 0
	v_mov_b32_e32 v43, 0
	v_add_u32_e32 v39, v39, v36
	v_max_f32_e32 v7, v7, v7
	v_max_f32_e32 v5, v5, v7
	ds_bpermute_b32 v6, v6, v5
	v_add_u32_e32 v47, 8, v1
	v_lshl_add_u32 v45, v47, 9, v36
	v_add_u32_e32 v46, 16, v1
	v_lshl_add_u32 v42, v46, 9, v36
	s_waitcnt lgkmcnt(0)
	v_max_f32_e32 v6, v6, v6
	v_max_f32_e32 v30, v5, v6
	v_sub_f32_e32 v3, v3, v30
	v_mul_f32_e32 v6, 0x3fb8aa3b, v3
	v_fma_f32 v7, v3, s10, -v6
	v_rndne_f32_e32 v8, v6
	v_fmac_f32_e32 v7, 0x32a5705f, v3
	v_sub_f32_e32 v6, v6, v8
	v_add_f32_e32 v6, v6, v7
	v_exp_f32_e32 v6, v6
	v_cvt_i32_f32_e32 v7, v8
	v_cmp_ngt_f32_e64 s[6:7], s11, v3
	v_sub_f32_e32 v2, v2, v30
	v_sub_f32_e32 v5, v15, v30
	v_ldexp_f32 v6, v6, v7
	v_cndmask_b32_e64 v6, 0, v6, s[6:7]
	v_cmp_nlt_f32_e64 s[6:7], s12, v3
	v_mov_b32_e32 v3, 0x7f800000
	v_cndmask_b32_e64 v6, v3, v6, s[6:7]
	v_cndmask_b32_e32 v6, 0, v6, vcc
	v_cmp_gt_u32_e32 vcc, s22, v4
	v_mul_f32_e32 v4, 0x3fb8aa3b, v2
	v_fma_f32 v8, v2, s10, -v4
	v_rndne_f32_e32 v9, v4
	v_fmac_f32_e32 v8, 0x32a5705f, v2
	v_sub_f32_e32 v4, v4, v9
	v_add_f32_e32 v4, v4, v8
	v_exp_f32_e32 v4, v4
	v_cvt_i32_f32_e32 v8, v9
	v_cmp_ngt_f32_e64 s[6:7], s11, v2
	v_cvt_f16_f32_e32 v7, v6
	v_ashrrev_i32_e32 v15, 31, v14
	v_ldexp_f32 v4, v4, v8
	v_cndmask_b32_e64 v4, 0, v4, s[6:7]
	v_cmp_nlt_f32_e64 s[6:7], s12, v2
	v_cndmask_b32_e64 v2, v3, v4, s[6:7]
	v_cndmask_b32_e32 v2, 0, v2, vcc
	v_mul_f32_e32 v4, 0x3fb8aa3b, v5
	v_add_f32_e32 v29, v6, v2
	v_fma_f32 v6, v5, s10, -v4
	v_rndne_f32_e32 v8, v4
	v_fmac_f32_e32 v6, 0x32a5705f, v5
	v_sub_f32_e32 v4, v4, v8
	v_add_f32_e32 v4, v4, v6
	v_exp_f32_e32 v4, v4
	v_cvt_i32_f32_e32 v6, v8
	v_cmp_ngt_f32_e32 vcc, s11, v5
	s_movk_i32 s6, 0x5400
	s_mul_hi_i32 s7, s18, s8
	v_ldexp_f32 v4, v4, v6
	v_cndmask_b32_e32 v4, 0, v4, vcc
	v_cmp_nlt_f32_e32 vcc, s12, v5
	v_cndmask_b32_e32 v3, v3, v4, vcc
	v_fmac_f32_e32 v29, v44, v3
	v_cvt_f16_f32_e32 v3, v3
	v_cvt_f16_f32_e32 v2, v2
	s_mov_b64 s[10:11], src_private_base
	v_lshlrev_b64 v[20:21], 2, v[14:15]
	v_mul_u32_u24_e32 v48, 0x10001, v3
	v_lshlrev_b32_e32 v3, 1, v0
	v_add3_u32 v3, v31, s6, v3
	s_lshl_b32 s6, s8, 3
	v_add_u32_e32 v6, s6, v14
	v_add_u32_e32 v8, s6, v6
	v_pk_mul_f16 v50, v10, v48
	v_add_u32_e32 v10, s6, v8
	s_mul_i32 s6, s18, s8
	s_lshl_b64 s[6:7], s[6:7], 2
	s_add_u32 s10, s16, s6
	s_addc_u32 s13, s17, s7
	ds_write_b16 v3, v7
	ds_write_b16 v3, v2 offset:64
	v_add_co_u32_e64 v2, s[6:7], s10, v20
	v_mov_b32_e32 v3, s13
	v_addc_co_u32_e64 v3, s[6:7], v3, v21, s[6:7]
	v_add_co_u32_e64 v2, s[6:7], v2, v36
	v_cmp_gt_i32_e32 vcc, s22, v1
	v_addc_co_u32_e64 v3, s[6:7], 0, v3, s[6:7]
	v_mov_b32_e32 v44, s11
	buffer_store_dword v32, off, s[0:3], 0
	buffer_store_dword v32, off, s[0:3], 0 offset:4
	buffer_store_dword v32, off, s[0:3], 0 offset:8
	;; [unrolled: 1-line block ×3, first 2 shown]
	v_cndmask_b32_e32 v3, v44, v3, vcc
	v_cndmask_b32_e32 v2, v43, v2, vcc
	flat_load_dwordx4 v[2:5], v[2:3]
	v_ashrrev_i32_e32 v7, 31, v6
	v_lshlrev_b64 v[16:17], 2, v[6:7]
	v_cmp_gt_i32_e32 vcc, s22, v47
	v_ashrrev_i32_e32 v9, 31, v8
	v_lshlrev_b64 v[18:19], 2, v[8:9]
	v_pk_mul_f16 v49, v11, v48
	v_ashrrev_i32_e32 v11, 31, v10
	v_lshlrev_b64 v[14:15], 2, v[10:11]
	v_add_u32_e32 v41, 24, v1
	v_lshl_add_u32 v40, v41, 9, v36
	s_mov_b32 s12, 0x10001
	s_waitcnt vmcnt(0) lgkmcnt(0)
	ds_write_b128 v39, v[2:5]
	v_add_co_u32_e64 v2, s[6:7], s10, v16
	v_mov_b32_e32 v3, s13
	v_addc_co_u32_e64 v3, s[6:7], v3, v17, s[6:7]
	v_add_co_u32_e64 v2, s[6:7], v2, v36
	v_addc_co_u32_e64 v3, s[6:7], 0, v3, s[6:7]
	buffer_store_dword v32, off, s[0:3], 0
	buffer_store_dword v32, off, s[0:3], 0 offset:4
	buffer_store_dword v32, off, s[0:3], 0 offset:8
	;; [unrolled: 1-line block ×3, first 2 shown]
	v_cndmask_b32_e32 v3, v44, v3, vcc
	v_cndmask_b32_e32 v2, v43, v2, vcc
	flat_load_dwordx4 v[2:5], v[2:3]
	v_cmp_gt_i32_e32 vcc, s22, v46
	s_waitcnt vmcnt(0) lgkmcnt(0)
	ds_write_b128 v45, v[2:5]
	v_add_co_u32_e64 v2, s[6:7], s10, v18
	v_mov_b32_e32 v3, s13
	v_addc_co_u32_e64 v3, s[6:7], v3, v19, s[6:7]
	v_add_co_u32_e64 v2, s[6:7], v2, v36
	v_addc_co_u32_e64 v3, s[6:7], 0, v3, s[6:7]
	buffer_store_dword v32, off, s[0:3], 0
	buffer_store_dword v32, off, s[0:3], 0 offset:4
	buffer_store_dword v32, off, s[0:3], 0 offset:8
	;; [unrolled: 1-line block ×3, first 2 shown]
	v_cndmask_b32_e32 v3, v44, v3, vcc
	v_cndmask_b32_e32 v2, v43, v2, vcc
	flat_load_dwordx4 v[2:5], v[2:3]
	v_cmp_gt_i32_e32 vcc, s22, v41
	s_waitcnt vmcnt(0) lgkmcnt(0)
	ds_write_b128 v42, v[2:5]
	v_add_co_u32_e64 v2, s[6:7], s10, v14
	v_mov_b32_e32 v3, s13
	v_addc_co_u32_e64 v3, s[6:7], v3, v15, s[6:7]
	v_add_co_u32_e64 v2, s[6:7], v2, v36
	v_addc_co_u32_e64 v3, s[6:7], 0, v3, s[6:7]
	buffer_store_dword v32, off, s[0:3], 0
	buffer_store_dword v32, off, s[0:3], 0 offset:4
	buffer_store_dword v32, off, s[0:3], 0 offset:8
	buffer_store_dword v32, off, s[0:3], 0 offset:12
	v_cndmask_b32_e32 v3, v44, v3, vcc
	v_cndmask_b32_e32 v2, v43, v2, vcc
	flat_load_dwordx4 v[2:5], v[2:3]
	s_or_b32 s6, s18, 32
	s_mul_hi_i32 s7, s6, s8
	s_mul_i32 s6, s6, s8
	s_lshl_b64 s[6:7], s[6:7], 2
	s_add_u32 s10, s16, s6
	s_addc_u32 s8, s17, s7
	s_sub_i32 s11, s22, 32
	v_cmp_gt_i32_e32 vcc, s11, v1
	v_add_co_u32_e64 v1, s[6:7], s10, v20
	s_waitcnt vmcnt(0) lgkmcnt(0)
	ds_write_b128 v40, v[2:5]
	s_waitcnt lgkmcnt(0)
	s_barrier
	ds_read2_b64 v[51:54], v35 offset1:32
	ds_read_b128 v[55:58], v31 offset:21504
	ds_read_b128 v[10:13], v31 offset:21520
	ds_read_b128 v[6:9], v31 offset:21536
	ds_read_b128 v[2:5], v31 offset:21552
	s_waitcnt lgkmcnt(3)
	v_mul_u32_u24_sdwa v59, v55, s12 dst_sel:DWORD dst_unused:UNUSED_PAD src0_sel:WORD_0 src1_sel:DWORD
	v_pk_mul_f16 v51, v51, v59
	v_pk_fma_f16 v37, v37, v48, v51
	v_pk_mul_f16 v51, v52, v59
	v_pk_fma_f16 v38, v38, v48, v51
	v_pk_fma_f16 v52, v53, v59, v49
	;; [unrolled: 1-line block ×3, first 2 shown]
	ds_read2_b64 v[48:51], v35 offset0:64 offset1:96
	v_mul_u32_u24_sdwa v54, v55, s12 dst_sel:DWORD dst_unused:UNUSED_PAD src0_sel:WORD_1 src1_sel:DWORD
	s_waitcnt lgkmcnt(0)
	v_pk_fma_f16 v37, v48, v54, v37
	v_pk_fma_f16 v38, v49, v54, v38
	;; [unrolled: 1-line block ×4, first 2 shown]
	ds_read2_b64 v[48:51], v35 offset0:128 offset1:160
	v_mul_u32_u24_sdwa v54, v56, s12 dst_sel:DWORD dst_unused:UNUSED_PAD src0_sel:WORD_0 src1_sel:DWORD
	s_waitcnt lgkmcnt(0)
	v_pk_fma_f16 v37, v48, v54, v37
	v_pk_fma_f16 v38, v49, v54, v38
	;; [unrolled: 1-line block ×4, first 2 shown]
	ds_read2_b64 v[48:51], v35 offset0:192 offset1:224
	v_mul_u32_u24_sdwa v54, v56, s12 dst_sel:DWORD dst_unused:UNUSED_PAD src0_sel:WORD_1 src1_sel:DWORD
	s_waitcnt lgkmcnt(0)
	v_pk_fma_f16 v55, v48, v54, v37
	v_add_u32_e32 v37, 0x800, v35
	v_pk_fma_f16 v38, v49, v54, v38
	v_pk_fma_f16 v52, v50, v54, v52
	;; [unrolled: 1-line block ×3, first 2 shown]
	ds_read2_b64 v[48:51], v37 offset1:32
	v_mul_u32_u24_sdwa v54, v57, s12 dst_sel:DWORD dst_unused:UNUSED_PAD src0_sel:WORD_0 src1_sel:DWORD
	s_waitcnt lgkmcnt(0)
	v_pk_fma_f16 v55, v48, v54, v55
	v_pk_fma_f16 v38, v49, v54, v38
	;; [unrolled: 1-line block ×4, first 2 shown]
	ds_read2_b64 v[48:51], v37 offset0:64 offset1:96
	v_mul_u32_u24_sdwa v54, v57, s12 dst_sel:DWORD dst_unused:UNUSED_PAD src0_sel:WORD_1 src1_sel:DWORD
	s_waitcnt lgkmcnt(0)
	v_pk_fma_f16 v55, v48, v54, v55
	v_pk_fma_f16 v38, v49, v54, v38
	;; [unrolled: 1-line block ×4, first 2 shown]
	ds_read2_b64 v[48:51], v37 offset0:128 offset1:160
	v_mul_u32_u24_sdwa v54, v58, s12 dst_sel:DWORD dst_unused:UNUSED_PAD src0_sel:WORD_0 src1_sel:DWORD
	s_waitcnt lgkmcnt(0)
	v_pk_fma_f16 v55, v48, v54, v55
	v_pk_fma_f16 v38, v49, v54, v38
	;; [unrolled: 1-line block ×4, first 2 shown]
	ds_read2_b64 v[48:51], v37 offset0:192 offset1:224
	v_mul_u32_u24_sdwa v54, v58, s12 dst_sel:DWORD dst_unused:UNUSED_PAD src0_sel:WORD_1 src1_sel:DWORD
	s_waitcnt lgkmcnt(0)
	v_pk_fma_f16 v56, v49, v54, v38
	v_add_u32_e32 v38, 0x1000, v35
	v_pk_fma_f16 v55, v48, v54, v55
	v_pk_fma_f16 v52, v50, v54, v52
	;; [unrolled: 1-line block ×3, first 2 shown]
	ds_read2_b64 v[48:51], v38 offset1:32
	v_mul_u32_u24_sdwa v54, v10, s12 dst_sel:DWORD dst_unused:UNUSED_PAD src0_sel:WORD_0 src1_sel:DWORD
	v_mul_u32_u24_sdwa v10, v10, s12 dst_sel:DWORD dst_unused:UNUSED_PAD src0_sel:WORD_1 src1_sel:DWORD
	s_waitcnt lgkmcnt(0)
	v_pk_fma_f16 v55, v48, v54, v55
	v_pk_fma_f16 v56, v49, v54, v56
	;; [unrolled: 1-line block ×4, first 2 shown]
	ds_read2_b64 v[48:51], v38 offset0:64 offset1:96
	s_waitcnt lgkmcnt(0)
	v_pk_fma_f16 v54, v48, v10, v55
	v_pk_fma_f16 v55, v49, v10, v56
	;; [unrolled: 1-line block ×4, first 2 shown]
	ds_read2_b64 v[48:51], v38 offset0:128 offset1:160
	v_mul_u32_u24_sdwa v53, v11, s12 dst_sel:DWORD dst_unused:UNUSED_PAD src0_sel:WORD_0 src1_sel:DWORD
	v_mul_u32_u24_sdwa v11, v11, s12 dst_sel:DWORD dst_unused:UNUSED_PAD src0_sel:WORD_1 src1_sel:DWORD
	s_waitcnt lgkmcnt(0)
	v_pk_fma_f16 v54, v48, v53, v54
	v_pk_fma_f16 v55, v49, v53, v55
	;; [unrolled: 1-line block ×4, first 2 shown]
	ds_read2_b64 v[48:51], v38 offset0:192 offset1:224
	s_waitcnt lgkmcnt(0)
	v_pk_fma_f16 v53, v48, v11, v54
	v_pk_fma_f16 v54, v49, v11, v55
	v_pk_fma_f16 v52, v50, v11, v52
	v_pk_fma_f16 v11, v51, v11, v10
	v_add_u32_e32 v10, 0x1800, v35
	ds_read2_b64 v[48:51], v10 offset1:32
	v_mul_u32_u24_sdwa v55, v12, s12 dst_sel:DWORD dst_unused:UNUSED_PAD src0_sel:WORD_0 src1_sel:DWORD
	v_mul_u32_u24_sdwa v12, v12, s12 dst_sel:DWORD dst_unused:UNUSED_PAD src0_sel:WORD_1 src1_sel:DWORD
	s_waitcnt lgkmcnt(0)
	v_pk_fma_f16 v53, v48, v55, v53
	v_pk_fma_f16 v54, v49, v55, v54
	v_pk_fma_f16 v52, v50, v55, v52
	v_pk_fma_f16 v11, v51, v55, v11
	ds_read2_b64 v[48:51], v10 offset0:64 offset1:96
	s_waitcnt lgkmcnt(0)
	v_pk_fma_f16 v53, v48, v12, v53
	v_pk_fma_f16 v54, v49, v12, v54
	;; [unrolled: 1-line block ×4, first 2 shown]
	ds_read2_b64 v[48:51], v10 offset0:128 offset1:160
	v_mul_u32_u24_sdwa v12, v13, s12 dst_sel:DWORD dst_unused:UNUSED_PAD src0_sel:WORD_0 src1_sel:DWORD
	s_waitcnt lgkmcnt(0)
	v_pk_fma_f16 v53, v48, v12, v53
	v_pk_fma_f16 v54, v49, v12, v54
	;; [unrolled: 1-line block ×4, first 2 shown]
	ds_read2_b64 v[48:51], v10 offset0:192 offset1:224
	v_mul_u32_u24_sdwa v12, v13, s12 dst_sel:DWORD dst_unused:UNUSED_PAD src0_sel:WORD_1 src1_sel:DWORD
	s_waitcnt lgkmcnt(0)
	v_pk_fma_f16 v13, v48, v12, v53
	v_pk_fma_f16 v53, v49, v12, v54
	;; [unrolled: 1-line block ×4, first 2 shown]
	v_add_u32_e32 v11, 0x2000, v35
	ds_read2_b64 v[48:51], v11 offset1:32
	v_mul_u32_u24_sdwa v54, v6, s12 dst_sel:DWORD dst_unused:UNUSED_PAD src0_sel:WORD_0 src1_sel:DWORD
	v_mul_u32_u24_sdwa v6, v6, s12 dst_sel:DWORD dst_unused:UNUSED_PAD src0_sel:WORD_1 src1_sel:DWORD
	s_waitcnt lgkmcnt(0)
	v_pk_fma_f16 v13, v48, v54, v13
	v_pk_fma_f16 v53, v49, v54, v53
	;; [unrolled: 1-line block ×4, first 2 shown]
	ds_read2_b64 v[48:51], v11 offset0:64 offset1:96
	s_waitcnt lgkmcnt(0)
	v_pk_fma_f16 v13, v48, v6, v13
	v_pk_fma_f16 v53, v49, v6, v53
	;; [unrolled: 1-line block ×4, first 2 shown]
	ds_read2_b64 v[48:51], v11 offset0:128 offset1:160
	v_mul_u32_u24_sdwa v12, v7, s12 dst_sel:DWORD dst_unused:UNUSED_PAD src0_sel:WORD_0 src1_sel:DWORD
	v_mul_u32_u24_sdwa v7, v7, s12 dst_sel:DWORD dst_unused:UNUSED_PAD src0_sel:WORD_1 src1_sel:DWORD
	s_waitcnt lgkmcnt(0)
	v_pk_fma_f16 v13, v48, v12, v13
	v_pk_fma_f16 v53, v49, v12, v53
	;; [unrolled: 1-line block ×4, first 2 shown]
	ds_read2_b64 v[48:51], v11 offset0:192 offset1:224
	s_waitcnt lgkmcnt(0)
	v_pk_fma_f16 v12, v48, v7, v13
	v_pk_fma_f16 v13, v49, v7, v53
	;; [unrolled: 1-line block ×4, first 2 shown]
	v_add_u32_e32 v6, 0x2800, v35
	ds_read2_b64 v[48:51], v6 offset1:32
	v_mul_u32_u24_sdwa v53, v8, s12 dst_sel:DWORD dst_unused:UNUSED_PAD src0_sel:WORD_0 src1_sel:DWORD
	v_mul_u32_u24_sdwa v8, v8, s12 dst_sel:DWORD dst_unused:UNUSED_PAD src0_sel:WORD_1 src1_sel:DWORD
	s_waitcnt lgkmcnt(0)
	v_pk_fma_f16 v12, v48, v53, v12
	v_pk_fma_f16 v13, v49, v53, v13
	;; [unrolled: 1-line block ×4, first 2 shown]
	ds_read2_b64 v[48:51], v6 offset0:64 offset1:96
	s_waitcnt lgkmcnt(0)
	v_pk_fma_f16 v12, v48, v8, v12
	v_pk_fma_f16 v13, v49, v8, v13
	;; [unrolled: 1-line block ×4, first 2 shown]
	ds_read2_b64 v[48:51], v6 offset0:128 offset1:160
	v_mul_u32_u24_sdwa v8, v9, s12 dst_sel:DWORD dst_unused:UNUSED_PAD src0_sel:WORD_0 src1_sel:DWORD
	s_waitcnt lgkmcnt(0)
	v_pk_fma_f16 v12, v48, v8, v12
	v_pk_fma_f16 v13, v49, v8, v13
	;; [unrolled: 1-line block ×4, first 2 shown]
	ds_read2_b64 v[48:51], v6 offset0:192 offset1:224
	v_mul_u32_u24_sdwa v8, v9, s12 dst_sel:DWORD dst_unused:UNUSED_PAD src0_sel:WORD_1 src1_sel:DWORD
	s_waitcnt lgkmcnt(0)
	v_pk_fma_f16 v9, v48, v8, v12
	v_pk_fma_f16 v12, v49, v8, v13
	;; [unrolled: 1-line block ×4, first 2 shown]
	v_add_u32_e32 v7, 0x3000, v35
	ds_read2_b64 v[48:51], v7 offset1:32
	v_mul_u32_u24_sdwa v52, v2, s12 dst_sel:DWORD dst_unused:UNUSED_PAD src0_sel:WORD_0 src1_sel:DWORD
	v_mul_u32_u24_sdwa v2, v2, s12 dst_sel:DWORD dst_unused:UNUSED_PAD src0_sel:WORD_1 src1_sel:DWORD
	s_waitcnt lgkmcnt(0)
	v_pk_fma_f16 v9, v48, v52, v9
	v_pk_fma_f16 v12, v49, v52, v12
	;; [unrolled: 1-line block ×4, first 2 shown]
	ds_read2_b64 v[48:51], v7 offset0:64 offset1:96
	s_waitcnt lgkmcnt(0)
	v_pk_fma_f16 v9, v48, v2, v9
	v_pk_fma_f16 v12, v49, v2, v12
	;; [unrolled: 1-line block ×4, first 2 shown]
	ds_read2_b64 v[48:51], v7 offset0:128 offset1:160
	v_mul_u32_u24_sdwa v8, v3, s12 dst_sel:DWORD dst_unused:UNUSED_PAD src0_sel:WORD_0 src1_sel:DWORD
	v_mul_u32_u24_sdwa v3, v3, s12 dst_sel:DWORD dst_unused:UNUSED_PAD src0_sel:WORD_1 src1_sel:DWORD
	s_waitcnt lgkmcnt(0)
	v_pk_fma_f16 v9, v48, v8, v9
	v_pk_fma_f16 v12, v49, v8, v12
	;; [unrolled: 1-line block ×4, first 2 shown]
	ds_read2_b64 v[48:51], v7 offset0:192 offset1:224
	s_waitcnt lgkmcnt(0)
	v_pk_fma_f16 v8, v48, v3, v9
	v_pk_fma_f16 v9, v49, v3, v12
	;; [unrolled: 1-line block ×4, first 2 shown]
	v_add_u32_e32 v3, 0x3800, v35
	ds_read2_b64 v[48:51], v3 offset1:32
	v_mul_u32_u24_sdwa v13, v4, s12 dst_sel:DWORD dst_unused:UNUSED_PAD src0_sel:WORD_0 src1_sel:DWORD
	v_mul_u32_u24_sdwa v4, v4, s12 dst_sel:DWORD dst_unused:UNUSED_PAD src0_sel:WORD_1 src1_sel:DWORD
	s_waitcnt lgkmcnt(0)
	v_pk_fma_f16 v8, v48, v13, v8
	v_pk_fma_f16 v9, v49, v13, v9
	;; [unrolled: 1-line block ×4, first 2 shown]
	ds_read2_b64 v[48:51], v3 offset0:64 offset1:96
	v_mul_u32_u24_sdwa v13, v5, s12 dst_sel:DWORD dst_unused:UNUSED_PAD src0_sel:WORD_1 src1_sel:DWORD
	s_waitcnt lgkmcnt(0)
	v_pk_fma_f16 v8, v48, v4, v8
	v_pk_fma_f16 v9, v49, v4, v9
	;; [unrolled: 1-line block ×4, first 2 shown]
	ds_read2_b64 v[48:51], v3 offset0:128 offset1:160
	v_mul_u32_u24_sdwa v4, v5, s12 dst_sel:DWORD dst_unused:UNUSED_PAD src0_sel:WORD_0 src1_sel:DWORD
	s_waitcnt lgkmcnt(0)
	v_pk_fma_f16 v8, v48, v4, v8
	v_pk_fma_f16 v9, v49, v4, v9
	;; [unrolled: 1-line block ×4, first 2 shown]
	ds_read2_b64 v[48:51], v3 offset0:192 offset1:224
	s_waitcnt lgkmcnt(0)
	s_barrier
	buffer_store_dword v32, off, s[0:3], 0
	buffer_store_dword v32, off, s[0:3], 0 offset:4
	buffer_store_dword v32, off, s[0:3], 0 offset:8
	;; [unrolled: 1-line block ×3, first 2 shown]
	v_pk_fma_f16 v5, v49, v13, v9
	v_pk_fma_f16 v9, v51, v13, v2
	v_mov_b32_e32 v2, s8
	v_addc_co_u32_e64 v2, s[6:7], v2, v21, s[6:7]
	v_add_co_u32_e64 v1, s[6:7], v1, v36
	v_addc_co_u32_e64 v2, s[6:7], 0, v2, s[6:7]
	v_cndmask_b32_e32 v2, v44, v2, vcc
	v_cndmask_b32_e32 v1, v43, v1, vcc
	v_pk_fma_f16 v4, v48, v13, v8
	v_pk_fma_f16 v8, v50, v13, v12
	flat_load_dwordx4 v[48:51], v[1:2]
	v_add_co_u32_e64 v1, s[6:7], s10, v16
	v_mov_b32_e32 v2, s8
	v_addc_co_u32_e64 v2, s[6:7], v2, v17, s[6:7]
	v_add_co_u32_e64 v1, s[6:7], v1, v36
	v_cmp_gt_i32_e32 vcc, s11, v47
	v_addc_co_u32_e64 v2, s[6:7], 0, v2, s[6:7]
	v_cndmask_b32_e32 v2, v44, v2, vcc
	v_cndmask_b32_e32 v1, v43, v1, vcc
	v_cmp_gt_i32_e32 vcc, s11, v46
	s_waitcnt vmcnt(0) lgkmcnt(0)
	ds_write_b128 v39, v[48:51]
	buffer_store_dword v32, off, s[0:3], 0
	buffer_store_dword v32, off, s[0:3], 0 offset:4
	buffer_store_dword v32, off, s[0:3], 0 offset:8
	;; [unrolled: 1-line block ×3, first 2 shown]
	flat_load_dwordx4 v[47:50], v[1:2]
	v_add_co_u32_e64 v1, s[6:7], s10, v18
	v_mov_b32_e32 v2, s8
	v_addc_co_u32_e64 v2, s[6:7], v2, v19, s[6:7]
	v_add_co_u32_e64 v1, s[6:7], v1, v36
	v_addc_co_u32_e64 v2, s[6:7], 0, v2, s[6:7]
	v_cndmask_b32_e32 v2, v44, v2, vcc
	v_cndmask_b32_e32 v1, v43, v1, vcc
	v_cmp_gt_i32_e32 vcc, s11, v41
	s_waitcnt vmcnt(0) lgkmcnt(0)
	ds_write_b128 v45, v[47:50]
	buffer_store_dword v32, off, s[0:3], 0
	buffer_store_dword v32, off, s[0:3], 0 offset:4
	buffer_store_dword v32, off, s[0:3], 0 offset:8
	;; [unrolled: 1-line block ×3, first 2 shown]
	flat_load_dwordx4 v[16:19], v[1:2]
	v_add_co_u32_e64 v1, s[6:7], s10, v14
	v_mov_b32_e32 v2, s8
	v_addc_co_u32_e64 v2, s[6:7], v2, v15, s[6:7]
	v_add_co_u32_e64 v1, s[6:7], v1, v36
	v_addc_co_u32_e64 v2, s[6:7], 0, v2, s[6:7]
	v_cndmask_b32_e32 v2, v44, v2, vcc
	v_cndmask_b32_e32 v1, v43, v1, vcc
	s_waitcnt vmcnt(0) lgkmcnt(0)
	ds_write_b128 v42, v[16:19]
	buffer_store_dword v32, off, s[0:3], 0
	buffer_store_dword v32, off, s[0:3], 0 offset:4
	buffer_store_dword v32, off, s[0:3], 0 offset:8
	;; [unrolled: 1-line block ×3, first 2 shown]
	flat_load_dwordx4 v[12:15], v[1:2]
	s_waitcnt vmcnt(0) lgkmcnt(0)
	ds_write_b128 v40, v[12:15]
	s_waitcnt lgkmcnt(0)
	s_barrier
	ds_read2_b64 v[12:15], v35 offset1:32
	ds_read_b128 v[16:19], v31 offset:21568
	ds_read_b128 v[39:42], v31 offset:21584
	;; [unrolled: 1-line block ×4, first 2 shown]
	s_waitcnt lgkmcnt(3)
	v_mul_u32_u24_sdwa v1, v16, s12 dst_sel:DWORD dst_unused:UNUSED_PAD src0_sel:WORD_0 src1_sel:DWORD
	v_pk_fma_f16 v2, v12, v1, v4
	v_pk_fma_f16 v4, v13, v1, v5
	v_pk_fma_f16 v5, v14, v1, v8
	v_pk_fma_f16 v1, v15, v1, v9
	ds_read2_b64 v[12:15], v35 offset0:64 offset1:96
	v_mul_u32_u24_sdwa v8, v16, s12 dst_sel:DWORD dst_unused:UNUSED_PAD src0_sel:WORD_1 src1_sel:DWORD
	s_waitcnt lgkmcnt(0)
	v_pk_fma_f16 v2, v12, v8, v2
	v_pk_fma_f16 v4, v13, v8, v4
	v_pk_fma_f16 v5, v14, v8, v5
	v_pk_fma_f16 v1, v15, v8, v1
	ds_read2_b64 v[12:15], v35 offset0:128 offset1:160
	v_mul_u32_u24_sdwa v8, v17, s12 dst_sel:DWORD dst_unused:UNUSED_PAD src0_sel:WORD_0 src1_sel:DWORD
	s_waitcnt lgkmcnt(0)
	v_pk_fma_f16 v2, v12, v8, v2
	v_pk_fma_f16 v4, v13, v8, v4
	v_pk_fma_f16 v5, v14, v8, v5
	v_pk_fma_f16 v1, v15, v8, v1
	ds_read2_b64 v[12:15], v35 offset0:192 offset1:224
	v_mul_u32_u24_sdwa v8, v17, s12 dst_sel:DWORD dst_unused:UNUSED_PAD src0_sel:WORD_1 src1_sel:DWORD
	s_waitcnt lgkmcnt(0)
	v_pk_fma_f16 v2, v12, v8, v2
	v_pk_fma_f16 v4, v13, v8, v4
	v_pk_fma_f16 v5, v14, v8, v5
	v_pk_fma_f16 v1, v15, v8, v1
	ds_read2_b64 v[12:15], v37 offset1:32
	v_mul_u32_u24_sdwa v8, v18, s12 dst_sel:DWORD dst_unused:UNUSED_PAD src0_sel:WORD_0 src1_sel:DWORD
	s_waitcnt lgkmcnt(0)
	v_pk_fma_f16 v2, v12, v8, v2
	v_pk_fma_f16 v4, v13, v8, v4
	v_pk_fma_f16 v5, v14, v8, v5
	v_pk_fma_f16 v1, v15, v8, v1
	ds_read2_b64 v[12:15], v37 offset0:64 offset1:96
	v_mul_u32_u24_sdwa v8, v18, s12 dst_sel:DWORD dst_unused:UNUSED_PAD src0_sel:WORD_1 src1_sel:DWORD
	s_waitcnt lgkmcnt(0)
	v_pk_fma_f16 v2, v12, v8, v2
	v_pk_fma_f16 v4, v13, v8, v4
	v_pk_fma_f16 v5, v14, v8, v5
	v_pk_fma_f16 v1, v15, v8, v1
	ds_read2_b64 v[12:15], v37 offset0:128 offset1:160
	v_mul_u32_u24_sdwa v8, v19, s12 dst_sel:DWORD dst_unused:UNUSED_PAD src0_sel:WORD_0 src1_sel:DWORD
	s_waitcnt lgkmcnt(0)
	v_pk_fma_f16 v2, v12, v8, v2
	v_pk_fma_f16 v4, v13, v8, v4
	v_pk_fma_f16 v5, v14, v8, v5
	v_pk_fma_f16 v1, v15, v8, v1
	ds_read2_b64 v[12:15], v37 offset0:192 offset1:224
	v_mul_u32_u24_sdwa v8, v19, s12 dst_sel:DWORD dst_unused:UNUSED_PAD src0_sel:WORD_1 src1_sel:DWORD
	s_waitcnt lgkmcnt(0)
	v_pk_fma_f16 v2, v12, v8, v2
	v_pk_fma_f16 v4, v13, v8, v4
	v_pk_fma_f16 v5, v14, v8, v5
	v_pk_fma_f16 v1, v15, v8, v1
	ds_read2_b64 v[12:15], v38 offset1:32
	v_mul_u32_u24_sdwa v8, v39, s12 dst_sel:DWORD dst_unused:UNUSED_PAD src0_sel:WORD_0 src1_sel:DWORD
	s_waitcnt lgkmcnt(0)
	;; [unrolled: 28-line block ×4, first 2 shown]
	v_pk_fma_f16 v2, v12, v8, v2
	v_pk_fma_f16 v4, v13, v8, v4
	;; [unrolled: 1-line block ×4, first 2 shown]
	ds_read2_b64 v[12:15], v11 offset0:64 offset1:96
	v_mul_u32_u24_sdwa v8, v43, s12 dst_sel:DWORD dst_unused:UNUSED_PAD src0_sel:WORD_1 src1_sel:DWORD
	s_waitcnt lgkmcnt(0)
	v_pk_fma_f16 v2, v12, v8, v2
	v_pk_fma_f16 v4, v13, v8, v4
	;; [unrolled: 1-line block ×4, first 2 shown]
	ds_read2_b64 v[12:15], v11 offset0:128 offset1:160
	v_mul_u32_u24_sdwa v8, v44, s12 dst_sel:DWORD dst_unused:UNUSED_PAD src0_sel:WORD_0 src1_sel:DWORD
	s_waitcnt lgkmcnt(0)
	v_pk_fma_f16 v2, v12, v8, v2
	v_pk_fma_f16 v4, v13, v8, v4
	;; [unrolled: 1-line block ×4, first 2 shown]
	ds_read2_b64 v[8:11], v11 offset0:192 offset1:224
	v_mul_u32_u24_sdwa v12, v44, s12 dst_sel:DWORD dst_unused:UNUSED_PAD src0_sel:WORD_1 src1_sel:DWORD
	v_mov_b32_e32 v15, v30
	v_mov_b32_e32 v44, v29
	s_waitcnt lgkmcnt(0)
	v_pk_fma_f16 v2, v8, v12, v2
	v_pk_fma_f16 v4, v9, v12, v4
	;; [unrolled: 1-line block ×4, first 2 shown]
	ds_read2_b64 v[8:11], v6 offset1:32
	v_mul_u32_u24_sdwa v12, v45, s12 dst_sel:DWORD dst_unused:UNUSED_PAD src0_sel:WORD_0 src1_sel:DWORD
	s_waitcnt lgkmcnt(0)
	v_pk_fma_f16 v2, v8, v12, v2
	v_pk_fma_f16 v4, v9, v12, v4
	;; [unrolled: 1-line block ×4, first 2 shown]
	ds_read2_b64 v[8:11], v6 offset0:64 offset1:96
	v_mul_u32_u24_sdwa v12, v45, s12 dst_sel:DWORD dst_unused:UNUSED_PAD src0_sel:WORD_1 src1_sel:DWORD
	s_waitcnt lgkmcnt(0)
	v_pk_fma_f16 v2, v8, v12, v2
	v_pk_fma_f16 v4, v9, v12, v4
	;; [unrolled: 1-line block ×4, first 2 shown]
	ds_read2_b64 v[8:11], v6 offset0:128 offset1:160
	v_mul_u32_u24_sdwa v12, v46, s12 dst_sel:DWORD dst_unused:UNUSED_PAD src0_sel:WORD_0 src1_sel:DWORD
	s_waitcnt lgkmcnt(0)
	v_pk_fma_f16 v2, v8, v12, v2
	v_pk_fma_f16 v4, v9, v12, v4
	;; [unrolled: 1-line block ×4, first 2 shown]
	ds_read2_b64 v[8:11], v6 offset0:192 offset1:224
	v_mul_u32_u24_sdwa v6, v46, s12 dst_sel:DWORD dst_unused:UNUSED_PAD src0_sel:WORD_1 src1_sel:DWORD
	s_waitcnt lgkmcnt(0)
	v_pk_fma_f16 v2, v8, v6, v2
	v_pk_fma_f16 v4, v9, v6, v4
	;; [unrolled: 1-line block ×4, first 2 shown]
	ds_read2_b64 v[8:11], v7 offset1:32
	v_mul_u32_u24_sdwa v6, v47, s12 dst_sel:DWORD dst_unused:UNUSED_PAD src0_sel:WORD_0 src1_sel:DWORD
	s_waitcnt lgkmcnt(0)
	v_pk_fma_f16 v2, v8, v6, v2
	v_pk_fma_f16 v4, v9, v6, v4
	;; [unrolled: 1-line block ×4, first 2 shown]
	ds_read2_b64 v[8:11], v7 offset0:64 offset1:96
	v_mul_u32_u24_sdwa v6, v47, s12 dst_sel:DWORD dst_unused:UNUSED_PAD src0_sel:WORD_1 src1_sel:DWORD
	s_waitcnt lgkmcnt(0)
	v_pk_fma_f16 v2, v8, v6, v2
	v_pk_fma_f16 v4, v9, v6, v4
	;; [unrolled: 1-line block ×4, first 2 shown]
	ds_read2_b64 v[8:11], v7 offset0:128 offset1:160
	v_mul_u32_u24_sdwa v6, v48, s12 dst_sel:DWORD dst_unused:UNUSED_PAD src0_sel:WORD_0 src1_sel:DWORD
	s_waitcnt lgkmcnt(0)
	v_pk_fma_f16 v2, v8, v6, v2
	v_pk_fma_f16 v8, v9, v6, v4
	v_pk_fma_f16 v9, v10, v6, v5
	v_pk_fma_f16 v1, v11, v6, v1
	ds_read2_b64 v[4:7], v7 offset0:192 offset1:224
	v_mul_u32_u24_sdwa v10, v48, s12 dst_sel:DWORD dst_unused:UNUSED_PAD src0_sel:WORD_1 src1_sel:DWORD
	s_waitcnt lgkmcnt(0)
	v_pk_fma_f16 v2, v4, v10, v2
	v_pk_fma_f16 v8, v5, v10, v8
	;; [unrolled: 1-line block ×4, first 2 shown]
	ds_read2_b64 v[4:7], v3 offset1:32
	v_mul_u32_u24_sdwa v10, v49, s12 dst_sel:DWORD dst_unused:UNUSED_PAD src0_sel:WORD_0 src1_sel:DWORD
	s_waitcnt lgkmcnt(0)
	v_pk_fma_f16 v2, v4, v10, v2
	v_pk_fma_f16 v8, v5, v10, v8
	;; [unrolled: 1-line block ×4, first 2 shown]
	ds_read2_b64 v[4:7], v3 offset0:64 offset1:96
	v_mul_u32_u24_sdwa v10, v49, s12 dst_sel:DWORD dst_unused:UNUSED_PAD src0_sel:WORD_1 src1_sel:DWORD
	s_waitcnt lgkmcnt(0)
	v_pk_fma_f16 v2, v4, v10, v2
	v_pk_fma_f16 v8, v5, v10, v8
	;; [unrolled: 1-line block ×4, first 2 shown]
	ds_read2_b64 v[4:7], v3 offset0:128 offset1:160
	v_mul_u32_u24_sdwa v10, v50, s12 dst_sel:DWORD dst_unused:UNUSED_PAD src0_sel:WORD_0 src1_sel:DWORD
	s_waitcnt lgkmcnt(0)
	v_pk_fma_f16 v11, v4, v10, v2
	v_pk_fma_f16 v7, v7, v10, v1
	ds_read2_b64 v[1:4], v3 offset0:192 offset1:224
	v_pk_fma_f16 v5, v5, v10, v8
	v_pk_fma_f16 v6, v6, v10, v9
	v_mul_u32_u24_sdwa v8, v50, s12 dst_sel:DWORD dst_unused:UNUSED_PAD src0_sel:WORD_1 src1_sel:DWORD
	s_waitcnt lgkmcnt(0)
	v_pk_fma_f16 v37, v1, v8, v11
	v_pk_fma_f16 v38, v2, v8, v5
	;; [unrolled: 1-line block ×4, first 2 shown]
	s_barrier
.LBB49_29:
	v_cmp_lt_i32_e32 vcc, v28, v23
	v_cndmask_b32_e32 v1, v22, v28, vcc
	v_lshlrev_b32_e32 v1, 2, v1
	ds_bpermute_b32 v1, v1, v44
	v_cmp_lt_i32_e32 vcc, v27, v23
	v_cndmask_b32_e32 v2, v22, v27, vcc
	v_lshlrev_b32_e32 v2, 2, v2
	v_cmp_lt_i32_e32 vcc, v26, v23
	s_waitcnt lgkmcnt(0)
	v_add_f32_e32 v1, v44, v1
	ds_bpermute_b32 v2, v2, v1
	v_cndmask_b32_e32 v3, v22, v26, vcc
	v_lshlrev_b32_e32 v3, 2, v3
	v_cmp_lt_i32_e32 vcc, v25, v23
	s_cmp_eq_u64 s[20:21], 0
	s_waitcnt lgkmcnt(0)
	v_add_f32_e32 v1, v1, v2
	ds_bpermute_b32 v2, v3, v1
	v_cndmask_b32_e32 v3, v22, v25, vcc
	v_lshlrev_b32_e32 v3, 2, v3
	v_cmp_lt_i32_e32 vcc, v24, v23
	s_cselect_b64 s[6:7], -1, 0
	s_waitcnt lgkmcnt(0)
	v_add_f32_e32 v1, v1, v2
	ds_bpermute_b32 v2, v3, v1
	v_cndmask_b32_e32 v3, v22, v24, vcc
	v_lshlrev_b32_e32 v3, 2, v3
	s_cmp_lg_u32 s9, 0
	s_cselect_b64 s[10:11], -1, 0
	s_waitcnt lgkmcnt(0)
	v_add_f32_e32 v1, v1, v2
	ds_bpermute_b32 v2, v3, v1
	s_or_b64 s[6:7], s[10:11], s[6:7]
	s_and_b64 vcc, exec, s[6:7]
	s_waitcnt lgkmcnt(0)
	v_add_f32_e32 v16, v1, v2
	s_cbranch_vccnz .LBB49_31
; %bb.30:
	s_lshl_b64 s[6:7], s[34:35], 2
	s_add_u32 s6, s20, s6
	s_addc_u32 s7, s21, s7
	v_mov_b32_e32 v1, 0
	global_load_dword v1, v1, s[6:7]
	v_max_f32_e32 v2, v15, v15
	s_mov_b32 s6, 0x3fb8aa3b
	s_mov_b32 s7, 0xc2ce8ed0
	s_waitcnt vmcnt(0)
	v_max_f32_e32 v3, v1, v1
	v_max_f32_e32 v2, v2, v3
	v_sub_f32_e32 v3, v15, v2
	v_sub_f32_e32 v1, v1, v2
	v_mul_f32_e32 v4, 0x3fb8aa3b, v3
	v_mul_f32_e32 v5, 0x3fb8aa3b, v1
	v_fma_f32 v6, v3, s6, -v4
	v_rndne_f32_e32 v7, v4
	v_fma_f32 v8, v1, s6, -v5
	v_rndne_f32_e32 v9, v5
	v_fmac_f32_e32 v6, 0x32a5705f, v3
	v_sub_f32_e32 v4, v4, v7
	v_fmac_f32_e32 v8, 0x32a5705f, v1
	v_sub_f32_e32 v5, v5, v9
	v_add_f32_e32 v4, v4, v6
	v_cvt_i32_f32_e32 v7, v7
	v_add_f32_e32 v5, v5, v8
	v_exp_f32_e32 v4, v4
	v_cvt_i32_f32_e32 v9, v9
	v_exp_f32_e32 v5, v5
	v_cmp_ngt_f32_e32 vcc, s7, v3
	v_ldexp_f32 v4, v4, v7
	s_mov_b32 s6, 0x42b17218
	v_ldexp_f32 v5, v5, v9
	v_cndmask_b32_e32 v4, 0, v4, vcc
	v_cmp_ngt_f32_e32 vcc, s7, v1
	v_mov_b32_e32 v6, 0x7f800000
	v_cndmask_b32_e32 v5, 0, v5, vcc
	v_cmp_nlt_f32_e32 vcc, s6, v3
	v_cndmask_b32_e32 v3, v6, v4, vcc
	v_cvt_f16_f32_e32 v4, v3
	v_cmp_nlt_f32_e32 vcc, s6, v1
	v_cndmask_b32_e32 v1, v6, v5, vcc
	v_fmac_f32_e32 v1, v16, v3
	v_mov_b32_e32 v16, v1
	v_mul_u32_u24_e32 v1, 0x10001, v4
	v_pk_mul_f16 v37, v37, v1
	v_pk_mul_f16 v38, v38, v1
	;; [unrolled: 1-line block ×4, first 2 shown]
	v_mov_b32_e32 v15, v2
.LBB49_31:
	v_cmp_gt_i32_e32 vcc, s30, v33
	s_and_saveexec_b64 s[6:7], vcc
	s_cbranch_execz .LBB49_34
; %bb.32:
	v_div_scale_f32 v1, s[6:7], v16, v16, 1.0
	v_div_scale_f32 v2, vcc, 1.0, v16, 1.0
	s_load_dword s6, s[4:5], 0xd4
	v_cmp_eq_u32_e64 s[4:5], 0, v0
	s_mul_i32 s33, s33, s30
	v_add_u32_e32 v4, s33, v33
	v_mul_lo_u32 v4, v4, s31
	v_cvt_f32_f16_sdwa v3, v38 dst_sel:DWORD dst_unused:UNUSED_PAD src0_sel:WORD_1
	v_cvt_f32_f16_e32 v9, v38
	v_cvt_f32_f16_sdwa v12, v37 dst_sel:DWORD dst_unused:UNUSED_PAD src0_sel:WORD_1
	v_cvt_f32_f16_e32 v13, v37
	s_waitcnt lgkmcnt(0)
	s_cmp_lg_u32 s6, 1
	v_mov_b32_e32 v8, s25
	v_cvt_f32_f16_sdwa v17, v10 dst_sel:DWORD dst_unused:UNUSED_PAD src0_sel:WORD_1
	v_rcp_f32_e32 v0, v1
	v_cvt_f32_f16_e32 v10, v10
	v_cvt_f32_f16_sdwa v18, v11 dst_sel:DWORD dst_unused:UNUSED_PAD src0_sel:WORD_1
	v_fma_f32 v5, -v1, v0, 1.0
	v_fmac_f32_e32 v0, v5, v0
	v_mul_f32_e32 v5, v2, v0
	v_fma_f32 v6, -v1, v5, v2
	v_fmac_f32_e32 v5, v6, v0
	v_fma_f32 v1, -v1, v5, v2
	v_div_fmas_f32 v14, v1, v0, v5
	v_add_u32_e32 v0, s34, v4
	v_mul_lo_u32 v0, s6, v0
	v_mov_b32_e32 v6, 0
	s_cselect_b64 s[6:7], -1, 0
	s_and_b64 s[4:5], s[4:5], s[6:7]
	v_add_u32_e32 v0, s9, v0
	v_lshl_add_u32 v5, v0, 8, v34
	v_lshlrev_b64 v[1:2], 2, v[5:6]
	v_add_u32_e32 v5, 0x80, v5
	v_add_co_u32_e32 v7, vcc, s24, v1
	v_addc_co_u32_e32 v8, vcc, v8, v2, vcc
	v_lshlrev_b64 v[5:6], 2, v[5:6]
	v_add_co_u32_e32 v5, vcc, s24, v5
	v_div_fixup_f32 v1, v14, v16, 1.0
	v_cndmask_b32_e64 v14, v1, 1.0, s[6:7]
	v_mul_f32_e32 v4, v14, v3
	v_mul_f32_e32 v3, v14, v9
	;; [unrolled: 1-line block ×4, first 2 shown]
	global_store_dwordx4 v[7:8], v[1:4], off
	v_mov_b32_e32 v7, s25
	v_cvt_f32_f16_e32 v1, v11
	v_mul_f32_e32 v4, v14, v17
	v_mul_f32_e32 v3, v14, v10
	v_mul_f32_e32 v2, v14, v18
	v_mul_f32_e32 v1, v14, v1
	v_addc_co_u32_e32 v6, vcc, v7, v6, vcc
	global_store_dwordx4 v[5:6], v[1:4], off
	s_and_b64 exec, exec, s[4:5]
	s_cbranch_execz .LBB49_34
; %bb.33:
	v_ashrrev_i32_e32 v1, 31, v0
	v_lshlrev_b64 v[0:1], 3, v[0:1]
	v_mov_b32_e32 v2, s27
	v_add_co_u32_e32 v0, vcc, s26, v0
	v_addc_co_u32_e32 v1, vcc, v2, v1, vcc
	global_store_dwordx2 v[0:1], v[15:16], off
.LBB49_34:
	s_endpgm
	.section	.rodata,"a",@progbits
	.p2align	6, 0x0
	.amdhsa_kernel _ZL15flash_attn_tileILi256ELi256ELi8ELi1ELb0EEvPKcS1_S1_S1_S1_PKiPfP15HIP_vector_typeIfLj2EEffffjfiS5_IjLj3EEiiiiiiiiiiiliiliiiiil
		.amdhsa_group_segment_fixed_size 22528
		.amdhsa_private_segment_fixed_size 32
		.amdhsa_kernarg_size 464
		.amdhsa_user_sgpr_count 8
		.amdhsa_user_sgpr_private_segment_buffer 1
		.amdhsa_user_sgpr_dispatch_ptr 0
		.amdhsa_user_sgpr_queue_ptr 0
		.amdhsa_user_sgpr_kernarg_segment_ptr 1
		.amdhsa_user_sgpr_dispatch_id 0
		.amdhsa_user_sgpr_flat_scratch_init 1
		.amdhsa_user_sgpr_private_segment_size 0
		.amdhsa_uses_dynamic_stack 0
		.amdhsa_system_sgpr_private_segment_wavefront_offset 1
		.amdhsa_system_sgpr_workgroup_id_x 1
		.amdhsa_system_sgpr_workgroup_id_y 1
		.amdhsa_system_sgpr_workgroup_id_z 1
		.amdhsa_system_sgpr_workgroup_info 0
		.amdhsa_system_vgpr_workitem_id 1
		.amdhsa_next_free_vgpr 85
		.amdhsa_next_free_sgpr 96
		.amdhsa_reserve_vcc 1
		.amdhsa_reserve_flat_scratch 1
		.amdhsa_float_round_mode_32 0
		.amdhsa_float_round_mode_16_64 0
		.amdhsa_float_denorm_mode_32 3
		.amdhsa_float_denorm_mode_16_64 3
		.amdhsa_dx10_clamp 1
		.amdhsa_ieee_mode 1
		.amdhsa_fp16_overflow 0
		.amdhsa_exception_fp_ieee_invalid_op 0
		.amdhsa_exception_fp_denorm_src 0
		.amdhsa_exception_fp_ieee_div_zero 0
		.amdhsa_exception_fp_ieee_overflow 0
		.amdhsa_exception_fp_ieee_underflow 0
		.amdhsa_exception_fp_ieee_inexact 0
		.amdhsa_exception_int_div_zero 0
	.end_amdhsa_kernel
	.section	.text._ZL15flash_attn_tileILi256ELi256ELi8ELi1ELb0EEvPKcS1_S1_S1_S1_PKiPfP15HIP_vector_typeIfLj2EEffffjfiS5_IjLj3EEiiiiiiiiiiiliiliiiiil,"axG",@progbits,_ZL15flash_attn_tileILi256ELi256ELi8ELi1ELb0EEvPKcS1_S1_S1_S1_PKiPfP15HIP_vector_typeIfLj2EEffffjfiS5_IjLj3EEiiiiiiiiiiiliiliiiiil,comdat
.Lfunc_end49:
	.size	_ZL15flash_attn_tileILi256ELi256ELi8ELi1ELb0EEvPKcS1_S1_S1_S1_PKiPfP15HIP_vector_typeIfLj2EEffffjfiS5_IjLj3EEiiiiiiiiiiiliiliiiiil, .Lfunc_end49-_ZL15flash_attn_tileILi256ELi256ELi8ELi1ELb0EEvPKcS1_S1_S1_S1_PKiPfP15HIP_vector_typeIfLj2EEffffjfiS5_IjLj3EEiiiiiiiiiiiliiliiiiil
                                        ; -- End function
	.set _ZL15flash_attn_tileILi256ELi256ELi8ELi1ELb0EEvPKcS1_S1_S1_S1_PKiPfP15HIP_vector_typeIfLj2EEffffjfiS5_IjLj3EEiiiiiiiiiiiliiliiiiil.num_vgpr, 79
	.set _ZL15flash_attn_tileILi256ELi256ELi8ELi1ELb0EEvPKcS1_S1_S1_S1_PKiPfP15HIP_vector_typeIfLj2EEffffjfiS5_IjLj3EEiiiiiiiiiiiliiliiiiil.num_agpr, 0
	.set _ZL15flash_attn_tileILi256ELi256ELi8ELi1ELb0EEvPKcS1_S1_S1_S1_PKiPfP15HIP_vector_typeIfLj2EEffffjfiS5_IjLj3EEiiiiiiiiiiiliiliiiiil.numbered_sgpr, 52
	.set _ZL15flash_attn_tileILi256ELi256ELi8ELi1ELb0EEvPKcS1_S1_S1_S1_PKiPfP15HIP_vector_typeIfLj2EEffffjfiS5_IjLj3EEiiiiiiiiiiiliiliiiiil.num_named_barrier, 0
	.set _ZL15flash_attn_tileILi256ELi256ELi8ELi1ELb0EEvPKcS1_S1_S1_S1_PKiPfP15HIP_vector_typeIfLj2EEffffjfiS5_IjLj3EEiiiiiiiiiiiliiliiiiil.private_seg_size, 32
	.set _ZL15flash_attn_tileILi256ELi256ELi8ELi1ELb0EEvPKcS1_S1_S1_S1_PKiPfP15HIP_vector_typeIfLj2EEffffjfiS5_IjLj3EEiiiiiiiiiiiliiliiiiil.uses_vcc, 1
	.set _ZL15flash_attn_tileILi256ELi256ELi8ELi1ELb0EEvPKcS1_S1_S1_S1_PKiPfP15HIP_vector_typeIfLj2EEffffjfiS5_IjLj3EEiiiiiiiiiiiliiliiiiil.uses_flat_scratch, 1
	.set _ZL15flash_attn_tileILi256ELi256ELi8ELi1ELb0EEvPKcS1_S1_S1_S1_PKiPfP15HIP_vector_typeIfLj2EEffffjfiS5_IjLj3EEiiiiiiiiiiiliiliiiiil.has_dyn_sized_stack, 0
	.set _ZL15flash_attn_tileILi256ELi256ELi8ELi1ELb0EEvPKcS1_S1_S1_S1_PKiPfP15HIP_vector_typeIfLj2EEffffjfiS5_IjLj3EEiiiiiiiiiiiliiliiiiil.has_recursion, 0
	.set _ZL15flash_attn_tileILi256ELi256ELi8ELi1ELb0EEvPKcS1_S1_S1_S1_PKiPfP15HIP_vector_typeIfLj2EEffffjfiS5_IjLj3EEiiiiiiiiiiiliiliiiiil.has_indirect_call, 0
	.section	.AMDGPU.csdata,"",@progbits
; Kernel info:
; codeLenInByte = 20492
; TotalNumSgprs: 58
; NumVgprs: 79
; ScratchSize: 32
; MemoryBound: 0
; FloatMode: 240
; IeeeMode: 1
; LDSByteSize: 22528 bytes/workgroup (compile time only)
; SGPRBlocks: 12
; VGPRBlocks: 21
; NumSGPRsForWavesPerEU: 102
; NumVGPRsForWavesPerEU: 85
; Occupancy: 2
; WaveLimiterHint : 1
; COMPUTE_PGM_RSRC2:SCRATCH_EN: 1
; COMPUTE_PGM_RSRC2:USER_SGPR: 8
; COMPUTE_PGM_RSRC2:TRAP_HANDLER: 0
; COMPUTE_PGM_RSRC2:TGID_X_EN: 1
; COMPUTE_PGM_RSRC2:TGID_Y_EN: 1
; COMPUTE_PGM_RSRC2:TGID_Z_EN: 1
; COMPUTE_PGM_RSRC2:TIDIG_COMP_CNT: 1
	.section	.text._ZL33flash_attn_stream_k_fixup_uniformILi256ELi8ELi1EEvPfPK15HIP_vector_typeIfLj2EEiiiiiiS1_IjLj3EES5_S5_,"axG",@progbits,_ZL33flash_attn_stream_k_fixup_uniformILi256ELi8ELi1EEvPfPK15HIP_vector_typeIfLj2EEiiiiiiS1_IjLj3EES5_S5_,comdat
	.globl	_ZL33flash_attn_stream_k_fixup_uniformILi256ELi8ELi1EEvPfPK15HIP_vector_typeIfLj2EEiiiiiiS1_IjLj3EES5_S5_ ; -- Begin function _ZL33flash_attn_stream_k_fixup_uniformILi256ELi8ELi1EEvPfPK15HIP_vector_typeIfLj2EEiiiiiiS1_IjLj3EES5_S5_
	.p2align	8
	.type	_ZL33flash_attn_stream_k_fixup_uniformILi256ELi8ELi1EEvPfPK15HIP_vector_typeIfLj2EEiiiiiiS1_IjLj3EES5_S5_,@function
_ZL33flash_attn_stream_k_fixup_uniformILi256ELi8ELi1EEvPfPK15HIP_vector_typeIfLj2EEiiiiiiS1_IjLj3EES5_S5_: ; @_ZL33flash_attn_stream_k_fixup_uniformILi256ELi8ELi1EEvPfPK15HIP_vector_typeIfLj2EEiiiiiiS1_IjLj3EES5_S5_
; %bb.0:
	s_load_dwordx8 s[12:19], s[4:5], 0x1c
	s_load_dwordx2 s[10:11], s[4:5], 0x10
	s_load_dwordx4 s[0:3], s[4:5], 0x3c
	s_waitcnt lgkmcnt(0)
	s_mul_hi_u32 s9, s15, s6
	s_add_i32 s9, s6, s9
	s_lshr_b32 s9, s9, s16
	s_mul_i32 s15, s9, s17
	s_sub_i32 s15, s6, s15
	s_mul_hi_u32 s16, s15, s18
	s_add_i32 s16, s15, s16
	s_lshr_b32 s16, s16, s19
	s_mul_i32 s0, s16, s0
	s_sub_i32 s0, s15, s0
	;; [unrolled: 5-line block ×3, first 2 shown]
	s_lshl_b32 s0, s17, 3
	s_add_i32 s0, s0, s7
	s_cmp_lt_i32 s0, s10
	s_cselect_b64 s[0:1], -1, 0
	s_add_i32 s2, s15, s8
	s_cmp_lt_i32 s2, s13
	s_cselect_b64 s[2:3], -1, 0
	s_and_b64 s[0:1], s[0:1], s[2:3]
	s_andn2_b64 vcc, exec, s[0:1]
	s_cbranch_vccnz .LBB50_6
; %bb.1:
	s_load_dwordx4 s[0:3], s[4:5], 0x0
	s_mul_i32 s4, s9, s10
	s_add_i32 s4, s4, s7
	s_mul_i32 s4, s4, s11
	s_mul_i32 s16, s16, s13
	s_add_i32 s4, s4, s8
	s_add_i32 s4, s4, s16
	s_mul_i32 s5, s11, s17
	s_add_i32 s4, s4, s15
	s_lshl_b32 s5, s5, 11
	s_lshl_b32 s4, s4, 8
	s_add_i32 s5, s5, s4
	v_or_b32_e32 v1, s5, v0
	v_ashrrev_i32_e32 v2, 31, v1
	v_lshlrev_b64 v[1:2], 2, v[1:2]
	s_waitcnt lgkmcnt(0)
	v_mov_b32_e32 v3, s1
	v_add_co_u32_e32 v1, vcc, s0, v1
	v_addc_co_u32_e32 v2, vcc, v3, v2, vcc
	global_load_dword v8, v[1:2], off
	s_add_i32 s4, s7, s8
	s_mul_i32 s7, s14, s6
	s_add_i32 s5, s7, s14
	s_lshl_b32 s0, s5, 3
	s_add_i32 s0, s4, s0
	s_add_i32 s0, s0, -8
	s_ashr_i32 s1, s0, 31
	s_lshl_b64 s[0:1], s[0:1], 3
	s_add_u32 s0, s2, s0
	s_addc_u32 s1, s3, s1
	s_load_dword s10, s[0:1], 0x4
	s_add_i32 s8, s5, -2
	s_cmp_lt_i32 s8, s7
	s_cbranch_scc1 .LBB50_4
; %bb.2:
	s_lshl_b32 s8, s12, 5
	s_ashr_i32 s9, s8, 31
	s_lshl_b64 s[8:9], s[8:9], 2
	s_add_u32 s8, s2, s8
	s_addc_u32 s11, s3, s9
	s_add_i32 s6, s6, 1
	s_add_i32 s9, s5, -1
	s_mul_i32 s5, s14, s6
	s_load_dword s0, s[0:1], 0x0
	s_lshl_b32 s1, s4, 8
	s_lshl_b32 s6, s5, 11
	s_add_i32 s1, s1, s6
	v_or_b32_e32 v0, s1, v0
	s_lshl_b32 s1, s5, 3
	s_add_i32 s1, s4, s1
	s_lshl_b32 s4, s12, 3
	s_add_i32 s1, s1, s4
	v_add_u32_e32 v3, 0xfffff000, v0
	s_add_i32 s4, s1, -16
	s_waitcnt lgkmcnt(0)
	v_mov_b32_e32 v7, s10
	v_mov_b32_e32 v6, s0
	;; [unrolled: 1-line block ×3, first 2 shown]
	s_mov_b32 s6, 0x3fb8aa3b
	s_mov_b32 s10, 0xc2ce8ed0
	;; [unrolled: 1-line block ×3, first 2 shown]
	v_mov_b32_e32 v5, 0x7f800000
	s_mov_b32 s12, 0xc1a00000
.LBB50_3:                               ; =>This Inner Loop Header: Depth=1
	v_ashrrev_i32_e32 v4, 31, v3
	v_lshlrev_b64 v[9:10], 2, v[3:4]
	s_ashr_i32 s5, s4, 31
	v_add_co_u32_e32 v9, vcc, s8, v9
	v_addc_co_u32_e32 v10, vcc, v0, v10, vcc
	global_load_dword v4, v[9:10], off
	s_lshl_b64 s[0:1], s[4:5], 3
	s_add_u32 s0, s2, s0
	s_addc_u32 s1, s3, s1
	s_load_dwordx2 s[14:15], s[0:1], 0x0
	s_waitcnt vmcnt(1)
	v_mov_b32_e32 v9, v8
	v_max_f32_e32 v8, v6, v6
	v_mov_b32_e32 v10, v7
	s_add_i32 s9, s9, -1
	s_waitcnt lgkmcnt(0)
	v_max_f32_e64 v7, s14, s14
	v_max_f32_e32 v7, v8, v7
	v_sub_f32_e32 v11, s14, v7
	v_sub_f32_e32 v8, v6, v7
	v_mul_f32_e32 v12, 0x3fb8aa3b, v11
	v_mov_b32_e32 v6, v7
	v_mul_f32_e32 v7, 0x3fb8aa3b, v8
	v_fma_f32 v15, v11, s6, -v12
	v_rndne_f32_e32 v16, v12
	v_fma_f32 v13, v8, s6, -v7
	v_rndne_f32_e32 v14, v7
	v_fmac_f32_e32 v15, 0x32a5705f, v11
	v_sub_f32_e32 v12, v12, v16
	v_fmac_f32_e32 v13, 0x32a5705f, v8
	v_sub_f32_e32 v7, v7, v14
	v_add_f32_e32 v12, v12, v15
	v_cvt_i32_f32_e32 v16, v16
	v_add_f32_e32 v7, v7, v13
	v_exp_f32_e32 v12, v12
	v_cvt_i32_f32_e32 v14, v14
	v_exp_f32_e32 v7, v7
	v_cmp_ngt_f32_e32 vcc, s10, v11
	v_ldexp_f32 v12, v12, v16
	v_cmp_ngt_f32_e64 s[0:1], s10, v8
	v_ldexp_f32 v7, v7, v14
	v_cndmask_b32_e32 v12, 0, v12, vcc
	v_cmp_nlt_f32_e32 vcc, s11, v11
	v_cndmask_b32_e64 v7, 0, v7, s[0:1]
	v_cmp_nlt_f32_e64 s[0:1], s11, v8
	v_cndmask_b32_e32 v12, v5, v12, vcc
	v_cmp_le_f32_e32 vcc, s12, v11
	v_cndmask_b32_e64 v7, v5, v7, s[0:1]
	v_cmp_le_f32_e64 s[0:1], s12, v8
	v_cndmask_b32_e32 v8, 0, v12, vcc
	s_add_i32 s4, s4, -8
	v_cndmask_b32_e64 v11, 0, v7, s[0:1]
	v_mul_f32_e32 v7, s15, v8
	v_add_u32_e32 v3, 0xfffff800, v3
	s_cmp_le_i32 s9, s7
	v_fmac_f32_e32 v7, v10, v11
	s_waitcnt vmcnt(0)
	v_mul_f32_e32 v8, v4, v8
	v_fmac_f32_e32 v8, v9, v11
	s_cbranch_scc0 .LBB50_3
	s_branch .LBB50_5
.LBB50_4:
	s_waitcnt lgkmcnt(0)
	v_mov_b32_e32 v7, s10
.LBB50_5:
	s_waitcnt vmcnt(0)
	v_div_scale_f32 v0, s[0:1], v7, v7, v8
	v_div_scale_f32 v3, vcc, v8, v7, v8
	v_rcp_f32_e32 v4, v0
	v_fma_f32 v5, -v0, v4, 1.0
	v_fmac_f32_e32 v4, v5, v4
	v_mul_f32_e32 v5, v3, v4
	v_fma_f32 v6, -v0, v5, v3
	v_fmac_f32_e32 v5, v6, v4
	v_fma_f32 v0, -v0, v5, v3
	v_div_fmas_f32 v0, v0, v4, v5
	v_div_fixup_f32 v0, v0, v7, v8
	global_store_dword v[1:2], v0, off
.LBB50_6:
	s_endpgm
	.section	.rodata,"a",@progbits
	.p2align	6, 0x0
	.amdhsa_kernel _ZL33flash_attn_stream_k_fixup_uniformILi256ELi8ELi1EEvPfPK15HIP_vector_typeIfLj2EEiiiiiiS1_IjLj3EES5_S5_
		.amdhsa_group_segment_fixed_size 0
		.amdhsa_private_segment_fixed_size 0
		.amdhsa_kernarg_size 76
		.amdhsa_user_sgpr_count 6
		.amdhsa_user_sgpr_private_segment_buffer 1
		.amdhsa_user_sgpr_dispatch_ptr 0
		.amdhsa_user_sgpr_queue_ptr 0
		.amdhsa_user_sgpr_kernarg_segment_ptr 1
		.amdhsa_user_sgpr_dispatch_id 0
		.amdhsa_user_sgpr_flat_scratch_init 0
		.amdhsa_user_sgpr_private_segment_size 0
		.amdhsa_uses_dynamic_stack 0
		.amdhsa_system_sgpr_private_segment_wavefront_offset 0
		.amdhsa_system_sgpr_workgroup_id_x 1
		.amdhsa_system_sgpr_workgroup_id_y 1
		.amdhsa_system_sgpr_workgroup_id_z 1
		.amdhsa_system_sgpr_workgroup_info 0
		.amdhsa_system_vgpr_workitem_id 0
		.amdhsa_next_free_vgpr 17
		.amdhsa_next_free_sgpr 20
		.amdhsa_reserve_vcc 1
		.amdhsa_reserve_flat_scratch 0
		.amdhsa_float_round_mode_32 0
		.amdhsa_float_round_mode_16_64 0
		.amdhsa_float_denorm_mode_32 3
		.amdhsa_float_denorm_mode_16_64 3
		.amdhsa_dx10_clamp 1
		.amdhsa_ieee_mode 1
		.amdhsa_fp16_overflow 0
		.amdhsa_exception_fp_ieee_invalid_op 0
		.amdhsa_exception_fp_denorm_src 0
		.amdhsa_exception_fp_ieee_div_zero 0
		.amdhsa_exception_fp_ieee_overflow 0
		.amdhsa_exception_fp_ieee_underflow 0
		.amdhsa_exception_fp_ieee_inexact 0
		.amdhsa_exception_int_div_zero 0
	.end_amdhsa_kernel
	.section	.text._ZL33flash_attn_stream_k_fixup_uniformILi256ELi8ELi1EEvPfPK15HIP_vector_typeIfLj2EEiiiiiiS1_IjLj3EES5_S5_,"axG",@progbits,_ZL33flash_attn_stream_k_fixup_uniformILi256ELi8ELi1EEvPfPK15HIP_vector_typeIfLj2EEiiiiiiS1_IjLj3EES5_S5_,comdat
.Lfunc_end50:
	.size	_ZL33flash_attn_stream_k_fixup_uniformILi256ELi8ELi1EEvPfPK15HIP_vector_typeIfLj2EEiiiiiiS1_IjLj3EES5_S5_, .Lfunc_end50-_ZL33flash_attn_stream_k_fixup_uniformILi256ELi8ELi1EEvPfPK15HIP_vector_typeIfLj2EEiiiiiiS1_IjLj3EES5_S5_
                                        ; -- End function
	.set _ZL33flash_attn_stream_k_fixup_uniformILi256ELi8ELi1EEvPfPK15HIP_vector_typeIfLj2EEiiiiiiS1_IjLj3EES5_S5_.num_vgpr, 17
	.set _ZL33flash_attn_stream_k_fixup_uniformILi256ELi8ELi1EEvPfPK15HIP_vector_typeIfLj2EEiiiiiiS1_IjLj3EES5_S5_.num_agpr, 0
	.set _ZL33flash_attn_stream_k_fixup_uniformILi256ELi8ELi1EEvPfPK15HIP_vector_typeIfLj2EEiiiiiiS1_IjLj3EES5_S5_.numbered_sgpr, 20
	.set _ZL33flash_attn_stream_k_fixup_uniformILi256ELi8ELi1EEvPfPK15HIP_vector_typeIfLj2EEiiiiiiS1_IjLj3EES5_S5_.num_named_barrier, 0
	.set _ZL33flash_attn_stream_k_fixup_uniformILi256ELi8ELi1EEvPfPK15HIP_vector_typeIfLj2EEiiiiiiS1_IjLj3EES5_S5_.private_seg_size, 0
	.set _ZL33flash_attn_stream_k_fixup_uniformILi256ELi8ELi1EEvPfPK15HIP_vector_typeIfLj2EEiiiiiiS1_IjLj3EES5_S5_.uses_vcc, 1
	.set _ZL33flash_attn_stream_k_fixup_uniformILi256ELi8ELi1EEvPfPK15HIP_vector_typeIfLj2EEiiiiiiS1_IjLj3EES5_S5_.uses_flat_scratch, 0
	.set _ZL33flash_attn_stream_k_fixup_uniformILi256ELi8ELi1EEvPfPK15HIP_vector_typeIfLj2EEiiiiiiS1_IjLj3EES5_S5_.has_dyn_sized_stack, 0
	.set _ZL33flash_attn_stream_k_fixup_uniformILi256ELi8ELi1EEvPfPK15HIP_vector_typeIfLj2EEiiiiiiS1_IjLj3EES5_S5_.has_recursion, 0
	.set _ZL33flash_attn_stream_k_fixup_uniformILi256ELi8ELi1EEvPfPK15HIP_vector_typeIfLj2EEiiiiiiS1_IjLj3EES5_S5_.has_indirect_call, 0
	.section	.AMDGPU.csdata,"",@progbits
; Kernel info:
; codeLenInByte = 836
; TotalNumSgprs: 24
; NumVgprs: 17
; ScratchSize: 0
; MemoryBound: 0
; FloatMode: 240
; IeeeMode: 1
; LDSByteSize: 0 bytes/workgroup (compile time only)
; SGPRBlocks: 2
; VGPRBlocks: 4
; NumSGPRsForWavesPerEU: 24
; NumVGPRsForWavesPerEU: 17
; Occupancy: 10
; WaveLimiterHint : 0
; COMPUTE_PGM_RSRC2:SCRATCH_EN: 0
; COMPUTE_PGM_RSRC2:USER_SGPR: 6
; COMPUTE_PGM_RSRC2:TRAP_HANDLER: 0
; COMPUTE_PGM_RSRC2:TGID_X_EN: 1
; COMPUTE_PGM_RSRC2:TGID_Y_EN: 1
; COMPUTE_PGM_RSRC2:TGID_Z_EN: 1
; COMPUTE_PGM_RSRC2:TIDIG_COMP_CNT: 0
	.section	.text._ZL33flash_attn_stream_k_fixup_generalILi256ELi8ELi1EEvPfPK15HIP_vector_typeIfLj2EEiiiiS1_IjLj3EES5_S5_S5_,"axG",@progbits,_ZL33flash_attn_stream_k_fixup_generalILi256ELi8ELi1EEvPfPK15HIP_vector_typeIfLj2EEiiiiS1_IjLj3EES5_S5_S5_,comdat
	.globl	_ZL33flash_attn_stream_k_fixup_generalILi256ELi8ELi1EEvPfPK15HIP_vector_typeIfLj2EEiiiiS1_IjLj3EES5_S5_S5_ ; -- Begin function _ZL33flash_attn_stream_k_fixup_generalILi256ELi8ELi1EEvPfPK15HIP_vector_typeIfLj2EEiiiiS1_IjLj3EES5_S5_S5_
	.p2align	8
	.type	_ZL33flash_attn_stream_k_fixup_generalILi256ELi8ELi1EEvPfPK15HIP_vector_typeIfLj2EEiiiiS1_IjLj3EES5_S5_S5_,@function
_ZL33flash_attn_stream_k_fixup_generalILi256ELi8ELi1EEvPfPK15HIP_vector_typeIfLj2EEiiiiS1_IjLj3EES5_S5_S5_: ; @_ZL33flash_attn_stream_k_fixup_generalILi256ELi8ELi1EEvPfPK15HIP_vector_typeIfLj2EEiiiiS1_IjLj3EES5_S5_S5_
; %bb.0:
	s_load_dwordx4 s[0:3], s[4:5], 0x10
	s_load_dword s22, s[4:5], 0x50
	s_mov_b32 s12, 0
	s_waitcnt lgkmcnt(0)
	s_mul_hi_i32 s13, s3, s6
	s_cmp_lg_u64 s[12:13], 0
	s_mul_i32 s9, s3, s6
	s_cbranch_scc0 .LBB51_20
; %bb.1:
	s_add_u32 s10, s22, 0
	s_addc_u32 s11, 0, 0
	s_xor_b64 s[10:11], s[10:11], 0
	v_cvt_f32_u32_e32 v1, s10
	v_cvt_f32_u32_e32 v2, s11
	s_sub_u32 s12, 0, s10
	s_subb_u32 s18, 0, s11
	v_madmk_f32 v1, v2, 0x4f800000, v1
	v_rcp_f32_e32 v1, v1
	v_mul_f32_e32 v1, 0x5f7ffffc, v1
	v_mul_f32_e32 v2, 0x2f800000, v1
	v_trunc_f32_e32 v2, v2
	v_madmk_f32 v1, v2, 0xcf800000, v1
	v_cvt_u32_f32_e32 v2, v2
	v_cvt_u32_f32_e32 v1, v1
	v_readfirstlane_b32 s19, v2
	v_readfirstlane_b32 s14, v1
	s_mul_i32 s15, s12, s19
	s_mul_hi_u32 s21, s12, s14
	s_mul_i32 s20, s18, s14
	s_add_i32 s15, s21, s15
	s_add_i32 s15, s15, s20
	s_mul_i32 s23, s12, s14
	s_mul_i32 s21, s14, s15
	s_mul_hi_u32 s24, s14, s23
	s_mul_hi_u32 s20, s14, s15
	s_add_u32 s21, s24, s21
	s_addc_u32 s20, 0, s20
	s_mul_hi_u32 s25, s19, s23
	s_mul_i32 s23, s19, s23
	s_add_u32 s21, s21, s23
	s_mul_hi_u32 s24, s19, s15
	s_addc_u32 s20, s20, s25
	s_addc_u32 s21, s24, 0
	s_mul_i32 s15, s19, s15
	s_add_u32 s15, s20, s15
	s_addc_u32 s20, 0, s21
	s_add_u32 s21, s14, s15
	s_cselect_b64 s[14:15], -1, 0
	s_cmp_lg_u64 s[14:15], 0
	s_addc_u32 s19, s19, s20
	s_mul_i32 s14, s12, s19
	s_mul_hi_u32 s15, s12, s21
	s_add_i32 s14, s15, s14
	s_mul_i32 s18, s18, s21
	s_add_i32 s14, s14, s18
	s_mul_i32 s12, s12, s21
	s_mul_hi_u32 s18, s19, s12
	s_mul_i32 s20, s19, s12
	s_mul_i32 s24, s21, s14
	s_mul_hi_u32 s12, s21, s12
	s_mul_hi_u32 s23, s21, s14
	s_add_u32 s12, s12, s24
	s_addc_u32 s23, 0, s23
	s_add_u32 s12, s12, s20
	s_mul_hi_u32 s15, s19, s14
	s_addc_u32 s12, s23, s18
	s_addc_u32 s15, s15, 0
	s_mul_i32 s14, s19, s14
	s_add_u32 s12, s12, s14
	s_addc_u32 s18, 0, s15
	s_add_u32 s20, s21, s12
	s_cselect_b64 s[14:15], -1, 0
	s_cmp_lg_u64 s[14:15], 0
	s_addc_u32 s18, s19, s18
	s_ashr_i32 s14, s13, 31
	s_add_u32 s12, s9, s14
	s_mov_b32 s15, s14
	s_addc_u32 s13, s13, s14
	s_xor_b64 s[12:13], s[12:13], s[14:15]
	s_mul_i32 s21, s12, s18
	s_mul_hi_u32 s23, s12, s20
	s_mul_hi_u32 s19, s12, s18
	s_add_u32 s21, s23, s21
	s_addc_u32 s19, 0, s19
	s_mul_hi_u32 s24, s13, s20
	s_mul_i32 s20, s13, s20
	s_add_u32 s20, s21, s20
	s_mul_hi_u32 s23, s13, s18
	s_addc_u32 s19, s19, s24
	s_addc_u32 s20, s23, 0
	s_mul_i32 s18, s13, s18
	s_add_u32 s23, s19, s18
	s_addc_u32 s24, 0, s20
	s_mul_i32 s18, s10, s24
	s_mul_hi_u32 s19, s10, s23
	s_add_i32 s18, s19, s18
	s_mul_i32 s19, s11, s23
	s_add_i32 s25, s18, s19
	s_sub_i32 s20, s13, s25
	s_mul_i32 s18, s10, s23
	s_sub_u32 s12, s12, s18
	s_cselect_b64 s[18:19], -1, 0
	s_cmp_lg_u64 s[18:19], 0
	s_subb_u32 s26, s20, s11
	s_sub_u32 s27, s12, s10
	s_cselect_b64 s[20:21], -1, 0
	s_cmp_lg_u64 s[20:21], 0
	s_subb_u32 s20, s26, 0
	s_cmp_ge_u32 s20, s11
	s_cselect_b32 s21, -1, 0
	s_cmp_ge_u32 s27, s10
	s_cselect_b32 s26, -1, 0
	s_cmp_eq_u32 s20, s11
	s_cselect_b32 s20, s26, s21
	s_add_u32 s21, s23, 1
	s_addc_u32 s26, s24, 0
	s_add_u32 s27, s23, 2
	s_addc_u32 s28, s24, 0
	s_cmp_lg_u32 s20, 0
	s_cselect_b32 s20, s27, s21
	s_cselect_b32 s21, s28, s26
	s_cmp_lg_u64 s[18:19], 0
	s_subb_u32 s13, s13, s25
	s_cmp_ge_u32 s13, s11
	s_cselect_b32 s18, -1, 0
	s_cmp_ge_u32 s12, s10
	s_cselect_b32 s10, -1, 0
	s_cmp_eq_u32 s13, s11
	s_cselect_b32 s10, s10, s18
	s_cmp_lg_u32 s10, 0
	s_cselect_b32 s11, s21, s24
	s_cselect_b32 s10, s20, s23
	s_xor_b64 s[12:13], s[14:15], 0
	s_xor_b64 s[10:11], s[10:11], s[12:13]
	s_sub_u32 s10, s10, s12
	s_load_dwordx4 s[12:15], s[4:5], 0x44
	s_cbranch_execnz .LBB51_3
.LBB51_2:
	v_cvt_f32_u32_e32 v1, s22
	s_sub_i32 s10, 0, s22
	v_rcp_iflag_f32_e32 v1, v1
	v_mul_f32_e32 v1, 0x4f7ffffe, v1
	v_cvt_u32_f32_e32 v1, v1
	v_readfirstlane_b32 s11, v1
	s_mul_i32 s10, s10, s11
	s_mul_hi_u32 s10, s11, s10
	s_add_i32 s11, s11, s10
	s_mul_hi_u32 s10, s9, s11
	s_waitcnt lgkmcnt(0)
	s_mul_i32 s15, s10, s22
	s_sub_i32 s9, s9, s15
	s_add_i32 s11, s10, 1
	s_sub_i32 s15, s9, s22
	s_cmp_ge_u32 s9, s22
	s_cselect_b32 s10, s11, s10
	s_cselect_b32 s9, s15, s9
	s_add_i32 s11, s10, 1
	s_cmp_ge_u32 s9, s22
	s_cselect_b32 s10, s11, s10
.LBB51_3:
	s_add_i32 s9, s6, 1
	s_mul_hi_i32 s21, s3, s9
	s_mov_b32 s20, 0
	s_cmp_lg_u64 s[20:21], 0
	s_mul_i32 s9, s3, s9
	s_cbranch_scc0 .LBB51_21
; %bb.4:
	s_add_u32 s16, s22, 0
	s_addc_u32 s17, 0, 0
	s_xor_b64 s[18:19], s[16:17], 0
	v_cvt_f32_u32_e32 v1, s18
	v_cvt_f32_u32_e32 v2, s19
	s_sub_u32 s11, 0, s18
	s_waitcnt lgkmcnt(0)
	s_subb_u32 s15, 0, s19
	v_madmk_f32 v1, v2, 0x4f800000, v1
	v_rcp_f32_e32 v1, v1
	v_mul_f32_e32 v1, 0x5f7ffffc, v1
	v_mul_f32_e32 v2, 0x2f800000, v1
	v_trunc_f32_e32 v2, v2
	v_madmk_f32 v1, v2, 0xcf800000, v1
	v_cvt_u32_f32_e32 v2, v2
	v_cvt_u32_f32_e32 v1, v1
	v_readfirstlane_b32 s20, v2
	v_readfirstlane_b32 s23, v1
	s_mul_i32 s24, s11, s20
	s_mul_hi_u32 s26, s11, s23
	s_mul_i32 s25, s15, s23
	s_add_i32 s24, s26, s24
	s_add_i32 s24, s24, s25
	s_mul_i32 s27, s11, s23
	s_mul_i32 s26, s23, s24
	s_mul_hi_u32 s28, s23, s27
	s_mul_hi_u32 s25, s23, s24
	s_add_u32 s26, s28, s26
	s_addc_u32 s25, 0, s25
	s_mul_hi_u32 s29, s20, s27
	s_mul_i32 s27, s20, s27
	s_add_u32 s26, s26, s27
	s_mul_hi_u32 s28, s20, s24
	s_addc_u32 s25, s25, s29
	s_addc_u32 s26, s28, 0
	s_mul_i32 s24, s20, s24
	s_add_u32 s24, s25, s24
	s_addc_u32 s26, 0, s26
	s_add_u32 s23, s23, s24
	s_cselect_b64 s[24:25], -1, 0
	s_cmp_lg_u64 s[24:25], 0
	s_addc_u32 s20, s20, s26
	s_mul_i32 s24, s11, s20
	s_mul_hi_u32 s25, s11, s23
	s_add_i32 s24, s25, s24
	s_mul_i32 s15, s15, s23
	s_add_i32 s24, s24, s15
	s_mul_i32 s11, s11, s23
	s_mul_hi_u32 s25, s20, s11
	s_mul_i32 s26, s20, s11
	s_mul_i32 s28, s23, s24
	s_mul_hi_u32 s11, s23, s11
	s_mul_hi_u32 s27, s23, s24
	s_add_u32 s11, s11, s28
	s_addc_u32 s27, 0, s27
	s_add_u32 s11, s11, s26
	s_mul_hi_u32 s15, s20, s24
	s_addc_u32 s11, s27, s25
	s_addc_u32 s15, s15, 0
	s_mul_i32 s24, s20, s24
	s_add_u32 s11, s11, s24
	s_addc_u32 s15, 0, s15
	s_add_u32 s11, s23, s11
	s_cselect_b64 s[24:25], -1, 0
	s_cmp_lg_u64 s[24:25], 0
	s_addc_u32 s15, s20, s15
	s_ashr_i32 s24, s21, 31
	s_add_u32 s20, s9, s24
	s_mov_b32 s25, s24
	s_addc_u32 s21, s21, s24
	s_xor_b64 s[20:21], s[20:21], s[24:25]
	s_mul_i32 s26, s20, s15
	s_mul_hi_u32 s27, s20, s11
	s_mul_hi_u32 s23, s20, s15
	s_add_u32 s26, s27, s26
	s_addc_u32 s23, 0, s23
	s_mul_hi_u32 s28, s21, s11
	s_mul_i32 s11, s21, s11
	s_add_u32 s11, s26, s11
	s_mul_hi_u32 s27, s21, s15
	s_addc_u32 s11, s23, s28
	s_addc_u32 s23, s27, 0
	s_mul_i32 s15, s21, s15
	s_add_u32 s11, s11, s15
	s_addc_u32 s15, 0, s23
	s_mul_i32 s23, s18, s15
	s_mul_hi_u32 s26, s18, s11
	s_add_i32 s23, s26, s23
	s_mul_i32 s26, s19, s11
	s_add_i32 s23, s23, s26
	s_sub_i32 s28, s21, s23
	s_mul_i32 s26, s18, s11
	s_sub_u32 s20, s20, s26
	s_cselect_b64 s[26:27], -1, 0
	s_cmp_lg_u64 s[26:27], 0
	s_subb_u32 s30, s28, s19
	s_sub_u32 s31, s20, s18
	s_cselect_b64 s[28:29], -1, 0
	s_cmp_lg_u64 s[28:29], 0
	s_subb_u32 s28, s30, 0
	s_cmp_ge_u32 s28, s19
	s_cselect_b32 s29, -1, 0
	s_cmp_ge_u32 s31, s18
	s_cselect_b32 s30, -1, 0
	s_cmp_eq_u32 s28, s19
	s_cselect_b32 s28, s30, s29
	s_add_u32 s29, s11, 1
	s_addc_u32 s30, s15, 0
	s_add_u32 s31, s11, 2
	s_addc_u32 s33, s15, 0
	s_cmp_lg_u32 s28, 0
	s_cselect_b32 s28, s31, s29
	s_cselect_b32 s29, s33, s30
	s_cmp_lg_u64 s[26:27], 0
	s_subb_u32 s21, s21, s23
	s_cmp_ge_u32 s21, s19
	s_cselect_b32 s23, -1, 0
	s_cmp_ge_u32 s20, s18
	s_cselect_b32 s18, -1, 0
	s_cmp_eq_u32 s21, s19
	s_cselect_b32 s18, s18, s23
	s_cmp_lg_u32 s18, 0
	s_cselect_b32 s19, s29, s15
	s_cselect_b32 s18, s28, s11
	s_xor_b64 s[20:21], s[24:25], 0
	s_xor_b64 s[18:19], s[18:19], s[20:21]
	s_sub_u32 s18, s18, s20
	s_cbranch_execnz .LBB51_6
.LBB51_5:
	v_cvt_f32_u32_e32 v1, s22
	s_sub_i32 s11, 0, s22
	v_rcp_iflag_f32_e32 v1, v1
	v_mul_f32_e32 v1, 0x4f7ffffe, v1
	v_cvt_u32_f32_e32 v1, v1
	s_waitcnt lgkmcnt(0)
	v_readfirstlane_b32 s15, v1
	s_mul_i32 s11, s11, s15
	s_mul_hi_u32 s11, s15, s11
	s_add_i32 s15, s15, s11
	s_mul_hi_u32 s11, s9, s15
	s_mul_i32 s16, s11, s22
	s_sub_i32 s9, s9, s16
	s_add_i32 s15, s11, 1
	s_sub_i32 s16, s9, s22
	s_cmp_ge_u32 s9, s22
	s_cselect_b32 s11, s15, s11
	s_cselect_b32 s9, s16, s9
	s_add_i32 s15, s11, 1
	s_cmp_ge_u32 s9, s22
	s_cselect_b32 s18, s15, s11
.LBB51_6:
	s_cmp_eq_u32 s10, s18
	s_waitcnt lgkmcnt(0)
	s_mul_hi_u32 s9, s10, s12
	s_cselect_b64 s[16:17], -1, 0
	s_add_i32 s9, s9, s10
	s_lshr_b32 s11, s9, s13
	s_mul_i32 s9, s11, s14
	s_cmp_eq_u32 s9, s10
	s_mul_hi_u32 s9, s18, s12
	s_cselect_b64 s[20:21], -1, 0
	s_add_i32 s9, s9, s18
	s_lshr_b32 s9, s9, s13
	s_cmp_eq_u32 s11, s9
	s_mul_i32 s9, s9, s14
	s_cselect_b64 s[24:25], -1, 0
	s_cmp_lg_u32 s9, s18
	s_cselect_b64 s[18:19], -1, 0
	s_and_b64 s[18:19], s[24:25], s[18:19]
	s_or_b64 s[16:17], s[16:17], s[20:21]
	s_or_b64 s[16:17], s[16:17], s[18:19]
	s_and_b64 vcc, exec, s[16:17]
	s_cbranch_vccnz .LBB51_23
; %bb.7:
	s_load_dwordx8 s[24:31], s[4:5], 0x20
	s_load_dword s15, s[4:5], 0x40
	s_waitcnt lgkmcnt(0)
	s_mul_hi_u32 s9, s10, s24
	s_add_i32 s9, s9, s10
	s_lshr_b32 s9, s9, s25
	s_mul_i32 s16, s9, s26
	s_sub_i32 s16, s10, s16
	s_mul_hi_u32 s17, s16, s27
	s_add_i32 s17, s16, s17
	s_lshr_b32 s24, s17, s28
	s_mul_i32 s17, s24, s29
	s_sub_i32 s16, s16, s17
	;; [unrolled: 5-line block ×3, first 2 shown]
	s_mul_hi_u32 s16, s15, s12
	s_add_i32 s15, s15, s16
	s_lshr_b32 s25, s15, s13
	s_lshl_b32 s15, s25, 3
	s_add_i32 s15, s15, s7
	s_cmp_lt_i32 s15, s0
	s_cselect_b64 s[16:17], -1, 0
	s_add_i32 s15, s23, s8
	s_cmp_lt_i32 s15, s2
	s_cselect_b64 s[18:19], -1, 0
	s_and_b64 s[16:17], s[16:17], s[18:19]
	s_andn2_b64 vcc, exec, s[16:17]
	s_cbranch_vccnz .LBB51_23
; %bb.8:
	s_load_dwordx4 s[16:19], s[4:5], 0x0
	s_mov_b32 s4, 0
	s_lshl_b32 s20, s22, 5
	s_mov_b32 s21, s4
	s_add_i32 s15, s7, s8
	s_lshl_b64 s[20:21], s[20:21], 2
	s_waitcnt lgkmcnt(0)
	s_add_u32 s20, s18, s20
	s_mul_i32 s0, s9, s0
	s_addc_u32 s21, s19, s21
	s_add_i32 s0, s0, s7
	s_mul_i32 s0, s0, s1
	s_mul_i32 s24, s24, s2
	s_add_i32 s0, s0, s8
	s_add_i32 s0, s0, s24
	s_mul_i32 s2, s1, s25
	s_add_i32 s0, s0, s23
	s_lshl_b32 s2, s2, 11
	s_lshl_b32 s0, s0, 8
	s_add_i32 s2, s2, s0
	v_or_b32_e32 v1, s2, v0
	v_ashrrev_i32_e32 v2, 31, v1
	v_lshlrev_b64 v[1:2], 2, v[1:2]
	v_mov_b32_e32 v3, s17
	v_add_co_u32_e32 v1, vcc, s16, v1
	v_addc_co_u32_e32 v2, vcc, v3, v2, vcc
	global_load_dword v3, v[1:2], off
	v_cvt_f32_u32_e32 v4, s22
	s_lshl_b32 s0, s6, 3
	s_add_i32 s0, s0, s15
	s_ashr_i32 s1, s0, 31
	s_lshl_b64 s[0:1], s[0:1], 3
	v_rcp_iflag_f32_e32 v4, v4
	s_add_u32 s0, s18, s0
	s_addc_u32 s1, s19, s1
	s_load_dwordx2 s[0:1], s[0:1], 0x0
	v_mul_f32_e32 v4, 0x4f7ffffe, v4
	v_cvt_u32_f32_e32 v4, v4
	s_add_i32 s24, s6, -1
	v_lshl_or_b32 v0, s15, 8, v0
	s_waitcnt lgkmcnt(0)
	v_mov_b32_e32 v6, s1
	v_mov_b32_e32 v7, s0
	s_mov_b32 s2, 0x3fb8aa3b
	s_mov_b32 s16, 0xc2ce8ed0
	;; [unrolled: 1-line block ×4, first 2 shown]
	v_mov_b32_e32 v5, 0x7f800000
	s_mul_hi_i32 s5, s24, s3
	s_cmp_lg_u64 s[4:5], 0
	s_mul_i32 s8, s24, s3
	s_cbranch_scc0 .LBB51_19
.LBB51_9:
	s_add_u32 s0, s22, 0
	s_addc_u32 s1, 0, 0
	s_xor_b64 s[0:1], s[0:1], 0
	v_cvt_f32_u32_e32 v8, s0
	v_cvt_f32_u32_e32 v9, s1
	s_sub_u32 s9, 0, s0
	s_subb_u32 s25, 0, s1
	v_mac_f32_e32 v8, 0x4f800000, v9
	v_rcp_f32_e32 v8, v8
	v_mul_f32_e32 v8, 0x5f7ffffc, v8
	v_mul_f32_e32 v9, 0x2f800000, v8
	v_trunc_f32_e32 v9, v9
	v_mac_f32_e32 v8, 0xcf800000, v9
	v_cvt_u32_f32_e32 v9, v9
	v_cvt_u32_f32_e32 v8, v8
	v_readfirstlane_b32 s26, v9
	v_readfirstlane_b32 s6, v8
	s_mul_i32 s7, s9, s26
	s_mul_hi_u32 s28, s9, s6
	s_mul_i32 s27, s25, s6
	s_add_i32 s7, s28, s7
	s_mul_i32 s29, s9, s6
	s_add_i32 s7, s7, s27
	s_mul_i32 s28, s6, s7
	s_mul_hi_u32 s30, s6, s29
	s_mul_hi_u32 s27, s6, s7
	s_add_u32 s28, s30, s28
	s_addc_u32 s27, 0, s27
	s_mul_hi_u32 s31, s26, s29
	s_mul_i32 s29, s26, s29
	s_add_u32 s28, s28, s29
	s_mul_hi_u32 s30, s26, s7
	s_addc_u32 s27, s27, s31
	s_addc_u32 s28, s30, 0
	s_mul_i32 s7, s26, s7
	s_add_u32 s7, s27, s7
	s_addc_u32 s27, 0, s28
	s_add_u32 s28, s6, s7
	s_cselect_b64 s[6:7], -1, 0
	s_cmp_lg_u64 s[6:7], 0
	s_addc_u32 s26, s26, s27
	s_mul_i32 s6, s9, s26
	s_mul_hi_u32 s7, s9, s28
	s_add_i32 s6, s7, s6
	s_mul_i32 s25, s25, s28
	s_add_i32 s6, s6, s25
	s_mul_i32 s9, s9, s28
	s_mul_hi_u32 s25, s26, s9
	s_mul_i32 s27, s26, s9
	s_mul_i32 s30, s28, s6
	s_mul_hi_u32 s9, s28, s9
	s_mul_hi_u32 s29, s28, s6
	s_add_u32 s9, s9, s30
	s_addc_u32 s29, 0, s29
	s_add_u32 s9, s9, s27
	s_mul_hi_u32 s7, s26, s6
	s_addc_u32 s9, s29, s25
	s_addc_u32 s7, s7, 0
	s_mul_i32 s6, s26, s6
	s_add_u32 s6, s9, s6
	s_addc_u32 s9, 0, s7
	s_add_u32 s25, s28, s6
	s_cselect_b64 s[6:7], -1, 0
	s_cmp_lg_u64 s[6:7], 0
	s_addc_u32 s9, s26, s9
	s_ashr_i32 s6, s5, 31
	s_add_u32 s26, s8, s6
	s_mov_b32 s7, s6
	s_addc_u32 s27, s5, s6
	s_xor_b64 s[26:27], s[26:27], s[6:7]
	s_mul_i32 s28, s26, s9
	s_mul_hi_u32 s29, s26, s25
	s_mul_hi_u32 s5, s26, s9
	s_add_u32 s28, s29, s28
	s_addc_u32 s5, 0, s5
	s_mul_hi_u32 s30, s27, s25
	s_mul_i32 s25, s27, s25
	s_add_u32 s25, s28, s25
	s_mul_hi_u32 s29, s27, s9
	s_addc_u32 s5, s5, s30
	s_addc_u32 s25, s29, 0
	s_mul_i32 s9, s27, s9
	s_add_u32 s5, s5, s9
	s_addc_u32 s9, 0, s25
	s_mul_i32 s25, s0, s9
	s_mul_hi_u32 s28, s0, s5
	s_add_i32 s25, s28, s25
	s_mul_i32 s28, s1, s5
	s_add_i32 s25, s25, s28
	s_sub_i32 s30, s27, s25
	s_mul_i32 s28, s0, s5
	s_sub_u32 s26, s26, s28
	s_cselect_b64 s[28:29], -1, 0
	s_cmp_lg_u64 s[28:29], 0
	s_subb_u32 s33, s30, s1
	s_sub_u32 s34, s26, s0
	s_cselect_b64 s[30:31], -1, 0
	s_cmp_lg_u64 s[30:31], 0
	s_subb_u32 s30, s33, 0
	s_cmp_ge_u32 s30, s1
	s_cselect_b32 s31, -1, 0
	s_cmp_ge_u32 s34, s0
	s_cselect_b32 s33, -1, 0
	s_cmp_eq_u32 s30, s1
	s_cselect_b32 s30, s33, s31
	s_add_u32 s31, s5, 1
	s_addc_u32 s33, s9, 0
	s_add_u32 s34, s5, 2
	s_addc_u32 s35, s9, 0
	s_cmp_lg_u32 s30, 0
	s_cselect_b32 s30, s34, s31
	s_cselect_b32 s31, s35, s33
	s_cmp_lg_u64 s[28:29], 0
	s_subb_u32 s25, s27, s25
	s_cmp_ge_u32 s25, s1
	s_cselect_b32 s27, -1, 0
	s_cmp_ge_u32 s26, s0
	s_cselect_b32 s0, -1, 0
	s_cmp_eq_u32 s25, s1
	s_cselect_b32 s0, s0, s27
	s_cmp_lg_u32 s0, 0
	s_cselect_b32 s1, s31, s9
	s_cselect_b32 s0, s30, s5
	s_xor_b64 s[6:7], s[6:7], 0
	s_xor_b64 s[0:1], s[0:1], s[6:7]
	s_sub_u32 s6, s0, s6
	s_cbranch_execnz .LBB51_11
.LBB51_10:
	s_sub_i32 s0, 0, s22
	v_readfirstlane_b32 s1, v4
	s_mul_i32 s0, s0, s1
	s_mul_hi_u32 s0, s1, s0
	s_add_i32 s1, s1, s0
	s_mul_hi_u32 s0, s8, s1
	s_mul_i32 s5, s0, s22
	s_sub_i32 s5, s8, s5
	s_add_i32 s1, s0, 1
	s_sub_i32 s6, s5, s22
	s_cmp_ge_u32 s5, s22
	s_cselect_b32 s0, s1, s0
	s_cselect_b32 s5, s6, s5
	s_add_i32 s1, s0, 1
	s_cmp_ge_u32 s5, s22
	s_cselect_b32 s6, s1, s0
.LBB51_11:
	s_cmp_lg_u32 s10, s6
	s_mov_b64 s[8:9], -1
                                        ; implicit-def: $sgpr0_sgpr1
                                        ; implicit-def: $vgpr10
                                        ; implicit-def: $vgpr8
                                        ; implicit-def: $vgpr9
                                        ; implicit-def: $sgpr5
                                        ; implicit-def: $sgpr7
	s_cbranch_scc1 .LBB51_14
; %bb.12:
	s_andn2_b64 vcc, exec, s[8:9]
	s_cbranch_vccz .LBB51_17
.LBB51_13:
	s_andn2_b64 vcc, exec, s[0:1]
	s_cbranch_vccnz .LBB51_18
	s_branch .LBB51_22
.LBB51_14:
	s_add_i32 s0, s24, s22
	s_lshl_b32 s0, s0, 3
	s_add_i32 s0, s0, s15
	s_mov_b32 s1, s4
	s_lshl_b64 s[0:1], s[0:1], 3
	s_add_u32 s8, s18, s0
	s_mul_hi_u32 s0, s6, s12
	s_addc_u32 s9, s19, s1
	s_add_i32 s0, s0, s6
	s_lshr_b32 s5, s0, s13
	s_mul_i32 s0, s5, s14
	s_cmp_eq_u32 s0, s6
	s_cselect_b64 s[0:1], -1, 0
	s_cmp_lt_u32 s5, s11
	s_cselect_b64 s[26:27], -1, 0
	s_or_b64 s[26:27], s[26:27], s[0:1]
	s_mov_b64 s[0:1], -1
	s_and_b64 vcc, exec, s[26:27]
	s_mov_b32 s5, s24
	s_mov_b32 s7, s10
	s_cbranch_vccnz .LBB51_16
; %bb.15:
	s_add_i32 s5, s24, -1
	s_mov_b64 s[0:1], 0
	s_mov_b32 s7, s6
.LBB51_16:
	v_lshl_add_u32 v8, s24, 11, v0
	v_ashrrev_i32_e32 v9, 31, v8
	v_lshlrev_b64 v[8:9], 2, v[8:9]
	v_mov_b32_e32 v10, s21
	v_add_co_u32_e32 v8, vcc, s20, v8
	v_addc_co_u32_e32 v9, vcc, v10, v9, vcc
	global_load_dword v10, v[8:9], off
	s_load_dwordx2 s[8:9], s[8:9], 0x0
	v_max_f32_e32 v8, v7, v7
	s_waitcnt lgkmcnt(0)
	v_max_f32_e64 v9, s8, s8
	v_max_f32_e32 v8, v8, v9
	v_sub_f32_e32 v9, v7, v8
	v_sub_f32_e32 v11, s8, v8
	v_mul_f32_e32 v12, 0x3fb8aa3b, v9
	v_mul_f32_e32 v13, 0x3fb8aa3b, v11
	v_fma_f32 v14, v9, s2, -v12
	v_rndne_f32_e32 v15, v12
	v_fma_f32 v16, v11, s2, -v13
	v_rndne_f32_e32 v17, v13
	v_fmac_f32_e32 v14, 0x32a5705f, v9
	v_sub_f32_e32 v12, v12, v15
	v_fmac_f32_e32 v16, 0x32a5705f, v11
	v_sub_f32_e32 v13, v13, v17
	v_add_f32_e32 v12, v12, v14
	v_cvt_i32_f32_e32 v15, v15
	v_add_f32_e32 v13, v13, v16
	v_exp_f32_e32 v12, v12
	v_cvt_i32_f32_e32 v17, v17
	v_exp_f32_e32 v13, v13
	v_cmp_ngt_f32_e32 vcc, s16, v9
	v_ldexp_f32 v12, v12, v15
	v_cndmask_b32_e32 v12, 0, v12, vcc
	v_ldexp_f32 v13, v13, v17
	v_cmp_ngt_f32_e32 vcc, s16, v11
	v_cndmask_b32_e32 v13, 0, v13, vcc
	v_cmp_nlt_f32_e32 vcc, s17, v9
	v_cndmask_b32_e32 v12, v5, v12, vcc
	v_cmp_nlt_f32_e32 vcc, s17, v11
	v_cndmask_b32_e32 v13, v5, v13, vcc
	v_cmp_le_f32_e32 vcc, s23, v9
	v_cndmask_b32_e32 v12, 0, v12, vcc
	v_cmp_le_f32_e32 vcc, s23, v11
	v_cndmask_b32_e32 v11, 0, v13, vcc
	v_mul_f32_e32 v9, s9, v11
	v_fmac_f32_e32 v9, v6, v12
	s_waitcnt vmcnt(0)
	v_mul_f32_e32 v10, v10, v11
	v_fmac_f32_e32 v10, v3, v12
	s_cbranch_execnz .LBB51_13
.LBB51_17:
	s_add_i32 s5, s24, -1
	s_mov_b32 s7, s10
	v_mov_b32_e32 v9, v6
	v_mov_b32_e32 v8, v7
	s_waitcnt vmcnt(0)
	v_mov_b32_e32 v10, v3
	s_cbranch_execz .LBB51_22
.LBB51_18:
	s_mov_b32 s10, s7
	s_mov_b32 s24, s5
	v_mov_b32_e32 v6, v9
	v_mov_b32_e32 v7, v8
	s_waitcnt vmcnt(0)
	v_mov_b32_e32 v3, v10
	s_mul_hi_i32 s5, s24, s3
	s_cmp_lg_u64 s[4:5], 0
	s_mul_i32 s8, s24, s3
	s_cbranch_scc1 .LBB51_9
.LBB51_19:
                                        ; implicit-def: $sgpr6_sgpr7
	s_branch .LBB51_10
.LBB51_20:
                                        ; implicit-def: $sgpr10_sgpr11
	s_load_dwordx4 s[12:15], s[4:5], 0x44
	s_branch .LBB51_2
.LBB51_21:
                                        ; implicit-def: $sgpr18_sgpr19
	s_branch .LBB51_5
.LBB51_22:
	v_div_scale_f32 v0, s[0:1], v9, v9, v10
	s_waitcnt vmcnt(0)
	v_div_scale_f32 v3, vcc, v10, v9, v10
	v_rcp_f32_e32 v4, v0
	v_fma_f32 v5, -v0, v4, 1.0
	v_fmac_f32_e32 v4, v5, v4
	v_mul_f32_e32 v5, v3, v4
	v_fma_f32 v6, -v0, v5, v3
	v_fmac_f32_e32 v5, v6, v4
	v_fma_f32 v0, -v0, v5, v3
	v_div_fmas_f32 v0, v0, v4, v5
	v_div_fixup_f32 v0, v0, v9, v10
	global_store_dword v[1:2], v0, off
.LBB51_23:
	s_endpgm
	.section	.rodata,"a",@progbits
	.p2align	6, 0x0
	.amdhsa_kernel _ZL33flash_attn_stream_k_fixup_generalILi256ELi8ELi1EEvPfPK15HIP_vector_typeIfLj2EEiiiiS1_IjLj3EES5_S5_S5_
		.amdhsa_group_segment_fixed_size 0
		.amdhsa_private_segment_fixed_size 0
		.amdhsa_kernarg_size 336
		.amdhsa_user_sgpr_count 6
		.amdhsa_user_sgpr_private_segment_buffer 1
		.amdhsa_user_sgpr_dispatch_ptr 0
		.amdhsa_user_sgpr_queue_ptr 0
		.amdhsa_user_sgpr_kernarg_segment_ptr 1
		.amdhsa_user_sgpr_dispatch_id 0
		.amdhsa_user_sgpr_flat_scratch_init 0
		.amdhsa_user_sgpr_private_segment_size 0
		.amdhsa_uses_dynamic_stack 0
		.amdhsa_system_sgpr_private_segment_wavefront_offset 0
		.amdhsa_system_sgpr_workgroup_id_x 1
		.amdhsa_system_sgpr_workgroup_id_y 1
		.amdhsa_system_sgpr_workgroup_id_z 1
		.amdhsa_system_sgpr_workgroup_info 0
		.amdhsa_system_vgpr_workitem_id 0
		.amdhsa_next_free_vgpr 18
		.amdhsa_next_free_sgpr 36
		.amdhsa_reserve_vcc 1
		.amdhsa_reserve_flat_scratch 0
		.amdhsa_float_round_mode_32 0
		.amdhsa_float_round_mode_16_64 0
		.amdhsa_float_denorm_mode_32 3
		.amdhsa_float_denorm_mode_16_64 3
		.amdhsa_dx10_clamp 1
		.amdhsa_ieee_mode 1
		.amdhsa_fp16_overflow 0
		.amdhsa_exception_fp_ieee_invalid_op 0
		.amdhsa_exception_fp_denorm_src 0
		.amdhsa_exception_fp_ieee_div_zero 0
		.amdhsa_exception_fp_ieee_overflow 0
		.amdhsa_exception_fp_ieee_underflow 0
		.amdhsa_exception_fp_ieee_inexact 0
		.amdhsa_exception_int_div_zero 0
	.end_amdhsa_kernel
	.section	.text._ZL33flash_attn_stream_k_fixup_generalILi256ELi8ELi1EEvPfPK15HIP_vector_typeIfLj2EEiiiiS1_IjLj3EES5_S5_S5_,"axG",@progbits,_ZL33flash_attn_stream_k_fixup_generalILi256ELi8ELi1EEvPfPK15HIP_vector_typeIfLj2EEiiiiS1_IjLj3EES5_S5_S5_,comdat
.Lfunc_end51:
	.size	_ZL33flash_attn_stream_k_fixup_generalILi256ELi8ELi1EEvPfPK15HIP_vector_typeIfLj2EEiiiiS1_IjLj3EES5_S5_S5_, .Lfunc_end51-_ZL33flash_attn_stream_k_fixup_generalILi256ELi8ELi1EEvPfPK15HIP_vector_typeIfLj2EEiiiiS1_IjLj3EES5_S5_S5_
                                        ; -- End function
	.set _ZL33flash_attn_stream_k_fixup_generalILi256ELi8ELi1EEvPfPK15HIP_vector_typeIfLj2EEiiiiS1_IjLj3EES5_S5_S5_.num_vgpr, 18
	.set _ZL33flash_attn_stream_k_fixup_generalILi256ELi8ELi1EEvPfPK15HIP_vector_typeIfLj2EEiiiiS1_IjLj3EES5_S5_S5_.num_agpr, 0
	.set _ZL33flash_attn_stream_k_fixup_generalILi256ELi8ELi1EEvPfPK15HIP_vector_typeIfLj2EEiiiiS1_IjLj3EES5_S5_S5_.numbered_sgpr, 36
	.set _ZL33flash_attn_stream_k_fixup_generalILi256ELi8ELi1EEvPfPK15HIP_vector_typeIfLj2EEiiiiS1_IjLj3EES5_S5_S5_.num_named_barrier, 0
	.set _ZL33flash_attn_stream_k_fixup_generalILi256ELi8ELi1EEvPfPK15HIP_vector_typeIfLj2EEiiiiS1_IjLj3EES5_S5_S5_.private_seg_size, 0
	.set _ZL33flash_attn_stream_k_fixup_generalILi256ELi8ELi1EEvPfPK15HIP_vector_typeIfLj2EEiiiiS1_IjLj3EES5_S5_S5_.uses_vcc, 1
	.set _ZL33flash_attn_stream_k_fixup_generalILi256ELi8ELi1EEvPfPK15HIP_vector_typeIfLj2EEiiiiS1_IjLj3EES5_S5_S5_.uses_flat_scratch, 0
	.set _ZL33flash_attn_stream_k_fixup_generalILi256ELi8ELi1EEvPfPK15HIP_vector_typeIfLj2EEiiiiS1_IjLj3EES5_S5_S5_.has_dyn_sized_stack, 0
	.set _ZL33flash_attn_stream_k_fixup_generalILi256ELi8ELi1EEvPfPK15HIP_vector_typeIfLj2EEiiiiS1_IjLj3EES5_S5_S5_.has_recursion, 0
	.set _ZL33flash_attn_stream_k_fixup_generalILi256ELi8ELi1EEvPfPK15HIP_vector_typeIfLj2EEiiiiS1_IjLj3EES5_S5_S5_.has_indirect_call, 0
	.section	.AMDGPU.csdata,"",@progbits
; Kernel info:
; codeLenInByte = 2932
; TotalNumSgprs: 40
; NumVgprs: 18
; ScratchSize: 0
; MemoryBound: 0
; FloatMode: 240
; IeeeMode: 1
; LDSByteSize: 0 bytes/workgroup (compile time only)
; SGPRBlocks: 4
; VGPRBlocks: 4
; NumSGPRsForWavesPerEU: 40
; NumVGPRsForWavesPerEU: 18
; Occupancy: 10
; WaveLimiterHint : 0
; COMPUTE_PGM_RSRC2:SCRATCH_EN: 0
; COMPUTE_PGM_RSRC2:USER_SGPR: 6
; COMPUTE_PGM_RSRC2:TRAP_HANDLER: 0
; COMPUTE_PGM_RSRC2:TGID_X_EN: 1
; COMPUTE_PGM_RSRC2:TGID_Y_EN: 1
; COMPUTE_PGM_RSRC2:TGID_Z_EN: 1
; COMPUTE_PGM_RSRC2:TIDIG_COMP_CNT: 0
	.section	.text._ZL15flash_attn_tileILi256ELi256ELi4ELi1ELb0EEvPKcS1_S1_S1_S1_PKiPfP15HIP_vector_typeIfLj2EEffffjfiS5_IjLj3EEiiiiiiiiiiiliiliiiiil,"axG",@progbits,_ZL15flash_attn_tileILi256ELi256ELi4ELi1ELb0EEvPKcS1_S1_S1_S1_PKiPfP15HIP_vector_typeIfLj2EEffffjfiS5_IjLj3EEiiiiiiiiiiiliiliiiiil,comdat
	.globl	_ZL15flash_attn_tileILi256ELi256ELi4ELi1ELb0EEvPKcS1_S1_S1_S1_PKiPfP15HIP_vector_typeIfLj2EEffffjfiS5_IjLj3EEiiiiiiiiiiiliiliiiiil ; -- Begin function _ZL15flash_attn_tileILi256ELi256ELi4ELi1ELb0EEvPKcS1_S1_S1_S1_PKiPfP15HIP_vector_typeIfLj2EEffffjfiS5_IjLj3EEiiiiiiiiiiiliiliiiiil
	.p2align	8
	.type	_ZL15flash_attn_tileILi256ELi256ELi4ELi1ELb0EEvPKcS1_S1_S1_S1_PKiPfP15HIP_vector_typeIfLj2EEffffjfiS5_IjLj3EEiiiiiiiiiiiliiliiiiil,@function
_ZL15flash_attn_tileILi256ELi256ELi4ELi1ELb0EEvPKcS1_S1_S1_S1_PKiPfP15HIP_vector_typeIfLj2EEffffjfiS5_IjLj3EEiiiiiiiiiiiliiliiiiil: ; @_ZL15flash_attn_tileILi256ELi256ELi4ELi1ELb0EEvPKcS1_S1_S1_S1_PKiPfP15HIP_vector_typeIfLj2EEffffjfiS5_IjLj3EEiiiiiiiiiiiliiliiiiil
; %bb.0:
	s_load_dwordx4 s[28:31], s[4:5], 0x5c
	s_load_dwordx2 s[42:43], s[4:5], 0x80
	s_add_u32 flat_scratch_lo, s6, s11
	s_addc_u32 flat_scratch_hi, s7, 0
	s_add_u32 s0, s0, s11
	s_waitcnt lgkmcnt(0)
	v_cvt_f32_u32_e32 v2, s31
	s_addc_u32 s1, s1, 0
	s_sub_i32 s6, 0, s31
	s_load_dwordx2 s[44:45], s[4:5], 0xb8
	v_rcp_iflag_f32_e32 v2, v2
	s_mov_b64 s[40:41], 0
	v_mul_f32_e32 v2, 0x4f7ffffe, v2
	v_cvt_u32_f32_e32 v2, v2
	v_readfirstlane_b32 s7, v2
	s_mul_i32 s6, s6, s7
	s_mul_hi_u32 s6, s7, s6
	s_add_i32 s7, s7, s6
	s_mul_hi_u32 s6, s10, s7
	s_mul_i32 s7, s6, s31
	s_sub_i32 s7, s10, s7
	s_add_i32 s11, s6, 1
	s_sub_i32 s12, s7, s31
	s_cmp_ge_u32 s7, s31
	s_cselect_b32 s6, s11, s6
	s_cselect_b32 s7, s12, s7
	s_add_i32 s11, s6, 1
	s_cmp_ge_u32 s7, s31
	s_cselect_b32 s33, s11, s6
	s_abs_i32 s6, s43
	v_cvt_f32_u32_e32 v2, s6
	s_mul_i32 s12, s33, s31
	s_sub_i32 s13, 0, s6
	s_sub_i32 s34, s10, s12
	v_rcp_iflag_f32_e32 v2, v2
	s_abs_i32 s11, s31
	s_xor_b32 s7, s31, s43
	s_ashr_i32 s7, s7, 31
	v_mul_f32_e32 v2, 0x4f7ffffe, v2
	v_cvt_u32_f32_e32 v2, v2
	v_readfirstlane_b32 s10, v2
	s_mul_i32 s13, s13, s10
	s_mul_hi_u32 s12, s10, s13
	s_add_i32 s10, s10, s12
	s_mul_hi_u32 s10, s11, s10
	s_mul_i32 s12, s10, s6
	s_sub_i32 s11, s11, s12
	s_add_i32 s13, s10, 1
	s_sub_i32 s12, s11, s6
	s_cmp_ge_u32 s11, s6
	s_cselect_b32 s10, s13, s10
	s_cselect_b32 s11, s12, s11
	s_add_i32 s12, s10, 1
	s_cmp_ge_u32 s11, s6
	s_cselect_b32 s6, s12, s10
	s_xor_b32 s6, s6, s7
	s_sub_i32 s47, s6, s7
	s_abs_i32 s43, s47
	v_cvt_f32_u32_e32 v2, s43
	s_load_dwordx16 s[12:27], s[4:5], 0x0
	s_sub_i32 s6, 0, s43
	s_abs_i32 s46, s34
	v_rcp_iflag_f32_e32 v2, v2
	v_mul_f32_e32 v2, 0x4f7ffffe, v2
	v_cvt_u32_f32_e32 v2, v2
	v_readfirstlane_b32 s7, v2
	s_mul_i32 s6, s6, s7
	s_mul_hi_u32 s6, s7, s6
	s_add_i32 s6, s7, s6
	s_waitcnt lgkmcnt(0)
	s_cmp_eq_u64 s[18:19], 0
	s_cbranch_scc1 .LBB52_2
; %bb.1:
	s_abs_i32 s7, s44
	v_cvt_f32_u32_e32 v2, s7
	s_sub_i32 s37, 0, s7
	s_abs_i32 s36, s33
	s_ashr_i32 s35, s33, 31
	v_rcp_iflag_f32_e32 v2, v2
	s_load_dwordx2 s[10:11], s[4:5], 0xc8
	v_mul_f32_e32 v2, 0x4f7ffffe, v2
	v_cvt_u32_f32_e32 v2, v2
	v_readfirstlane_b32 s38, v2
	s_mul_i32 s37, s37, s38
	s_mul_hi_u32 s37, s38, s37
	s_add_i32 s38, s38, s37
	s_mul_hi_u32 s37, s36, s38
	s_mul_i32 s37, s37, s7
	s_sub_i32 s36, s36, s37
	s_sub_i32 s37, s36, s7
	s_cmp_ge_u32 s36, s7
	s_cselect_b32 s36, s37, s36
	s_sub_i32 s37, s36, s7
	s_cmp_ge_u32 s36, s7
	s_cselect_b32 s7, s37, s36
	s_xor_b32 s7, s7, s35
	s_sub_i32 s7, s7, s35
	s_ashr_i32 s35, s7, 31
	s_waitcnt lgkmcnt(0)
	s_mul_hi_u32 s36, s10, s7
	s_mul_i32 s35, s10, s35
	s_mul_i32 s11, s11, s7
	s_add_i32 s35, s36, s35
	s_add_i32 s35, s35, s11
	s_mul_i32 s7, s10, s7
	s_add_u32 s40, s18, s7
	s_addc_u32 s41, s19, s35
.LBB52_2:
	s_load_dwordx4 s[36:39], s[4:5], 0x40
	s_mul_hi_u32 s18, s46, s6
	s_load_dword s6, s[4:5], 0x50
	v_mov_b32_e32 v40, 1.0
	s_waitcnt lgkmcnt(0)
	v_cmp_le_f32_e64 s[10:11], s37, 0
	s_and_b64 vcc, exec, s[10:11]
	s_cbranch_vccnz .LBB52_4
; %bb.3:
	v_mov_b32_e32 v2, s6
	v_sub_co_u32_e32 v2, vcc, s34, v2
	v_mov_b32_e32 v3, s39
	v_mov_b32_e32 v4, s38
	s_add_i32 s6, s34, 1
	v_lshlrev_b32_e32 v2, 1, v2
	v_cndmask_b32_e32 v3, v3, v4, vcc
	v_or_b32_e32 v2, 1, v2
	v_mov_b32_e32 v4, s6
	v_cndmask_b32_e32 v2, v2, v4, vcc
	v_cvt_f32_i32_e32 v2, v2
	v_cmp_neq_f32_e32 vcc, 1.0, v3
	s_mov_b32 s6, 0x3f2aaaab
	s_movk_i32 s10, 0x204
	v_cndmask_b32_e32 v4, 1.0, v2, vcc
	v_cmp_neq_f32_e32 vcc, 0, v4
	v_cndmask_b32_e32 v5, 1.0, v3, vcc
	v_frexp_mant_f32_e64 v2, |v5|
	v_cmp_gt_f32_e32 vcc, s6, v2
	v_cndmask_b32_e64 v3, 1.0, 2.0, vcc
	v_mul_f32_e32 v2, v2, v3
	v_add_f32_e32 v3, 1.0, v2
	v_rcp_f32_e32 v6, v3
	v_add_f32_e32 v7, -1.0, v2
	v_add_f32_e32 v8, -1.0, v3
	v_sub_f32_e32 v2, v2, v8
	v_mul_f32_e32 v8, v7, v6
	v_mul_f32_e32 v9, v3, v8
	v_fma_f32 v3, v8, v3, -v9
	v_fmac_f32_e32 v3, v8, v2
	v_add_f32_e32 v2, v9, v3
	v_sub_f32_e32 v10, v7, v2
	v_sub_f32_e32 v9, v2, v9
	;; [unrolled: 1-line block ×5, first 2 shown]
	v_add_f32_e32 v2, v3, v2
	v_add_f32_e32 v2, v10, v2
	v_mul_f32_e32 v2, v6, v2
	v_add_f32_e32 v6, v8, v2
	v_sub_f32_e32 v3, v6, v8
	v_sub_f32_e32 v7, v2, v3
	v_mul_f32_e32 v2, v6, v6
	v_fma_f32 v3, v6, v6, -v2
	v_add_f32_e32 v8, v7, v7
	v_fmac_f32_e32 v3, v6, v8
	v_add_f32_e32 v8, v2, v3
	v_mov_b32_e32 v9, 0x3e91f4c4
	v_sub_f32_e32 v2, v8, v2
	v_fmac_f32_e32 v9, 0x3e76c4e1, v8
	v_mov_b32_e32 v10, 0x3ecccdef
	v_sub_f32_e32 v2, v3, v2
	v_mul_f32_e32 v3, v6, v8
	v_fmac_f32_e32 v10, v8, v9
	v_fma_f32 v9, v8, v6, -v3
	v_fmac_f32_e32 v9, v8, v7
	v_fmac_f32_e32 v9, v2, v6
	v_add_f32_e32 v11, v3, v9
	v_sub_f32_e32 v3, v11, v3
	v_sub_f32_e32 v9, v9, v3
	v_mul_f32_e32 v3, v8, v10
	v_fma_f32 v8, v8, v10, -v3
	v_fmac_f32_e32 v8, v2, v10
	v_add_f32_e32 v10, v3, v8
	v_sub_f32_e32 v2, v10, v3
	v_sub_f32_e32 v8, v8, v2
	v_cvt_f64_f32_e64 v[2:3], |v5|
	v_add_f32_e32 v12, 0x3f2aaaaa, v10
	v_add_f32_e32 v13, 0xbf2aaaaa, v12
	;; [unrolled: 1-line block ×3, first 2 shown]
	v_frexp_exp_i32_f64_e32 v2, v[2:3]
	v_sub_f32_e32 v10, v10, v13
	v_add_f32_e32 v3, v8, v10
	v_add_f32_e32 v8, v12, v3
	v_sub_f32_e32 v10, v12, v8
	v_add_f32_e32 v3, v3, v10
	v_mul_f32_e32 v10, v11, v8
	v_fma_f32 v12, v11, v8, -v10
	v_subbrev_co_u32_e32 v2, vcc, 0, v2, vcc
	v_cvt_f32_i32_e32 v2, v2
	v_fmac_f32_e32 v12, v11, v3
	s_mov_b32 s6, 0x3f317218
	v_fmac_f32_e32 v12, v9, v8
	v_mul_f32_e32 v3, 0x3f317218, v2
	v_fma_f32 v8, v2, s6, -v3
	v_fmac_f32_e32 v8, 0xb102e308, v2
	v_ldexp_f32 v2, v7, 1
	v_add_f32_e32 v7, v3, v8
	v_sub_f32_e32 v3, v7, v3
	v_ldexp_f32 v6, v6, 1
	v_sub_f32_e32 v3, v8, v3
	v_add_f32_e32 v8, v10, v12
	v_sub_f32_e32 v9, v8, v10
	v_add_f32_e32 v10, v6, v8
	v_sub_f32_e32 v9, v12, v9
	v_sub_f32_e32 v6, v10, v6
	;; [unrolled: 1-line block ×3, first 2 shown]
	v_add_f32_e32 v2, v2, v9
	v_add_f32_e32 v2, v2, v6
	;; [unrolled: 1-line block ×3, first 2 shown]
	v_sub_f32_e32 v8, v6, v10
	v_sub_f32_e32 v2, v2, v8
	v_add_f32_e32 v8, v7, v6
	v_sub_f32_e32 v9, v8, v7
	v_sub_f32_e32 v10, v8, v9
	;; [unrolled: 1-line block ×4, first 2 shown]
	v_add_f32_e32 v6, v6, v7
	v_add_f32_e32 v7, v3, v2
	v_sub_f32_e32 v9, v7, v3
	v_sub_f32_e32 v10, v7, v9
	v_sub_f32_e32 v3, v3, v10
	v_sub_f32_e32 v2, v2, v9
	v_add_f32_e32 v2, v2, v3
	v_add_f32_e32 v3, v7, v6
	;; [unrolled: 1-line block ×3, first 2 shown]
	v_sub_f32_e32 v7, v6, v8
	v_sub_f32_e32 v3, v3, v7
	v_add_f32_e32 v2, v2, v3
	v_add_f32_e32 v3, v6, v2
	v_sub_f32_e32 v6, v3, v6
	v_sub_f32_e32 v2, v2, v6
	v_mul_f32_e32 v6, v4, v3
	v_fma_f32 v3, v4, v3, -v6
	v_fmac_f32_e32 v3, v4, v2
	v_add_f32_e32 v2, v6, v3
	v_cmp_class_f32_e64 vcc, v6, s10
	v_sub_f32_e32 v7, v2, v6
	v_cndmask_b32_e32 v2, v2, v6, vcc
	s_mov_b32 s7, 0x42b17218
	v_mov_b32_e32 v6, 0x37000000
	v_cmp_eq_f32_e32 vcc, s7, v2
	v_cndmask_b32_e32 v6, 0, v6, vcc
	v_sub_f32_e32 v3, v3, v7
	v_sub_f32_e32 v7, v2, v6
	s_mov_b32 s11, 0x3fb8aa3b
	v_mul_f32_e32 v8, 0x3fb8aa3b, v7
	v_fma_f32 v9, v7, s11, -v8
	v_rndne_f32_e32 v10, v8
	v_fmac_f32_e32 v9, 0x32a5705f, v7
	v_sub_f32_e32 v8, v8, v10
	v_add_f32_e32 v8, v8, v9
	v_exp_f32_e32 v8, v8
	v_cvt_i32_f32_e32 v9, v10
	s_mov_b32 s6, 0x7f800000
	v_cmp_neq_f32_e64 vcc, |v2|, s6
	s_mov_b32 s6, 0xc2ce8ed0
	v_cndmask_b32_e32 v2, 0, v3, vcc
	v_ldexp_f32 v3, v8, v9
	v_cmp_ngt_f32_e32 vcc, s6, v7
	v_add_f32_e32 v2, v6, v2
	v_cndmask_b32_e32 v3, 0, v3, vcc
	v_mov_b32_e32 v6, 0x7f800000
	v_cmp_nlt_f32_e32 vcc, s7, v7
	v_cndmask_b32_e32 v3, v6, v3, vcc
	v_fma_f32 v2, v3, v2, v3
	v_cmp_class_f32_e64 vcc, v3, s10
	v_cndmask_b32_e32 v2, v2, v3, vcc
	v_trunc_f32_e32 v3, v4
	v_cmp_eq_f32_e32 vcc, v3, v4
	v_mul_f32_e32 v3, 0.5, v4
	v_trunc_f32_e32 v8, v3
	v_cmp_neq_f32_e64 s[6:7], v8, v3
	s_and_b64 s[6:7], vcc, s[6:7]
	v_cndmask_b32_e64 v3, 1.0, v5, s[6:7]
	s_brev_b32 s19, -2
	v_mov_b32_e32 v7, 0x7fc00000
	v_bfi_b32 v2, s19, v2, v3
	v_cndmask_b32_e32 v3, v7, v2, vcc
	v_cmp_gt_f32_e32 vcc, 0, v5
	v_cndmask_b32_e32 v2, v2, v3, vcc
	v_cmp_class_f32_e64 s[38:39], v5, s10
	v_cmp_eq_f32_e32 vcc, 0, v5
	v_cmp_gt_f32_e64 s[10:11], 0, v4
	s_xor_b64 s[10:11], s[10:11], vcc
	v_cndmask_b32_e64 v3, v6, 0, s[10:11]
	v_cndmask_b32_e64 v4, 0, v5, s[6:7]
	v_bfi_b32 v3, s19, v3, v4
	s_or_b64 vcc, vcc, s[38:39]
	v_cndmask_b32_e32 v2, v2, v3, vcc
	v_cmp_o_f32_e32 vcc, v5, v5
	v_cndmask_b32_e32 v40, v7, v2, vcc
.LBB52_4:
	v_lshrrev_b32_e32 v6, 1, v1
	s_load_dwordx4 s[48:51], s[4:5], 0x70
	v_lshl_add_u32 v33, s8, 2, v6
	v_mul_hi_u32 v2, s28, v33
	s_ashr_i32 s35, s34, 31
	s_ashr_i32 s6, s47, 31
	s_waitcnt lgkmcnt(0)
	s_mul_i32 s7, s33, s50
	v_add_u32_e32 v2, v33, v2
	s_ashr_i32 s10, s7, 31
	v_lshrrev_b32_e32 v2, s29, v2
	s_add_u32 s7, s12, s7
	s_mul_i32 s11, s34, s49
	v_mul_lo_u32 v2, v2, s30
	s_addc_u32 s10, s13, s10
	s_ashr_i32 s12, s11, 31
	s_add_u32 s7, s7, s11
	s_addc_u32 s12, s10, s12
	s_ashr_i32 s49, s48, 31
	v_sub_u32_e32 v41, v33, v2
	s_lshr_b64 s[10:11], s[48:49], 2
	v_mad_u64_u32 v[2:3], s[10:11], s10, v41, 0
	s_lshr_b32 s10, s49, 2
	v_lshlrev_b32_e32 v35, 4, v0
	v_mad_u64_u32 v[3:4], s[10:11], s10, v41, v[3:4]
	v_mov_b32_e32 v4, s12
	v_lshlrev_b32_e32 v7, 8, v1
	v_lshlrev_b64 v[2:3], 2, v[2:3]
	v_and_b32_e32 v7, 0x100, v7
	v_add_co_u32_e32 v2, vcc, s7, v2
	v_addc_co_u32_e32 v3, vcc, v4, v3, vcc
	v_lshlrev_b32_e32 v4, 9, v1
	v_and_b32_e32 v4, 0x200, v4
	v_add_co_u32_e32 v2, vcc, v2, v4
	v_addc_co_u32_e32 v3, vcc, 0, v3, vcc
	v_add_co_u32_e32 v2, vcc, v2, v35
	v_addc_co_u32_e32 v3, vcc, 0, v3, vcc
	global_load_dwordx4 v[2:5], v[2:3], off
	v_lshlrev_b32_e32 v39, 3, v0
	v_lshl_or_b32 v6, v6, 9, v7
	v_lshlrev_b32_e32 v34, 2, v0
	v_mov_b32_e32 v36, 0
	v_add_u32_e32 v6, v6, v39
	s_cmp_eq_u64 s[22:23], 0
	s_waitcnt vmcnt(0)
	v_fma_mixlo_f16 v2, s36, v2, 0
	v_fma_mixlo_f16 v3, s36, v3, 0
	;; [unrolled: 1-line block ×4, first 2 shown]
	v_lshlrev_b32_e32 v3, 16, v3
	v_and_b32_e32 v2, 0xffff, v2
	v_lshlrev_b32_e32 v5, 16, v5
	v_and_b32_e32 v4, 0xffff, v4
	v_or_b32_e32 v2, v3, v2
	v_or3_b32 v3, v5, v4, 0
	v_or3_b32 v2, 0, 0, v2
	ds_write_b64 v6, v[2:3] offset:17408
	s_waitcnt lgkmcnt(0)
	s_barrier
	s_cbranch_scc1 .LBB52_6
; %bb.5:
	s_load_dword s7, s[4:5], 0xd0
	s_mov_b32 s11, 0
	s_waitcnt lgkmcnt(0)
	s_mul_i32 s7, s7, s33
	s_add_i32 s10, s7, s8
	s_lshl_b64 s[10:11], s[10:11], 2
	s_add_u32 s10, s22, s10
	s_addc_u32 s11, s23, s11
	s_load_dword s42, s[10:11], 0x0
.LBB52_6:
	s_nop 0
	s_load_dwordx2 s[10:11], s[4:5], 0x8c
	s_load_dwordx4 s[36:39], s[4:5], 0x98
	s_ashr_i32 s7, s33, 31
	s_ashr_i32 s19, s45, 1
	s_load_dwordx2 s[12:13], s[4:5], 0xa8
	s_waitcnt lgkmcnt(0)
	s_ashr_i32 s23, s10, 2
	s_mul_hi_u32 s10, s36, s33
	s_mul_i32 s22, s36, s7
	s_add_i32 s10, s10, s22
	s_mul_i32 s22, s37, s33
	s_ashr_i32 s8, s38, 2
	s_add_i32 s10, s10, s22
	s_mul_i32 s22, s36, s33
	s_add_u32 s14, s14, s22
	s_addc_u32 s10, s15, s10
	s_mul_i32 s15, s18, s43
	s_sub_i32 s15, s46, s15
	s_xor_b32 s6, s35, s6
	s_add_i32 s22, s18, 1
	s_sub_i32 s28, s15, s43
	s_cmp_ge_u32 s15, s43
	s_cselect_b32 s18, s22, s18
	s_cselect_b32 s15, s28, s15
	s_add_i32 s22, s18, 1
	s_cmp_ge_u32 s15, s43
	s_cselect_b32 s15, s22, s18
	s_xor_b32 s15, s15, s6
	s_sub_i32 s6, s15, s6
	s_mul_i32 s11, s6, s11
	s_ashr_i32 s15, s11, 31
	s_add_u32 s28, s14, s11
	s_addc_u32 s29, s10, s15
	s_mul_hi_u32 s10, s12, s33
	s_mul_i32 s7, s12, s7
	s_add_i32 s7, s10, s7
	s_mul_i32 s10, s13, s33
	s_add_i32 s7, s7, s10
	s_mul_i32 s10, s12, s33
	s_add_u32 s10, s16, s10
	s_mul_i32 s6, s6, s39
	s_addc_u32 s7, s17, s7
	s_ashr_i32 s11, s6, 31
	v_mul_lo_u32 v6, s8, v1
	s_add_u32 s16, s10, s6
	s_addc_u32 s17, s7, s11
	s_lshl_b32 s18, s9, 6
	s_sub_i32 s22, s42, 64
	v_lshlrev_b32_e32 v45, 6, v1
	s_cmp_ge_i32 s18, s22
	v_lshrrev_b32_e32 v47, 4, v0
	v_and_b32_e32 v46, 60, v34
	v_lshlrev_b32_e32 v42, 5, v1
	v_and_b32_e32 v43, 1, v0
	v_lshlrev_b32_e32 v38, 2, v34
	v_and_b32_e32 v37, 1, v1
	v_mbcnt_lo_u32_b32 v44, -1, 0
	s_cbranch_scc1 .LBB52_14
; %bb.7:
	v_lshl_add_u32 v4, v1, 1, v47
	v_mul_lo_u32 v3, s23, v4
	v_lshlrev_b32_e32 v5, 2, v46
	s_movk_i32 s6, 0x110
	v_mad_u32_u24 v48, v4, s6, v5
	s_lshl_b32 s6, s23, 4
	v_add_u32_e32 v11, s6, v3
	v_and_b32_e32 v7, 32, v42
	v_add_u32_e32 v13, s6, v11
	v_add_u32_e32 v5, v7, v0
	v_and_b32_e32 v10, 0x3f80, v45
	v_mov_b32_e32 v8, 0x4400
	v_add_u32_e32 v15, s6, v13
	v_lshl_add_u32 v53, v10, 2, v8
	s_cmp_lg_u64 s[40:41], 0
	v_mad_u64_u32 v[8:9], s[6:7], v41, s19, v[5:6]
	s_movk_i32 s12, 0xfe
	s_cselect_b64 s[10:11], -1, 0
	v_and_or_b32 v9, v1, s12, v43
	s_lshl_b32 s12, s8, 3
	v_mul_u32_u24_e32 v52, 0x110, v5
	v_mov_b32_e32 v5, 0x4e00
	v_add_u32_e32 v19, s12, v6
	v_lshl_add_u32 v54, v1, 2, v5
	v_lshl_add_u32 v55, v9, 2, v5
	v_add_u32_e32 v5, 0x4c00, v10
	v_add_u32_e32 v21, s12, v19
	v_lshl_or_b32 v7, v7, 1, v5
	v_add_u32_e32 v23, s12, v21
	v_ashrrev_i32_e32 v4, 31, v3
	v_ashrrev_i32_e32 v12, 31, v11
	;; [unrolled: 1-line block ×4, first 2 shown]
	v_lshl_add_u32 v56, v0, 1, v7
	v_ashrrev_i32_e32 v7, 31, v6
	v_ashrrev_i32_e32 v20, 31, v19
	;; [unrolled: 1-line block ×4, first 2 shown]
	v_and_b32_e32 v9, 1, v1
	v_mov_b32_e32 v2, 0
	v_lshl_add_u32 v57, v1, 9, v38
	v_lshl_or_b32 v61, v9, 1, v5
	v_lshl_add_u32 v62, v9, 9, v39
	s_add_u32 s12, s4, 0xd0
	v_lshlrev_b64 v[9:10], 2, v[3:4]
	v_lshlrev_b64 v[11:12], 2, v[11:12]
	;; [unrolled: 1-line block ×4, first 2 shown]
	v_cndmask_b32_e64 v3, 0, 1, s[10:11]
	v_lshlrev_b64 v[17:18], 2, v[6:7]
	v_lshlrev_b64 v[19:20], 2, v[19:20]
	;; [unrolled: 1-line block ×4, first 2 shown]
	v_add_u32_e32 v49, 0x1100, v48
	v_add_u32_e32 v50, 0x2200, v48
	;; [unrolled: 1-line block ×3, first 2 shown]
	v_cmp_eq_u32_e64 s[6:7], 0, v0
	v_add_u32_e32 v58, 0x1000, v57
	v_add_u32_e32 v59, 0x2000, v57
	;; [unrolled: 1-line block ×3, first 2 shown]
	s_addc_u32 s13, s5, 0
	v_mov_b32_e32 v66, 0xfeffffff
	v_lshlrev_b32_e32 v63, 2, v46
	v_mbcnt_hi_u32_b32 v64, -1, v44
	s_mov_b32 s36, 0x3fb8aa3b
	s_mov_b32 s37, 0xc2ce8ed0
	;; [unrolled: 1-line block ×3, first 2 shown]
	v_cmp_ne_u32_e64 s[10:11], 1, v3
	v_mov_b32_e32 v65, 0x7f800000
	v_mov_b32_e32 v3, v2
	;; [unrolled: 1-line block ×5, first 2 shown]
.LBB52_8:                               ; =>This Inner Loop Header: Depth=1
	s_mul_hi_i32 s15, s18, s23
	s_mul_i32 s14, s18, s23
	s_lshl_b64 s[14:15], s[14:15], 2
	s_add_u32 s14, s28, s14
	s_addc_u32 s15, s29, s15
	v_mov_b32_e32 v7, s15
	v_add_co_u32_e32 v25, vcc, s14, v9
	v_addc_co_u32_e32 v7, vcc, v7, v10, vcc
	v_add_co_u32_e32 v25, vcc, v25, v63
	v_addc_co_u32_e32 v26, vcc, 0, v7, vcc
	v_mov_b32_e32 v7, s15
	v_add_co_u32_e32 v27, vcc, s14, v11
	v_addc_co_u32_e32 v7, vcc, v7, v12, vcc
	v_add_co_u32_e32 v27, vcc, v27, v63
	v_addc_co_u32_e32 v28, vcc, 0, v7, vcc
	;; [unrolled: 5-line block ×3, first 2 shown]
	v_mov_b32_e32 v7, s15
	v_add_co_u32_e32 v31, vcc, s14, v15
	v_addc_co_u32_e32 v7, vcc, v7, v16, vcc
	v_add_co_u32_e32 v31, vcc, v31, v63
	global_load_dwordx4 v[67:70], v[25:26], off
	global_load_dwordx4 v[71:74], v[27:28], off
	v_addc_co_u32_e32 v32, vcc, 0, v7, vcc
	global_load_dwordx4 v[75:78], v[29:30], off
	global_load_dwordx4 v[79:82], v[31:32], off
	v_mov_b32_e32 v7, 0
	s_and_b64 vcc, exec, s[10:11]
	s_waitcnt vmcnt(3)
	ds_write_b128 v48, v[67:70]
	s_waitcnt vmcnt(2)
	ds_write_b128 v49, v[71:74]
	;; [unrolled: 2-line block ×4, first 2 shown]
	s_waitcnt lgkmcnt(0)
	s_barrier
	ds_read_b128 v[67:70], v52
	ds_read_b128 v[71:74], v53
	s_waitcnt lgkmcnt(0)
	;;#ASMSTART
	v_dot2_f32_f16 v7, v67, v71, v7
	;;#ASMEND
	;;#ASMSTART
	v_dot2_f32_f16 v7, v68, v72, v7
	;;#ASMEND
	;;#ASMSTART
	v_dot2_f32_f16 v7, v69, v73, v7
	;;#ASMEND
	;;#ASMSTART
	v_dot2_f32_f16 v7, v70, v74, v7
	;;#ASMEND
	ds_read_b128 v[67:70], v52 offset:16
	ds_read_b128 v[71:74], v53 offset:16
	s_waitcnt lgkmcnt(0)
	;;#ASMSTART
	v_dot2_f32_f16 v7, v67, v71, v7
	;;#ASMEND
	;;#ASMSTART
	v_dot2_f32_f16 v7, v68, v72, v7
	;;#ASMEND
	;;#ASMSTART
	v_dot2_f32_f16 v7, v69, v73, v7
	;;#ASMEND
	;;#ASMSTART
	v_dot2_f32_f16 v7, v70, v74, v7
	;;#ASMEND
	ds_read_b128 v[67:70], v52 offset:32
	ds_read_b128 v[71:74], v53 offset:32
	;; [unrolled: 15-line block ×15, first 2 shown]
	s_waitcnt lgkmcnt(0)
	;;#ASMSTART
	v_dot2_f32_f16 v7, v67, v71, v7
	;;#ASMEND
	;;#ASMSTART
	v_dot2_f32_f16 v7, v68, v72, v7
	;;#ASMEND
	;; [unrolled: 3-line block ×4, first 2 shown]
	s_barrier
	global_load_dwordx4 v[67:70], v[25:26], off offset:256
	s_nop 0
	global_load_dwordx4 v[25:28], v[27:28], off offset:256
	s_nop 0
	;; [unrolled: 2-line block ×3, first 2 shown]
	global_load_dwordx4 v[29:32], v[31:32], off offset:256
	s_waitcnt vmcnt(3)
	ds_write_b128 v48, v[67:70]
	s_waitcnt vmcnt(2)
	ds_write_b128 v49, v[25:28]
	;; [unrolled: 2-line block ×4, first 2 shown]
	s_waitcnt lgkmcnt(0)
	s_barrier
	ds_read_b128 v[25:28], v52
	ds_read_b128 v[29:32], v53 offset:256
	s_waitcnt lgkmcnt(0)
	;;#ASMSTART
	v_dot2_f32_f16 v7, v25, v29, v7
	;;#ASMEND
	;;#ASMSTART
	v_dot2_f32_f16 v7, v26, v30, v7
	;;#ASMEND
	;;#ASMSTART
	v_dot2_f32_f16 v7, v27, v31, v7
	;;#ASMEND
	;;#ASMSTART
	v_dot2_f32_f16 v7, v28, v32, v7
	;;#ASMEND
	ds_read_b128 v[25:28], v52 offset:16
	ds_read_b128 v[29:32], v53 offset:272
	s_waitcnt lgkmcnt(0)
	;;#ASMSTART
	v_dot2_f32_f16 v7, v25, v29, v7
	;;#ASMEND
	;;#ASMSTART
	v_dot2_f32_f16 v7, v26, v30, v7
	;;#ASMEND
	;;#ASMSTART
	v_dot2_f32_f16 v7, v27, v31, v7
	;;#ASMEND
	;;#ASMSTART
	v_dot2_f32_f16 v7, v28, v32, v7
	;;#ASMEND
	ds_read_b128 v[25:28], v52 offset:32
	;; [unrolled: 15-line block ×15, first 2 shown]
	ds_read_b128 v[29:32], v53 offset:496
	s_waitcnt lgkmcnt(0)
	;;#ASMSTART
	v_dot2_f32_f16 v7, v25, v29, v7
	;;#ASMEND
	;;#ASMSTART
	v_dot2_f32_f16 v7, v26, v30, v7
	;;#ASMEND
	;; [unrolled: 3-line block ×3, first 2 shown]
	v_mov_b32_e32 v25, 0
	;;#ASMSTART
	v_dot2_f32_f16 v7, v28, v32, v7
	;;#ASMEND
	s_cbranch_vccnz .LBB52_10
; %bb.9:                                ;   in Loop: Header=BB52_8 Depth=1
	v_add_u32_e32 v25, s18, v8
	v_ashrrev_i32_e32 v26, 31, v25
	v_lshlrev_b64 v[25:26], 1, v[25:26]
	v_mov_b32_e32 v27, s41
	v_add_co_u32_e32 v25, vcc, s40, v25
	v_addc_co_u32_e32 v26, vcc, v27, v26, vcc
	global_load_ushort v25, v[25:26], off
	s_waitcnt vmcnt(0)
	v_cvt_f32_f16_e32 v25, v25
	v_mul_f32_e32 v25, v40, v25
.LBB52_10:                              ;   in Loop: Header=BB52_8 Depth=1
	v_and_b32_e32 v26, 0x60, v64
	v_add_u32_e32 v26, 32, v26
	v_xor_b32_e32 v27, 16, v64
	v_cmp_lt_i32_e32 vcc, v27, v26
	v_add_f32_e32 v25, v7, v25
	v_cndmask_b32_e32 v27, v64, v27, vcc
	v_add_f32_e32 v7, 0x40051340, v25
	v_max_f32_e32 v28, v66, v66
	v_lshlrev_b32_e32 v27, 2, v27
	v_max_f32_e32 v7, v28, v7
	ds_bpermute_b32 v27, v27, v7
	v_xor_b32_e32 v28, 8, v64
	v_cmp_lt_i32_e32 vcc, v28, v26
	v_cndmask_b32_e32 v28, v64, v28, vcc
	v_lshlrev_b32_e32 v28, 2, v28
	s_waitcnt lgkmcnt(0)
	v_max_f32_e32 v27, v27, v27
	v_max_f32_e32 v7, v7, v27
	ds_bpermute_b32 v27, v28, v7
	v_xor_b32_e32 v28, 4, v64
	v_cmp_lt_i32_e32 vcc, v28, v26
	v_cndmask_b32_e32 v28, v64, v28, vcc
	v_lshlrev_b32_e32 v28, 2, v28
	s_waitcnt lgkmcnt(0)
	v_max_f32_e32 v27, v27, v27
	;; [unrolled: 8-line block ×4, first 2 shown]
	v_max_f32_e32 v26, v27, v26
	ds_bpermute_b32 v27, v29, v26
	s_and_saveexec_b64 s[14:15], s[6:7]
	s_cbranch_execz .LBB52_12
; %bb.11:                               ;   in Loop: Header=BB52_8 Depth=1
	s_waitcnt lgkmcnt(0)
	v_max_f32_e32 v27, v27, v27
	v_max_f32_e32 v26, v26, v26
	;; [unrolled: 1-line block ×3, first 2 shown]
	ds_write_b32 v54, v26
.LBB52_12:                              ;   in Loop: Header=BB52_8 Depth=1
	s_or_b64 exec, exec, s[14:15]
	s_mul_hi_i32 s15, s18, s8
	s_mul_i32 s14, s18, s8
	s_lshl_b64 s[14:15], s[14:15], 2
	s_add_u32 s14, s16, s14
	s_addc_u32 s15, s17, s15
	v_mov_b32_e32 v26, s15
	s_waitcnt lgkmcnt(0)
	v_add_co_u32_e32 v27, vcc, s14, v17
	v_addc_co_u32_e32 v28, vcc, v26, v18, vcc
	v_add_co_u32_e32 v26, vcc, v27, v38
	v_addc_co_u32_e32 v27, vcc, 0, v28, vcc
	v_mov_b32_e32 v28, s15
	v_add_co_u32_e32 v29, vcc, s14, v19
	v_addc_co_u32_e32 v28, vcc, v28, v20, vcc
	v_add_co_u32_e32 v31, vcc, v29, v38
	v_addc_co_u32_e32 v32, vcc, 0, v28, vcc
	s_barrier
	global_load_dwordx4 v[27:30], v[26:27], off
	s_nop 0
	global_load_dwordx4 v[67:70], v[31:32], off
	v_mov_b32_e32 v26, s15
	v_add_co_u32_e32 v31, vcc, s14, v21
	v_addc_co_u32_e32 v26, vcc, v26, v22, vcc
	v_add_co_u32_e32 v31, vcc, v31, v38
	v_addc_co_u32_e32 v32, vcc, 0, v26, vcc
	v_mov_b32_e32 v26, s15
	v_add_co_u32_e32 v71, vcc, s14, v23
	v_addc_co_u32_e32 v26, vcc, v26, v24, vcc
	v_add_co_u32_e32 v75, vcc, v71, v38
	v_addc_co_u32_e32 v76, vcc, 0, v26, vcc
	global_load_dwordx4 v[71:74], v[31:32], off
	s_nop 0
	global_load_dwordx4 v[75:78], v[75:76], off
	ds_read_b32 v26, v55
	v_and_b32_e32 v31, 0x7e, v64
	v_add_u32_e32 v31, 2, v31
	v_cmp_lt_i32_e32 vcc, v7, v31
	v_cndmask_b32_e32 v7, v64, v7, vcc
	v_lshlrev_b32_e32 v7, 2, v7
	s_waitcnt lgkmcnt(0)
	ds_bpermute_b32 v7, v7, v26
	v_max_f32_e32 v26, v26, v26
	s_or_b32 s14, s18, 32
	s_mul_hi_i32 s15, s14, s8
	s_mul_i32 s14, s14, s8
	s_waitcnt lgkmcnt(0)
	v_max_f32_e32 v7, v7, v7
	v_max_f32_e32 v7, v26, v7
	v_sub_f32_e32 v26, v25, v7
	v_mul_f32_e32 v25, 0x3fb8aa3b, v26
	v_fma_f32 v31, v26, s36, -v25
	v_rndne_f32_e32 v32, v25
	v_fmac_f32_e32 v31, 0x32a5705f, v26
	v_sub_f32_e32 v25, v25, v32
	v_add_f32_e32 v25, v25, v31
	v_cvt_i32_f32_e32 v31, v32
	v_sub_f32_e32 v32, v66, v7
	v_mul_f32_e32 v66, 0x3fb8aa3b, v32
	v_fma_f32 v79, v32, s36, -v66
	v_rndne_f32_e32 v80, v66
	v_fmac_f32_e32 v79, 0x32a5705f, v32
	v_sub_f32_e32 v66, v66, v80
	v_exp_f32_e32 v25, v25
	v_add_f32_e32 v66, v66, v79
	v_exp_f32_e32 v66, v66
	v_cvt_i32_f32_e32 v79, v80
	v_ldexp_f32 v25, v25, v31
	v_cmp_ngt_f32_e32 vcc, s37, v26
	v_cndmask_b32_e32 v31, 0, v25, vcc
	v_ldexp_f32 v25, v66, v79
	v_cmp_ngt_f32_e32 vcc, s37, v32
	v_cndmask_b32_e32 v25, 0, v25, vcc
	v_cmp_nlt_f32_e32 vcc, s38, v32
	v_cndmask_b32_e32 v25, v65, v25, vcc
	v_cmp_nlt_f32_e32 vcc, s38, v26
	v_cndmask_b32_e32 v26, v65, v31, vcc
	v_cvt_f16_f32_e32 v32, v25
	v_cvt_f16_f32_e32 v31, v26
	s_lshl_b64 s[14:15], s[14:15], 2
	s_add_u32 s14, s16, s14
	v_mul_u32_u24_e32 v79, 0x10001, v32
	v_pk_mul_f16 v4, v4, v79
	v_pk_mul_f16 v5, v5, v79
	s_addc_u32 s15, s17, s15
	v_mov_b32_e32 v92, s15
	v_add_co_u32_e32 v93, vcc, s14, v17
	v_addc_co_u32_e32 v94, vcc, v92, v18, vcc
	ds_write_b16 v56, v31
	s_waitcnt vmcnt(3)
	ds_write_b128 v57, v[27:30]
	s_waitcnt vmcnt(2)
	ds_write_b128 v58, v[67:70]
	;; [unrolled: 2-line block ×4, first 2 shown]
	s_waitcnt lgkmcnt(0)
	s_barrier
	ds_read2_b64 v[68:71], v62 offset1:32
	ds_read_u16 v27, v61
	ds_read_u16 v29, v61 offset:4
	ds_read_u16 v31, v61 offset:8
	;; [unrolled: 1-line block ×15, first 2 shown]
	ds_read2_b64 v[72:75], v62 offset0:128 offset1:160
	s_waitcnt lgkmcnt(14)
	v_mul_u32_u24_e32 v27, 0x10001, v27
	v_pk_mul_f16 v68, v68, v27
	v_pk_fma_f16 v2, v2, v79, v68
	v_pk_mul_f16 v68, v69, v27
	v_pk_fma_f16 v4, v70, v27, v4
	v_pk_fma_f16 v5, v71, v27, v5
	v_mul_u32_u24_e32 v27, 0x10001, v29
	s_waitcnt lgkmcnt(0)
	v_pk_fma_f16 v29, v72, v27, v2
	v_add_u32_e32 v2, 0x800, v62
	v_pk_fma_f16 v3, v3, v79, v68
	ds_read2_b64 v[68:71], v2 offset1:32
	v_pk_fma_f16 v3, v73, v27, v3
	v_pk_fma_f16 v4, v74, v27, v4
	;; [unrolled: 1-line block ×3, first 2 shown]
	v_mul_u32_u24_e32 v27, 0x10001, v31
	ds_read2_b64 v[72:75], v2 offset0:128 offset1:160
	s_waitcnt lgkmcnt(1)
	v_pk_fma_f16 v31, v69, v27, v3
	v_add_u32_e32 v3, 0x1000, v62
	v_pk_fma_f16 v29, v68, v27, v29
	v_pk_fma_f16 v4, v70, v27, v4
	v_pk_fma_f16 v5, v71, v27, v5
	ds_read2_b64 v[68:71], v3 offset1:32
	v_mul_u32_u24_e32 v27, 0x10001, v76
	s_waitcnt lgkmcnt(1)
	v_pk_fma_f16 v29, v72, v27, v29
	v_pk_fma_f16 v31, v73, v27, v31
	;; [unrolled: 1-line block ×4, first 2 shown]
	ds_read2_b64 v[72:75], v3 offset0:128 offset1:160
	v_mul_u32_u24_e32 v27, 0x10001, v77
	s_waitcnt lgkmcnt(1)
	v_pk_fma_f16 v76, v70, v27, v4
	v_add_u32_e32 v4, 0x1800, v62
	v_pk_fma_f16 v29, v68, v27, v29
	v_pk_fma_f16 v31, v69, v27, v31
	;; [unrolled: 1-line block ×3, first 2 shown]
	ds_read2_b64 v[68:71], v4 offset1:32
	v_mul_u32_u24_e32 v27, 0x10001, v78
	s_waitcnt lgkmcnt(1)
	v_pk_fma_f16 v29, v72, v27, v29
	v_pk_fma_f16 v31, v73, v27, v31
	;; [unrolled: 1-line block ×4, first 2 shown]
	ds_read2_b64 v[72:75], v4 offset0:128 offset1:160
	v_mul_u32_u24_e32 v27, 0x10001, v80
	s_waitcnt lgkmcnt(1)
	v_pk_fma_f16 v29, v68, v27, v29
	v_pk_fma_f16 v31, v69, v27, v31
	;; [unrolled: 1-line block ×4, first 2 shown]
	v_add_u32_e32 v5, 0x2000, v62
	v_mul_u32_u24_e32 v77, 0x10001, v81
	ds_read2_b64 v[68:71], v5 offset1:32
	s_waitcnt lgkmcnt(1)
	v_pk_fma_f16 v29, v72, v77, v29
	v_pk_fma_f16 v31, v73, v77, v31
	;; [unrolled: 1-line block ×4, first 2 shown]
	ds_read2_b64 v[72:75], v5 offset0:128 offset1:160
	v_mul_u32_u24_e32 v77, 0x10001, v82
	s_waitcnt lgkmcnt(1)
	v_pk_fma_f16 v31, v69, v77, v31
	v_mul_u32_u24_e32 v69, 0x10001, v83
	v_add_co_u32_e32 v92, vcc, v93, v38
	v_pk_fma_f16 v29, v68, v77, v29
	v_pk_fma_f16 v68, v70, v77, v76
	;; [unrolled: 1-line block ×3, first 2 shown]
	s_waitcnt lgkmcnt(0)
	v_pk_fma_f16 v102, v73, v69, v31
	v_add_u32_e32 v31, 0x2800, v62
	v_addc_co_u32_e32 v93, vcc, 0, v94, vcc
	v_pk_fma_f16 v101, v72, v69, v29
	v_pk_fma_f16 v103, v74, v69, v68
	;; [unrolled: 1-line block ×3, first 2 shown]
	ds_read2_b64 v[68:71], v31 offset1:32
	ds_read2_b64 v[72:75], v31 offset0:128 offset1:160
	v_mov_b32_e32 v94, s15
	v_add_co_u32_e32 v95, vcc, s14, v19
	v_addc_co_u32_e32 v94, vcc, v94, v20, vcc
	v_add_co_u32_e32 v96, vcc, v95, v38
	v_addc_co_u32_e32 v97, vcc, 0, v94, vcc
	v_mul_u32_u24_e32 v100, 0x10001, v100
	s_waitcnt lgkmcnt(1)
	v_pk_fma_f16 v105, v68, v100, v101
	v_pk_fma_f16 v102, v69, v100, v102
	v_mov_b32_e32 v68, s15
	v_add_co_u32_e32 v69, vcc, s14, v21
	v_pk_fma_f16 v70, v70, v100, v103
	v_pk_fma_f16 v71, v71, v100, v104
	v_addc_co_u32_e32 v100, vcc, v68, v22, vcc
	v_add_co_u32_e32 v68, vcc, v69, v38
	v_addc_co_u32_e32 v69, vcc, 0, v100, vcc
	v_mov_b32_e32 v100, s15
	v_add_co_u32_e32 v101, vcc, s14, v23
	v_addc_co_u32_e32 v103, vcc, v100, v24, vcc
	v_add_u32_e32 v29, 0x3000, v62
	v_add_u32_e32 v27, 0x3800, v62
	v_add_co_u32_e32 v100, vcc, v101, v38
	v_mul_u32_u24_e32 v67, 0x10001, v67
	ds_read2_b64 v[76:79], v29 offset1:32
	ds_read2_b64 v[80:83], v29 offset0:128 offset1:160
	ds_read2_b64 v[84:87], v27 offset1:32
	ds_read2_b64 v[88:91], v27 offset0:128 offset1:160
	s_waitcnt lgkmcnt(0)
	s_barrier
	global_load_dwordx4 v[92:95], v[92:93], off
	s_nop 0
	global_load_dwordx4 v[96:99], v[96:97], off
	v_addc_co_u32_e32 v101, vcc, 0, v103, vcc
	v_pk_fma_f16 v103, v72, v67, v105
	v_pk_fma_f16 v102, v73, v67, v102
	;; [unrolled: 1-line block ×4, first 2 shown]
	global_load_dwordx4 v[67:70], v[68:69], off
	s_nop 0
	global_load_dwordx4 v[71:74], v[100:101], off
	v_fma_f32 v36, v36, v25, v26
	v_mul_u32_u24_e32 v25, 0x10001, v66
	v_pk_fma_f16 v26, v76, v25, v103
	v_pk_fma_f16 v66, v77, v25, v102
	v_pk_fma_f16 v76, v78, v25, v104
	v_pk_fma_f16 v25, v79, v25, v75
	v_mul_u32_u24_e32 v32, 0x10001, v32
	v_pk_fma_f16 v26, v80, v32, v26
	v_pk_fma_f16 v66, v81, v32, v66
	v_pk_fma_f16 v75, v82, v32, v76
	v_pk_fma_f16 v25, v83, v32, v25
	;; [unrolled: 5-line block ×4, first 2 shown]
	s_waitcnt vmcnt(3)
	ds_write_b128 v57, v[92:95]
	s_waitcnt vmcnt(2)
	ds_write_b128 v58, v[96:99]
	;; [unrolled: 2-line block ×4, first 2 shown]
	s_waitcnt lgkmcnt(0)
	s_barrier
	ds_read2_b64 v[66:69], v62 offset1:32
	ds_read_u16 v28, v61 offset:64
	ds_read_u16 v74, v61 offset:68
	;; [unrolled: 1-line block ×16, first 2 shown]
	s_waitcnt lgkmcnt(14)
	v_mul_u32_u24_e32 v28, 0x10001, v28
	ds_read2_b64 v[70:73], v62 offset0:128 offset1:160
	v_pk_fma_f16 v26, v66, v28, v26
	v_pk_fma_f16 v30, v67, v28, v30
	v_pk_fma_f16 v32, v68, v28, v32
	v_pk_fma_f16 v25, v69, v28, v25
	ds_read2_b64 v[66:69], v2 offset1:32
	v_mul_u32_u24_e32 v28, 0x10001, v74
	s_waitcnt lgkmcnt(1)
	v_pk_fma_f16 v26, v70, v28, v26
	v_pk_fma_f16 v30, v71, v28, v30
	v_pk_fma_f16 v32, v72, v28, v32
	v_pk_fma_f16 v25, v73, v28, v25
	v_mul_u32_u24_e32 v28, 0x10001, v75
	ds_read2_b64 v[70:73], v2 offset0:128 offset1:160
	s_waitcnt lgkmcnt(1)
	v_pk_fma_f16 v26, v66, v28, v26
	v_pk_fma_f16 v2, v67, v28, v30
	v_pk_fma_f16 v30, v68, v28, v32
	v_pk_fma_f16 v25, v69, v28, v25
	ds_read2_b64 v[66:69], v3 offset1:32
	v_mul_u32_u24_e32 v28, 0x10001, v76
	s_waitcnt lgkmcnt(1)
	v_pk_fma_f16 v26, v70, v28, v26
	v_pk_fma_f16 v2, v71, v28, v2
	v_pk_fma_f16 v30, v72, v28, v30
	v_pk_fma_f16 v25, v73, v28, v25
	v_mul_u32_u24_e32 v28, 0x10001, v77
	ds_read2_b64 v[70:73], v3 offset0:128 offset1:160
	s_waitcnt lgkmcnt(1)
	;; [unrolled: 14-line block ×4, first 2 shown]
	v_pk_fma_f16 v26, v66, v32, v26
	v_pk_fma_f16 v28, v67, v32, v28
	;; [unrolled: 1-line block ×4, first 2 shown]
	ds_read2_b64 v[66:69], v31 offset1:32
	v_mul_u32_u24_e32 v32, 0x10001, v82
	s_waitcnt lgkmcnt(1)
	v_pk_fma_f16 v2, v2, v32, v26
	v_pk_fma_f16 v26, v3, v32, v28
	;; [unrolled: 1-line block ×3, first 2 shown]
	v_mul_u32_u24_e32 v30, 0x10001, v83
	v_pk_fma_f16 v25, v5, v32, v25
	s_waitcnt lgkmcnt(0)
	v_pk_fma_f16 v32, v66, v30, v2
	ds_read2_b64 v[2:5], v31 offset0:128 offset1:160
	v_pk_fma_f16 v26, v67, v30, v26
	v_pk_fma_f16 v28, v68, v30, v28
	;; [unrolled: 1-line block ×3, first 2 shown]
	ds_read2_b64 v[66:69], v29 offset1:32
	v_mul_u32_u24_e32 v30, 0x10001, v84
	s_waitcnt lgkmcnt(1)
	v_pk_fma_f16 v2, v2, v30, v32
	v_pk_fma_f16 v26, v3, v30, v26
	v_pk_fma_f16 v28, v4, v30, v28
	v_pk_fma_f16 v25, v5, v30, v25
	v_mul_u32_u24_e32 v30, 0x10001, v85
	s_waitcnt lgkmcnt(0)
	v_pk_fma_f16 v31, v66, v30, v2
	ds_read2_b64 v[2:5], v29 offset0:128 offset1:160
	v_mul_u32_u24_e32 v66, 0x10001, v86
	v_pk_fma_f16 v26, v67, v30, v26
	v_pk_fma_f16 v32, v68, v30, v28
	v_pk_fma_f16 v25, v69, v30, v25
	s_waitcnt lgkmcnt(0)
	v_pk_fma_f16 v2, v2, v66, v31
	ds_read2_b64 v[28:31], v27 offset1:32
	v_pk_fma_f16 v3, v3, v66, v26
	v_pk_fma_f16 v4, v4, v66, v32
	;; [unrolled: 1-line block ×3, first 2 shown]
	v_mul_u32_u24_e32 v25, 0x10001, v87
	s_waitcnt lgkmcnt(0)
	v_pk_fma_f16 v26, v28, v25, v2
	v_pk_fma_f16 v28, v29, v25, v3
	;; [unrolled: 1-line block ×4, first 2 shown]
	ds_read2_b64 v[2:5], v27 offset0:128 offset1:160
	s_waitcnt lgkmcnt(0)
	s_barrier
	s_load_dword s14, s[12:13], 0x4
	v_mul_u32_u24_e32 v27, 0x10001, v88
	v_pk_fma_f16 v2, v2, v27, v26
	v_pk_fma_f16 v3, v3, v27, v28
	;; [unrolled: 1-line block ×3, first 2 shown]
	s_waitcnt lgkmcnt(0)
	s_lshl_b32 s14, s14, 6
	s_add_i32 s18, s14, s18
	s_cmp_lt_i32 s18, s22
	v_pk_fma_f16 v5, v5, v27, v25
	s_cbranch_scc0 .LBB52_15
; %bb.13:                               ;   in Loop: Header=BB52_8 Depth=1
	v_mov_b32_e32 v66, v7
	s_branch .LBB52_8
.LBB52_14:
	v_mov_b32_e32 v5, 0
	v_mov_b32_e32 v7, 0xfeffffff
	;; [unrolled: 1-line block ×5, first 2 shown]
.LBB52_15:
	s_cmp_gt_i32 s42, s18
	s_cbranch_scc1 .LBB52_18
; %bb.16:
	v_mbcnt_hi_u32_b32 v12, -1, v44
	v_and_b32_e32 v8, 0x60, v12
	v_add_u32_e32 v13, 32, v8
	v_xor_b32_e32 v14, 16, v12
	v_xor_b32_e32 v15, 8, v12
	;; [unrolled: 1-line block ×5, first 2 shown]
	v_and_b32_e32 v8, 1, v1
	s_cbranch_execz .LBB52_19
; %bb.17:
	v_mov_b32_e32 v37, v8
	s_branch .LBB52_26
.LBB52_18:
                                        ; implicit-def: $vgpr12
                                        ; implicit-def: $vgpr13
                                        ; implicit-def: $vgpr14
                                        ; implicit-def: $vgpr15
                                        ; implicit-def: $vgpr16
                                        ; implicit-def: $vgpr17
                                        ; implicit-def: $vgpr18
                                        ; implicit-def: $vgpr8
.LBB52_19:
	v_lshl_add_u32 v13, v1, 1, v47
	v_mul_lo_u32 v8, s23, v13
	s_mul_hi_i32 s11, s18, s23
	s_mul_i32 s10, s18, s23
	s_sub_i32 s22, s42, s18
	s_lshl_b64 s[10:11], s[10:11], 2
	v_ashrrev_i32_e32 v9, 31, v8
	s_add_u32 s14, s28, s10
	v_lshlrev_b64 v[11:12], 2, v[8:9]
	s_addc_u32 s15, s29, s11
	v_mov_b32_e32 v9, s15
	v_add_co_u32_e32 v11, vcc, s14, v11
	v_lshlrev_b32_e32 v29, 2, v46
	v_addc_co_u32_e32 v9, vcc, v9, v12, vcc
	v_add_co_u32_e32 v17, vcc, v11, v29
	s_mov_b64 s[6:7], src_private_base
	v_addc_co_u32_e32 v18, vcc, 0, v9, vcc
	v_mov_b32_e32 v10, 0
	v_mov_b32_e32 v15, s7
	v_cmp_gt_i32_e32 vcc, s22, v13
	v_mov_b32_e32 v16, 0
	buffer_store_dword v10, off, s[0:3], 0
	buffer_store_dword v10, off, s[0:3], 0 offset:4
	buffer_store_dword v10, off, s[0:3], 0 offset:8
	;; [unrolled: 1-line block ×3, first 2 shown]
	v_cndmask_b32_e32 v12, v15, v18, vcc
	v_cndmask_b32_e32 v11, v16, v17, vcc
	flat_load_dwordx4 v[21:24], v[11:12]
	s_lshl_b32 s23, s23, 4
	v_add_u32_e32 v8, s23, v8
	v_ashrrev_i32_e32 v9, 31, v8
	v_lshlrev_b64 v[11:12], 2, v[8:9]
	s_movk_i32 s6, 0x110
	v_mad_u32_u24 v14, v13, s6, v29
	v_mov_b32_e32 v19, s15
	v_add_co_u32_e64 v9, s[6:7], s14, v11
	v_addc_co_u32_e64 v11, s[6:7], v19, v12, s[6:7]
	v_add_co_u32_e64 v19, s[6:7], v9, v29
	v_add_u32_e32 v25, 16, v13
	v_addc_co_u32_e64 v20, s[6:7], 0, v11, s[6:7]
	v_cmp_gt_i32_e64 s[6:7], s22, v25
	buffer_store_dword v10, off, s[0:3], 0
	buffer_store_dword v10, off, s[0:3], 0 offset:4
	buffer_store_dword v10, off, s[0:3], 0 offset:8
	;; [unrolled: 1-line block ×3, first 2 shown]
	v_cndmask_b32_e64 v12, v15, v20, s[6:7]
	v_cndmask_b32_e64 v11, v16, v19, s[6:7]
	v_add_u32_e32 v8, s23, v8
	v_ashrrev_i32_e32 v9, 31, v8
	v_add_u32_e32 v27, 32, v13
	v_cmp_gt_i32_e64 s[12:13], s22, v27
	s_waitcnt vmcnt(0) lgkmcnt(0)
	ds_write_b128 v14, v[21:24]
	flat_load_dwordx4 v[23:26], v[11:12]
	v_lshlrev_b64 v[11:12], 2, v[8:9]
	v_mov_b32_e32 v21, s15
	v_add_co_u32_e64 v9, s[10:11], s14, v11
	v_addc_co_u32_e64 v11, s[10:11], v21, v12, s[10:11]
	v_add_co_u32_e64 v21, s[10:11], v9, v29
	v_addc_co_u32_e64 v22, s[10:11], 0, v11, s[10:11]
	v_cndmask_b32_e64 v12, v15, v22, s[12:13]
	v_cndmask_b32_e64 v11, v16, v21, s[12:13]
	buffer_store_dword v10, off, s[0:3], 0
	buffer_store_dword v10, off, s[0:3], 0 offset:4
	buffer_store_dword v10, off, s[0:3], 0 offset:8
	;; [unrolled: 1-line block ×3, first 2 shown]
	v_add_u32_e32 v8, s23, v8
	v_ashrrev_i32_e32 v9, 31, v8
	v_lshlrev_b64 v[8:9], 2, v[8:9]
	s_movk_i32 s23, 0x100
	v_add_co_u32_e64 v8, s[10:11], s14, v8
	s_waitcnt vmcnt(0) lgkmcnt(0)
	ds_write_b128 v14, v[23:26] offset:4352
	flat_load_dwordx4 v[25:28], v[11:12]
	v_mov_b32_e32 v12, s15
	v_addc_co_u32_e64 v9, s[10:11], v12, v9, s[10:11]
	v_add_co_u32_e64 v23, s[10:11], v8, v29
	v_add_u32_e32 v11, 48, v13
	v_addc_co_u32_e64 v24, s[10:11], 0, v9, s[10:11]
	v_cmp_gt_i32_e64 s[10:11], s22, v11
	v_cndmask_b32_e64 v9, v15, v24, s[10:11]
	v_cndmask_b32_e64 v8, v16, v23, s[10:11]
	buffer_store_dword v10, off, s[0:3], 0
	buffer_store_dword v10, off, s[0:3], 0 offset:4
	buffer_store_dword v10, off, s[0:3], 0 offset:8
	;; [unrolled: 1-line block ×3, first 2 shown]
	v_and_b32_e32 v11, 0x3f80, v45
	v_lshlrev_b32_e32 v12, 2, v11
	v_mov_b32_e32 v11, 0
	v_add_co_u32_e64 v17, s[14:15], s23, v17
	v_addc_co_u32_e64 v18, s[14:15], 0, v18, s[14:15]
	v_cndmask_b32_e32 v18, v15, v18, vcc
	v_cndmask_b32_e32 v17, v16, v17, vcc
	s_waitcnt vmcnt(0) lgkmcnt(0)
	ds_write_b128 v14, v[25:28] offset:8704
	flat_load_dwordx4 v[25:28], v[8:9]
	v_and_b32_e32 v8, 32, v42
	v_add_u32_e32 v9, v8, v0
	v_mul_u32_u24_e32 v13, 0x110, v9
	s_waitcnt vmcnt(0) lgkmcnt(0)
	ds_write_b128 v14, v[25:28] offset:13056
	s_waitcnt lgkmcnt(0)
	s_barrier
	ds_read_b128 v[25:28], v13
	ds_read_b128 v[29:32], v12 offset:17408
	s_waitcnt lgkmcnt(0)
	;;#ASMSTART
	v_dot2_f32_f16 v11, v25, v29, v11
	;;#ASMEND
	;;#ASMSTART
	v_dot2_f32_f16 v11, v26, v30, v11
	;;#ASMEND
	;;#ASMSTART
	v_dot2_f32_f16 v11, v27, v31, v11
	;;#ASMEND
	;;#ASMSTART
	v_dot2_f32_f16 v11, v28, v32, v11
	;;#ASMEND
	ds_read_b128 v[25:28], v13 offset:16
	ds_read_b128 v[29:32], v12 offset:17424
	s_waitcnt lgkmcnt(0)
	;;#ASMSTART
	v_dot2_f32_f16 v11, v25, v29, v11
	;;#ASMEND
	;;#ASMSTART
	v_dot2_f32_f16 v11, v26, v30, v11
	;;#ASMEND
	;;#ASMSTART
	v_dot2_f32_f16 v11, v27, v31, v11
	;;#ASMEND
	;;#ASMSTART
	v_dot2_f32_f16 v11, v28, v32, v11
	;;#ASMEND
	ds_read_b128 v[25:28], v13 offset:32
	;; [unrolled: 15-line block ×15, first 2 shown]
	ds_read_b128 v[29:32], v12 offset:17648
	s_waitcnt lgkmcnt(0)
	;;#ASMSTART
	v_dot2_f32_f16 v11, v25, v29, v11
	;;#ASMEND
	;;#ASMSTART
	v_dot2_f32_f16 v11, v26, v30, v11
	;;#ASMEND
	;; [unrolled: 3-line block ×4, first 2 shown]
	s_barrier
	buffer_store_dword v10, off, s[0:3], 0
	buffer_store_dword v10, off, s[0:3], 0 offset:4
	buffer_store_dword v10, off, s[0:3], 0 offset:8
	;; [unrolled: 1-line block ×3, first 2 shown]
	flat_load_dwordx4 v[25:28], v[17:18]
	v_add_co_u32_e32 v17, vcc, s23, v19
	v_addc_co_u32_e32 v18, vcc, 0, v20, vcc
	v_cndmask_b32_e64 v18, v15, v18, s[6:7]
	v_cndmask_b32_e64 v17, v16, v17, s[6:7]
	buffer_store_dword v10, off, s[0:3], 0
	buffer_store_dword v10, off, s[0:3], 0 offset:4
	buffer_store_dword v10, off, s[0:3], 0 offset:8
	;; [unrolled: 1-line block ×3, first 2 shown]
	v_add_co_u32_e32 v21, vcc, s23, v21
	v_addc_co_u32_e32 v22, vcc, 0, v22, vcc
	v_cndmask_b32_e64 v22, v15, v22, s[12:13]
	v_cndmask_b32_e64 v21, v16, v21, s[12:13]
	s_waitcnt vmcnt(0) lgkmcnt(0)
	ds_write_b128 v14, v[25:28]
	flat_load_dwordx4 v[17:20], v[17:18]
	s_nop 0
	buffer_store_dword v10, off, s[0:3], 0
	buffer_store_dword v10, off, s[0:3], 0 offset:4
	buffer_store_dword v10, off, s[0:3], 0 offset:8
	;; [unrolled: 1-line block ×3, first 2 shown]
	s_waitcnt vmcnt(0) lgkmcnt(0)
	ds_write_b128 v14, v[17:20] offset:4352
	flat_load_dwordx4 v[17:20], v[21:22]
	v_add_co_u32_e32 v21, vcc, s23, v23
	v_addc_co_u32_e32 v22, vcc, 0, v24, vcc
	v_cndmask_b32_e64 v22, v15, v22, s[10:11]
	v_cndmask_b32_e64 v21, v16, v21, s[10:11]
	buffer_store_dword v10, off, s[0:3], 0
	buffer_store_dword v10, off, s[0:3], 0 offset:4
	buffer_store_dword v10, off, s[0:3], 0 offset:8
	;; [unrolled: 1-line block ×3, first 2 shown]
	v_cmp_gt_i32_e32 vcc, s22, v9
	s_waitcnt vmcnt(0) lgkmcnt(0)
	ds_write_b128 v14, v[17:20] offset:8704
	flat_load_dwordx4 v[15:18], v[21:22]
	s_waitcnt vmcnt(0) lgkmcnt(0)
	ds_write_b128 v14, v[15:18] offset:13056
	s_waitcnt lgkmcnt(0)
	s_barrier
	ds_read_b128 v[14:17], v13
	ds_read_b128 v[18:21], v12 offset:17664
	s_waitcnt lgkmcnt(0)
	;;#ASMSTART
	v_dot2_f32_f16 v11, v14, v18, v11
	;;#ASMEND
	;;#ASMSTART
	v_dot2_f32_f16 v11, v15, v19, v11
	;;#ASMEND
	;;#ASMSTART
	v_dot2_f32_f16 v11, v16, v20, v11
	;;#ASMEND
	;;#ASMSTART
	v_dot2_f32_f16 v11, v17, v21, v11
	;;#ASMEND
	ds_read_b128 v[14:17], v13 offset:16
	ds_read_b128 v[18:21], v12 offset:17680
	s_waitcnt lgkmcnt(0)
	;;#ASMSTART
	v_dot2_f32_f16 v11, v14, v18, v11
	;;#ASMEND
	;;#ASMSTART
	v_dot2_f32_f16 v11, v15, v19, v11
	;;#ASMEND
	;;#ASMSTART
	v_dot2_f32_f16 v11, v16, v20, v11
	;;#ASMEND
	;;#ASMSTART
	v_dot2_f32_f16 v11, v17, v21, v11
	;;#ASMEND
	ds_read_b128 v[14:17], v13 offset:32
	ds_read_b128 v[18:21], v12 offset:17696
	s_waitcnt lgkmcnt(0)
	;;#ASMSTART
	v_dot2_f32_f16 v11, v14, v18, v11
	;;#ASMEND
	;;#ASMSTART
	v_dot2_f32_f16 v11, v15, v19, v11
	;;#ASMEND
	;;#ASMSTART
	v_dot2_f32_f16 v11, v16, v20, v11
	;;#ASMEND
	;;#ASMSTART
	v_dot2_f32_f16 v11, v17, v21, v11
	;;#ASMEND
	ds_read_b128 v[14:17], v13 offset:48
	ds_read_b128 v[18:21], v12 offset:17712
	s_waitcnt lgkmcnt(0)
	;;#ASMSTART
	v_dot2_f32_f16 v11, v14, v18, v11
	;;#ASMEND
	;;#ASMSTART
	v_dot2_f32_f16 v11, v15, v19, v11
	;;#ASMEND
	;;#ASMSTART
	v_dot2_f32_f16 v11, v16, v20, v11
	;;#ASMEND
	;;#ASMSTART
	v_dot2_f32_f16 v11, v17, v21, v11
	;;#ASMEND
	ds_read_b128 v[14:17], v13 offset:64
	ds_read_b128 v[18:21], v12 offset:17728
	s_waitcnt lgkmcnt(0)
	;;#ASMSTART
	v_dot2_f32_f16 v11, v14, v18, v11
	;;#ASMEND
	;;#ASMSTART
	v_dot2_f32_f16 v11, v15, v19, v11
	;;#ASMEND
	;;#ASMSTART
	v_dot2_f32_f16 v11, v16, v20, v11
	;;#ASMEND
	;;#ASMSTART
	v_dot2_f32_f16 v11, v17, v21, v11
	;;#ASMEND
	ds_read_b128 v[14:17], v13 offset:80
	ds_read_b128 v[18:21], v12 offset:17744
	s_waitcnt lgkmcnt(0)
	;;#ASMSTART
	v_dot2_f32_f16 v11, v14, v18, v11
	;;#ASMEND
	;;#ASMSTART
	v_dot2_f32_f16 v11, v15, v19, v11
	;;#ASMEND
	;;#ASMSTART
	v_dot2_f32_f16 v11, v16, v20, v11
	;;#ASMEND
	;;#ASMSTART
	v_dot2_f32_f16 v11, v17, v21, v11
	;;#ASMEND
	ds_read_b128 v[14:17], v13 offset:96
	ds_read_b128 v[18:21], v12 offset:17760
	s_waitcnt lgkmcnt(0)
	;;#ASMSTART
	v_dot2_f32_f16 v11, v14, v18, v11
	;;#ASMEND
	;;#ASMSTART
	v_dot2_f32_f16 v11, v15, v19, v11
	;;#ASMEND
	;;#ASMSTART
	v_dot2_f32_f16 v11, v16, v20, v11
	;;#ASMEND
	;;#ASMSTART
	v_dot2_f32_f16 v11, v17, v21, v11
	;;#ASMEND
	ds_read_b128 v[14:17], v13 offset:112
	ds_read_b128 v[18:21], v12 offset:17776
	s_waitcnt lgkmcnt(0)
	;;#ASMSTART
	v_dot2_f32_f16 v11, v14, v18, v11
	;;#ASMEND
	;;#ASMSTART
	v_dot2_f32_f16 v11, v15, v19, v11
	;;#ASMEND
	;;#ASMSTART
	v_dot2_f32_f16 v11, v16, v20, v11
	;;#ASMEND
	;;#ASMSTART
	v_dot2_f32_f16 v11, v17, v21, v11
	;;#ASMEND
	ds_read_b128 v[14:17], v13 offset:128
	ds_read_b128 v[18:21], v12 offset:17792
	s_waitcnt lgkmcnt(0)
	;;#ASMSTART
	v_dot2_f32_f16 v11, v14, v18, v11
	;;#ASMEND
	;;#ASMSTART
	v_dot2_f32_f16 v11, v15, v19, v11
	;;#ASMEND
	;;#ASMSTART
	v_dot2_f32_f16 v11, v16, v20, v11
	;;#ASMEND
	;;#ASMSTART
	v_dot2_f32_f16 v11, v17, v21, v11
	;;#ASMEND
	ds_read_b128 v[14:17], v13 offset:144
	ds_read_b128 v[18:21], v12 offset:17808
	s_waitcnt lgkmcnt(0)
	;;#ASMSTART
	v_dot2_f32_f16 v11, v14, v18, v11
	;;#ASMEND
	;;#ASMSTART
	v_dot2_f32_f16 v11, v15, v19, v11
	;;#ASMEND
	;;#ASMSTART
	v_dot2_f32_f16 v11, v16, v20, v11
	;;#ASMEND
	;;#ASMSTART
	v_dot2_f32_f16 v11, v17, v21, v11
	;;#ASMEND
	ds_read_b128 v[14:17], v13 offset:160
	ds_read_b128 v[18:21], v12 offset:17824
	s_waitcnt lgkmcnt(0)
	;;#ASMSTART
	v_dot2_f32_f16 v11, v14, v18, v11
	;;#ASMEND
	;;#ASMSTART
	v_dot2_f32_f16 v11, v15, v19, v11
	;;#ASMEND
	;;#ASMSTART
	v_dot2_f32_f16 v11, v16, v20, v11
	;;#ASMEND
	;;#ASMSTART
	v_dot2_f32_f16 v11, v17, v21, v11
	;;#ASMEND
	ds_read_b128 v[14:17], v13 offset:176
	ds_read_b128 v[18:21], v12 offset:17840
	s_waitcnt lgkmcnt(0)
	;;#ASMSTART
	v_dot2_f32_f16 v11, v14, v18, v11
	;;#ASMEND
	;;#ASMSTART
	v_dot2_f32_f16 v11, v15, v19, v11
	;;#ASMEND
	;;#ASMSTART
	v_dot2_f32_f16 v11, v16, v20, v11
	;;#ASMEND
	;;#ASMSTART
	v_dot2_f32_f16 v11, v17, v21, v11
	;;#ASMEND
	ds_read_b128 v[14:17], v13 offset:192
	ds_read_b128 v[18:21], v12 offset:17856
	s_waitcnt lgkmcnt(0)
	;;#ASMSTART
	v_dot2_f32_f16 v11, v14, v18, v11
	;;#ASMEND
	;;#ASMSTART
	v_dot2_f32_f16 v11, v15, v19, v11
	;;#ASMEND
	;;#ASMSTART
	v_dot2_f32_f16 v11, v16, v20, v11
	;;#ASMEND
	;;#ASMSTART
	v_dot2_f32_f16 v11, v17, v21, v11
	;;#ASMEND
	ds_read_b128 v[14:17], v13 offset:208
	ds_read_b128 v[18:21], v12 offset:17872
	s_waitcnt lgkmcnt(0)
	;;#ASMSTART
	v_dot2_f32_f16 v11, v14, v18, v11
	;;#ASMEND
	;;#ASMSTART
	v_dot2_f32_f16 v11, v15, v19, v11
	;;#ASMEND
	;;#ASMSTART
	v_dot2_f32_f16 v11, v16, v20, v11
	;;#ASMEND
	;;#ASMSTART
	v_dot2_f32_f16 v11, v17, v21, v11
	;;#ASMEND
	ds_read_b128 v[14:17], v13 offset:224
	ds_read_b128 v[18:21], v12 offset:17888
	s_waitcnt lgkmcnt(0)
	;;#ASMSTART
	v_dot2_f32_f16 v11, v14, v18, v11
	;;#ASMEND
	;;#ASMSTART
	v_dot2_f32_f16 v11, v15, v19, v11
	;;#ASMEND
	;;#ASMSTART
	v_dot2_f32_f16 v11, v16, v20, v11
	;;#ASMEND
	;;#ASMSTART
	v_dot2_f32_f16 v11, v17, v21, v11
	;;#ASMEND
	ds_read_b128 v[13:16], v13 offset:240
	ds_read_b128 v[17:20], v12 offset:17904
	s_waitcnt lgkmcnt(0)
	;;#ASMSTART
	v_dot2_f32_f16 v11, v13, v17, v11
	;;#ASMEND
	;;#ASMSTART
	v_dot2_f32_f16 v11, v14, v18, v11
	;;#ASMEND
	;; [unrolled: 3-line block ×4, first 2 shown]
	v_mov_b32_e32 v16, v7
	s_and_saveexec_b64 s[6:7], vcc
	s_cbranch_execz .LBB52_23
; %bb.20:
	s_cmp_eq_u64 s[40:41], 0
	s_cbranch_scc1 .LBB52_22
; %bb.21:
	v_mul_lo_u32 v10, v41, s19
	v_mov_b32_e32 v14, s41
	v_add3_u32 v12, v10, v9, s18
	v_ashrrev_i32_e32 v13, 31, v12
	v_lshlrev_b64 v[12:13], 1, v[12:13]
	v_add_co_u32_e32 v12, vcc, s40, v12
	v_addc_co_u32_e32 v13, vcc, v14, v13, vcc
	global_load_ushort v10, v[12:13], off
	s_waitcnt vmcnt(0)
	v_cvt_f32_f16_e32 v10, v10
	v_mul_f32_e32 v10, v40, v10
.LBB52_22:
	v_add_f32_e32 v11, v11, v10
	v_add_f32_e32 v10, 0x40051340, v11
	v_max_f32_e32 v12, v7, v7
	v_max_f32_e32 v16, v12, v10
.LBB52_23:
	s_or_b64 exec, exec, s[6:7]
	v_mbcnt_hi_u32_b32 v12, -1, v44
	v_and_b32_e32 v10, 0x60, v12
	v_add_u32_e32 v13, 32, v10
	v_xor_b32_e32 v14, 16, v12
	v_cmp_lt_i32_e32 vcc, v14, v13
	v_cndmask_b32_e32 v10, v12, v14, vcc
	v_lshlrev_b32_e32 v10, 2, v10
	ds_bpermute_b32 v10, v10, v16
	v_xor_b32_e32 v15, 8, v12
	v_cmp_lt_i32_e32 vcc, v15, v13
	v_cndmask_b32_e32 v17, v12, v15, vcc
	v_max_f32_e32 v16, v16, v16
	s_waitcnt lgkmcnt(0)
	v_max_f32_e32 v10, v10, v10
	v_lshlrev_b32_e32 v17, 2, v17
	v_max_f32_e32 v10, v16, v10
	ds_bpermute_b32 v17, v17, v10
	v_xor_b32_e32 v16, 4, v12
	v_cmp_lt_i32_e32 vcc, v16, v13
	v_cndmask_b32_e32 v18, v12, v16, vcc
	v_lshlrev_b32_e32 v18, 2, v18
	s_waitcnt lgkmcnt(0)
	v_max_f32_e32 v17, v17, v17
	v_max_f32_e32 v10, v10, v17
	ds_bpermute_b32 v18, v18, v10
	v_xor_b32_e32 v17, 2, v12
	v_cmp_lt_i32_e32 vcc, v17, v13
	v_cndmask_b32_e32 v19, v12, v17, vcc
	v_lshlrev_b32_e32 v19, 2, v19
	s_waitcnt lgkmcnt(0)
	v_max_f32_e32 v18, v18, v18
	;; [unrolled: 8-line block ×3, first 2 shown]
	v_max_f32_e32 v10, v10, v19
	ds_bpermute_b32 v19, v20, v10
	v_cmp_eq_u32_e32 vcc, 0, v0
	s_and_saveexec_b64 s[6:7], vcc
	s_cbranch_execz .LBB52_25
; %bb.24:
	s_waitcnt lgkmcnt(0)
	v_max_f32_e32 v19, v19, v19
	v_max_f32_e32 v10, v10, v10
	v_lshlrev_b32_e32 v20, 2, v1
	v_max_f32_e32 v10, v10, v19
	ds_write_b32 v20, v10 offset:20000
.LBB52_25:
	s_or_b64 exec, exec, s[6:7]
	s_movk_i32 s6, 0xfe
	v_and_or_b32 v10, v1, s6, v43
	v_lshlrev_b32_e32 v10, 2, v10
	s_waitcnt lgkmcnt(0)
	s_barrier
	ds_read_b32 v10, v10 offset:20000
	v_and_b32_e32 v19, 0x7e, v12
	v_add_u32_e32 v19, 2, v19
	v_cmp_lt_i32_e32 vcc, v18, v19
	v_cndmask_b32_e32 v19, v12, v18, vcc
	v_lshlrev_b32_e32 v19, 2, v19
	s_waitcnt lgkmcnt(0)
	ds_bpermute_b32 v19, v19, v10
	v_max_f32_e32 v10, v10, v10
	v_cmp_gt_u32_e32 vcc, s22, v9
	s_mov_b32 s10, 0x3fb8aa3b
	s_mov_b32 s11, 0xc2ce8ed0
	s_waitcnt lgkmcnt(0)
	v_max_f32_e32 v19, v19, v19
	v_max_f32_e32 v19, v10, v19
	v_sub_f32_e32 v9, v11, v19
	v_mul_f32_e32 v10, 0x3fb8aa3b, v9
	v_fma_f32 v11, v9, s10, -v10
	v_rndne_f32_e32 v20, v10
	v_fmac_f32_e32 v11, 0x32a5705f, v9
	v_sub_f32_e32 v10, v10, v20
	v_add_f32_e32 v10, v10, v11
	v_exp_f32_e32 v10, v10
	v_cvt_i32_f32_e32 v11, v20
	v_mov_b32_e32 v20, 0x4c00
	v_sub_f32_e32 v7, v7, v19
	v_cmp_ngt_f32_e64 s[6:7], s11, v9
	v_ldexp_f32 v10, v10, v11
	v_and_b32_e32 v11, 0x1fc0, v42
	v_lshl_add_u32 v11, v11, 1, v20
	v_mul_f32_e32 v20, 0x3fb8aa3b, v7
	v_fma_f32 v21, v7, s10, -v20
	v_rndne_f32_e32 v22, v20
	v_fmac_f32_e32 v21, 0x32a5705f, v7
	v_sub_f32_e32 v20, v20, v22
	v_add_f32_e32 v20, v20, v21
	v_exp_f32_e32 v20, v20
	v_cvt_i32_f32_e32 v21, v22
	s_mov_b32 s12, 0x42b17218
	v_cndmask_b32_e64 v10, 0, v10, s[6:7]
	v_cmp_nlt_f32_e64 s[6:7], s12, v9
	v_mov_b32_e32 v9, 0x7f800000
	v_cndmask_b32_e64 v10, v9, v10, s[6:7]
	v_cndmask_b32_e32 v10, 0, v10, vcc
	v_ldexp_f32 v20, v20, v21
	v_cmp_ngt_f32_e32 vcc, s11, v7
	v_cndmask_b32_e32 v20, 0, v20, vcc
	v_cmp_nlt_f32_e32 vcc, s12, v7
	v_cndmask_b32_e32 v7, v9, v20, vcc
	v_fma_f32 v36, v36, v7, v10
	v_cvt_f16_f32_e32 v7, v7
	v_lshl_or_b32 v8, v8, 1, v11
	s_lshl_b32 s6, s8, 3
	s_mul_hi_i32 s7, s18, s8
	v_mul_u32_u24_e32 v26, 0x10001, v7
	v_pk_mul_f16 v29, v5, v26
	v_lshl_add_u32 v5, v0, 1, v8
	v_add_u32_e32 v8, s6, v6
	v_add_u32_e32 v30, s6, v8
	v_pk_mul_f16 v27, v4, v26
	v_cvt_f16_f32_e32 v4, v10
	v_add_u32_e32 v48, s6, v30
	s_mul_i32 s6, s18, s8
	v_ashrrev_i32_e32 v7, 31, v6
	s_lshl_b64 s[6:7], s[6:7], 2
	s_mov_b64 s[10:11], src_private_base
	v_lshl_or_b32 v20, v37, 1, v11
	s_add_u32 s12, s16, s6
	v_lshlrev_b64 v[10:11], 2, v[6:7]
	s_addc_u32 s10, s17, s7
	ds_write_b16 v5, v4
	v_add_co_u32_e64 v4, s[6:7], s12, v10
	v_mov_b32_e32 v5, s10
	v_addc_co_u32_e64 v5, s[6:7], v5, v11, s[6:7]
	v_add_co_u32_e64 v4, s[6:7], v4, v38
	v_mov_b32_e32 v40, 0
	v_cmp_gt_i32_e32 vcc, s22, v1
	v_addc_co_u32_e64 v5, s[6:7], 0, v5, s[6:7]
	v_mov_b32_e32 v28, s11
	v_mov_b32_e32 v23, 0
	buffer_store_dword v40, off, s[0:3], 0
	buffer_store_dword v40, off, s[0:3], 0 offset:4
	buffer_store_dword v40, off, s[0:3], 0 offset:8
	;; [unrolled: 1-line block ×3, first 2 shown]
	v_cndmask_b32_e32 v5, v28, v5, vcc
	v_cndmask_b32_e32 v4, v23, v4, vcc
	flat_load_dwordx4 v[4:7], v[4:5]
	v_ashrrev_i32_e32 v9, 31, v8
	v_lshlrev_b64 v[8:9], 2, v[8:9]
	v_lshl_add_u32 v42, v1, 9, v38
	v_add_u32_e32 v43, 8, v1
	v_cmp_gt_i32_e32 vcc, s22, v43
	v_lshl_add_u32 v32, v43, 9, v38
	v_ashrrev_i32_e32 v31, 31, v30
	v_add_u32_e32 v41, 16, v1
	v_ashrrev_i32_e32 v49, 31, v48
	v_add_u32_e32 v24, 24, v1
	v_lshl_add_u32 v25, v41, 9, v38
	v_lshl_add_u32 v21, v24, 9, v38
	s_waitcnt vmcnt(0) lgkmcnt(0)
	ds_write_b128 v42, v[4:7]
	v_add_co_u32_e64 v4, s[6:7], s12, v8
	v_mov_b32_e32 v5, s10
	v_addc_co_u32_e64 v5, s[6:7], v5, v9, s[6:7]
	v_add_co_u32_e64 v4, s[6:7], v4, v38
	v_addc_co_u32_e64 v5, s[6:7], 0, v5, s[6:7]
	buffer_store_dword v40, off, s[0:3], 0
	buffer_store_dword v40, off, s[0:3], 0 offset:4
	buffer_store_dword v40, off, s[0:3], 0 offset:8
	;; [unrolled: 1-line block ×3, first 2 shown]
	v_cndmask_b32_e32 v5, v28, v5, vcc
	v_cndmask_b32_e32 v4, v23, v4, vcc
	flat_load_dwordx4 v[4:7], v[4:5]
	v_cmp_gt_i32_e32 vcc, s22, v41
	s_waitcnt vmcnt(0) lgkmcnt(0)
	ds_write_b128 v32, v[4:7]
	v_lshlrev_b64 v[6:7], 2, v[30:31]
	v_mov_b32_e32 v5, s10
	v_add_co_u32_e64 v4, s[6:7], s12, v6
	v_addc_co_u32_e64 v5, s[6:7], v5, v7, s[6:7]
	v_add_co_u32_e64 v4, s[6:7], v4, v38
	v_addc_co_u32_e64 v5, s[6:7], 0, v5, s[6:7]
	buffer_store_dword v40, off, s[0:3], 0
	buffer_store_dword v40, off, s[0:3], 0 offset:4
	buffer_store_dword v40, off, s[0:3], 0 offset:8
	;; [unrolled: 1-line block ×3, first 2 shown]
	v_cndmask_b32_e32 v5, v28, v5, vcc
	v_cndmask_b32_e32 v4, v23, v4, vcc
	flat_load_dwordx4 v[44:47], v[4:5]
	v_lshlrev_b64 v[4:5], 2, v[48:49]
	v_mov_b32_e32 v30, s10
	v_add_co_u32_e64 v22, s[6:7], s12, v4
	v_addc_co_u32_e64 v30, s[6:7], v30, v5, s[6:7]
	v_add_co_u32_e64 v22, s[6:7], v22, v38
	v_cmp_gt_i32_e32 vcc, s22, v24
	v_addc_co_u32_e64 v30, s[6:7], 0, v30, s[6:7]
	v_cndmask_b32_e32 v31, v28, v30, vcc
	v_cndmask_b32_e32 v30, v23, v22, vcc
	v_lshl_add_u32 v22, v37, 9, v39
	s_or_b32 s6, s18, 32
	s_mul_hi_i32 s7, s6, s8
	s_mul_i32 s6, s6, s8
	s_lshl_b64 s[6:7], s[6:7], 2
	s_add_u32 s10, s16, s6
	s_addc_u32 s8, s17, s7
	v_add_co_u32_e64 v10, s[6:7], s10, v10
	s_sub_i32 s11, s22, 32
	v_cmp_gt_i32_e32 vcc, s11, v1
	s_waitcnt vmcnt(0) lgkmcnt(0)
	ds_write_b128 v25, v[44:47]
	buffer_store_dword v40, off, s[0:3], 0
	buffer_store_dword v40, off, s[0:3], 0 offset:4
	buffer_store_dword v40, off, s[0:3], 0 offset:8
	;; [unrolled: 1-line block ×3, first 2 shown]
	flat_load_dwordx4 v[44:47], v[30:31]
	s_waitcnt vmcnt(0) lgkmcnt(0)
	ds_write_b128 v21, v[44:47]
	s_waitcnt lgkmcnt(0)
	s_barrier
	ds_read2_b64 v[49:52], v22 offset1:32
	ds_read_u16 v53, v20
	ds_read_u16 v54, v20 offset:4
	ds_read_u16 v55, v20 offset:8
	;; [unrolled: 1-line block ×15, first 2 shown]
	s_waitcnt lgkmcnt(14)
	v_mul_u32_u24_e32 v53, 0x10001, v53
	v_pk_mul_f16 v49, v49, v53
	v_pk_fma_f16 v2, v2, v26, v49
	v_pk_mul_f16 v49, v50, v53
	v_pk_fma_f16 v3, v3, v26, v49
	v_pk_fma_f16 v26, v51, v53, v27
	;; [unrolled: 1-line block ×3, first 2 shown]
	ds_read2_b64 v[49:52], v22 offset0:128 offset1:160
	v_mul_u32_u24_e32 v29, 0x10001, v54
	s_waitcnt lgkmcnt(8)
	v_mul_u32_u24_e32 v48, 0x10001, v48
	s_waitcnt lgkmcnt(7)
	v_mul_u32_u24_e32 v47, 0x10001, v47
	s_waitcnt lgkmcnt(6)
	v_mul_u32_u24_e32 v46, 0x10001, v46
	s_waitcnt lgkmcnt(0)
	v_pk_fma_f16 v53, v49, v29, v2
	v_add_u32_e32 v2, 0x800, v22
	v_pk_fma_f16 v3, v50, v29, v3
	v_pk_fma_f16 v26, v51, v29, v26
	;; [unrolled: 1-line block ×3, first 2 shown]
	ds_read2_b64 v[49:52], v2 offset1:32
	v_mul_u32_u24_e32 v29, 0x10001, v55
	v_mul_u32_u24_e32 v30, 0x10001, v30
	;; [unrolled: 1-line block ×4, first 2 shown]
	s_waitcnt lgkmcnt(0)
	v_pk_fma_f16 v53, v49, v29, v53
	v_pk_fma_f16 v3, v50, v29, v3
	;; [unrolled: 1-line block ×4, first 2 shown]
	ds_read2_b64 v[49:52], v2 offset0:128 offset1:160
	v_mul_u32_u24_e32 v29, 0x10001, v56
	v_mul_u32_u24_e32 v44, 0x10001, v44
	s_waitcnt lgkmcnt(0)
	v_pk_fma_f16 v54, v50, v29, v3
	v_add_u32_e32 v3, 0x1000, v22
	v_pk_fma_f16 v53, v49, v29, v53
	v_pk_fma_f16 v26, v51, v29, v26
	;; [unrolled: 1-line block ×3, first 2 shown]
	ds_read2_b64 v[49:52], v3 offset1:32
	v_mul_u32_u24_e32 v29, 0x10001, v57
	s_waitcnt lgkmcnt(0)
	v_pk_fma_f16 v53, v49, v29, v53
	v_pk_fma_f16 v54, v50, v29, v54
	;; [unrolled: 1-line block ×4, first 2 shown]
	ds_read2_b64 v[49:52], v3 offset0:128 offset1:160
	v_mul_u32_u24_e32 v29, 0x10001, v58
	s_waitcnt lgkmcnt(0)
	v_pk_fma_f16 v55, v51, v29, v26
	v_add_u32_e32 v26, 0x1800, v22
	v_pk_fma_f16 v53, v49, v29, v53
	v_pk_fma_f16 v54, v50, v29, v54
	;; [unrolled: 1-line block ×3, first 2 shown]
	ds_read2_b64 v[49:52], v26 offset1:32
	v_mul_u32_u24_e32 v29, 0x10001, v59
	s_waitcnt lgkmcnt(0)
	v_pk_fma_f16 v53, v49, v29, v53
	v_pk_fma_f16 v54, v50, v29, v54
	;; [unrolled: 1-line block ×4, first 2 shown]
	ds_read2_b64 v[49:52], v26 offset0:128 offset1:160
	v_mul_u32_u24_e32 v29, 0x10001, v60
	s_waitcnt lgkmcnt(0)
	v_pk_fma_f16 v53, v49, v29, v53
	v_pk_fma_f16 v54, v50, v29, v54
	;; [unrolled: 1-line block ×4, first 2 shown]
	v_add_u32_e32 v27, 0x2000, v22
	ds_read2_b64 v[49:52], v27 offset1:32
	s_waitcnt lgkmcnt(0)
	v_pk_fma_f16 v53, v49, v48, v53
	v_pk_fma_f16 v54, v50, v48, v54
	;; [unrolled: 1-line block ×4, first 2 shown]
	ds_read2_b64 v[48:51], v27 offset0:128 offset1:160
	s_waitcnt lgkmcnt(0)
	v_pk_fma_f16 v51, v51, v47, v29
	v_add_u32_e32 v29, 0x2800, v22
	v_pk_fma_f16 v52, v48, v47, v53
	v_pk_fma_f16 v53, v49, v47, v54
	;; [unrolled: 1-line block ×3, first 2 shown]
	ds_read2_b64 v[47:50], v29 offset1:32
	s_waitcnt lgkmcnt(0)
	v_pk_fma_f16 v52, v47, v46, v52
	v_pk_fma_f16 v53, v48, v46, v53
	;; [unrolled: 1-line block ×4, first 2 shown]
	ds_read2_b64 v[46:49], v29 offset0:128 offset1:160
	s_waitcnt lgkmcnt(0)
	v_pk_fma_f16 v51, v46, v30, v52
	v_pk_fma_f16 v52, v47, v30, v53
	;; [unrolled: 1-line block ×4, first 2 shown]
	v_add_u32_e32 v30, 0x3000, v22
	ds_read2_b64 v[46:49], v30 offset1:32
	s_waitcnt lgkmcnt(0)
	v_pk_fma_f16 v51, v46, v45, v51
	v_pk_fma_f16 v52, v47, v45, v52
	;; [unrolled: 1-line block ×4, first 2 shown]
	ds_read2_b64 v[45:48], v30 offset0:128 offset1:160
	s_waitcnt lgkmcnt(0)
	v_pk_fma_f16 v50, v45, v31, v51
	v_pk_fma_f16 v51, v46, v31, v52
	;; [unrolled: 1-line block ×4, first 2 shown]
	v_add_u32_e32 v31, 0x3800, v22
	ds_read2_b64 v[45:48], v31 offset1:32
	s_waitcnt lgkmcnt(0)
	v_pk_fma_f16 v50, v45, v44, v50
	v_pk_fma_f16 v51, v46, v44, v51
	;; [unrolled: 1-line block ×4, first 2 shown]
	ds_read2_b64 v[44:47], v31 offset0:128 offset1:160
	v_mul_u32_u24_e32 v49, 0x10001, v39
	s_waitcnt lgkmcnt(0)
	s_barrier
	v_pk_fma_f16 v39, v44, v49, v50
	v_pk_fma_f16 v44, v45, v49, v51
	;; [unrolled: 1-line block ×4, first 2 shown]
	v_mov_b32_e32 v47, s8
	v_addc_co_u32_e64 v11, s[6:7], v47, v11, s[6:7]
	v_add_co_u32_e64 v10, s[6:7], v10, v38
	v_addc_co_u32_e64 v11, s[6:7], 0, v11, s[6:7]
	buffer_store_dword v40, off, s[0:3], 0
	buffer_store_dword v40, off, s[0:3], 0 offset:4
	buffer_store_dword v40, off, s[0:3], 0 offset:8
	;; [unrolled: 1-line block ×3, first 2 shown]
	v_cndmask_b32_e32 v11, v28, v11, vcc
	v_cndmask_b32_e32 v10, v23, v10, vcc
	flat_load_dwordx4 v[47:50], v[10:11]
	v_add_co_u32_e64 v8, s[6:7], s10, v8
	v_mov_b32_e32 v10, s8
	v_addc_co_u32_e64 v9, s[6:7], v10, v9, s[6:7]
	v_add_co_u32_e64 v8, s[6:7], v8, v38
	v_cmp_gt_i32_e32 vcc, s11, v43
	v_addc_co_u32_e64 v9, s[6:7], 0, v9, s[6:7]
	v_cndmask_b32_e32 v9, v28, v9, vcc
	v_cndmask_b32_e32 v8, v23, v8, vcc
	v_add_co_u32_e64 v6, s[6:7], s10, v6
	v_cmp_gt_i32_e32 vcc, s11, v41
	s_waitcnt vmcnt(0) lgkmcnt(0)
	ds_write_b128 v42, v[47:50]
	buffer_store_dword v40, off, s[0:3], 0
	buffer_store_dword v40, off, s[0:3], 0 offset:4
	buffer_store_dword v40, off, s[0:3], 0 offset:8
	;; [unrolled: 1-line block ×3, first 2 shown]
	flat_load_dwordx4 v[8:11], v[8:9]
	s_waitcnt vmcnt(0) lgkmcnt(0)
	ds_write_b128 v32, v[8:11]
	v_mov_b32_e32 v8, s8
	v_addc_co_u32_e64 v7, s[6:7], v8, v7, s[6:7]
	v_add_co_u32_e64 v6, s[6:7], v6, v38
	v_addc_co_u32_e64 v7, s[6:7], 0, v7, s[6:7]
	buffer_store_dword v40, off, s[0:3], 0
	buffer_store_dword v40, off, s[0:3], 0 offset:4
	buffer_store_dword v40, off, s[0:3], 0 offset:8
	;; [unrolled: 1-line block ×3, first 2 shown]
	v_cndmask_b32_e32 v7, v28, v7, vcc
	v_cndmask_b32_e32 v6, v23, v6, vcc
	flat_load_dwordx4 v[6:9], v[6:7]
	v_add_co_u32_e64 v4, s[6:7], s10, v4
	v_cmp_gt_i32_e32 vcc, s11, v24
	s_waitcnt vmcnt(0) lgkmcnt(0)
	ds_write_b128 v25, v[6:9]
	v_mov_b32_e32 v6, s8
	v_addc_co_u32_e64 v5, s[6:7], v6, v5, s[6:7]
	v_add_co_u32_e64 v4, s[6:7], v4, v38
	v_addc_co_u32_e64 v5, s[6:7], 0, v5, s[6:7]
	buffer_store_dword v40, off, s[0:3], 0
	buffer_store_dword v40, off, s[0:3], 0 offset:4
	buffer_store_dword v40, off, s[0:3], 0 offset:8
	;; [unrolled: 1-line block ×3, first 2 shown]
	v_cndmask_b32_e32 v5, v28, v5, vcc
	v_cndmask_b32_e32 v4, v23, v4, vcc
	flat_load_dwordx4 v[4:7], v[4:5]
	s_waitcnt vmcnt(0) lgkmcnt(0)
	ds_write_b128 v21, v[4:7]
	s_waitcnt lgkmcnt(0)
	s_barrier
	ds_read2_b64 v[8:11], v22 offset1:32
	ds_read_u16 v21, v20 offset:64
	ds_read_u16 v23, v20 offset:68
	;; [unrolled: 1-line block ×16, first 2 shown]
	s_waitcnt lgkmcnt(14)
	v_mul_u32_u24_e32 v20, 0x10001, v21
	v_pk_fma_f16 v21, v8, v20, v39
	v_pk_fma_f16 v39, v9, v20, v44
	v_pk_fma_f16 v44, v10, v20, v45
	v_pk_fma_f16 v20, v11, v20, v46
	ds_read2_b64 v[8:11], v22 offset0:128 offset1:160
	v_mul_u32_u24_e32 v22, 0x10001, v23
	s_waitcnt lgkmcnt(0)
	v_pk_fma_f16 v21, v8, v22, v21
	v_pk_fma_f16 v23, v9, v22, v39
	v_pk_fma_f16 v39, v10, v22, v44
	v_pk_fma_f16 v20, v11, v22, v20
	ds_read2_b64 v[8:11], v2 offset1:32
	v_mul_u32_u24_e32 v22, 0x10001, v24
	s_waitcnt lgkmcnt(0)
	v_pk_fma_f16 v21, v8, v22, v21
	v_pk_fma_f16 v23, v9, v22, v23
	v_pk_fma_f16 v24, v10, v22, v39
	v_pk_fma_f16 v20, v11, v22, v20
	ds_read2_b64 v[8:11], v2 offset0:128 offset1:160
	v_mul_u32_u24_e32 v2, 0x10001, v25
	s_waitcnt lgkmcnt(0)
	v_pk_fma_f16 v21, v8, v2, v21
	v_pk_fma_f16 v22, v9, v2, v23
	v_pk_fma_f16 v23, v10, v2, v24
	v_pk_fma_f16 v2, v11, v2, v20
	ds_read2_b64 v[8:11], v3 offset1:32
	v_mul_u32_u24_e32 v20, 0x10001, v28
	s_waitcnt lgkmcnt(0)
	v_pk_fma_f16 v21, v8, v20, v21
	v_pk_fma_f16 v22, v9, v20, v22
	v_pk_fma_f16 v23, v10, v20, v23
	v_pk_fma_f16 v2, v11, v20, v2
	ds_read2_b64 v[8:11], v3 offset0:128 offset1:160
	v_mul_u32_u24_e32 v3, 0x10001, v32
	s_waitcnt lgkmcnt(0)
	v_pk_fma_f16 v20, v8, v3, v21
	v_pk_fma_f16 v21, v9, v3, v22
	v_pk_fma_f16 v22, v10, v3, v23
	v_pk_fma_f16 v2, v11, v3, v2
	ds_read2_b64 v[8:11], v26 offset1:32
	v_mul_u32_u24_e32 v3, 0x10001, v38
	s_waitcnt lgkmcnt(0)
	v_pk_fma_f16 v20, v8, v3, v20
	v_pk_fma_f16 v21, v9, v3, v21
	v_pk_fma_f16 v22, v10, v3, v22
	v_pk_fma_f16 v2, v11, v3, v2
	ds_read2_b64 v[8:11], v26 offset0:128 offset1:160
	v_mul_u32_u24_e32 v3, 0x10001, v40
	s_waitcnt lgkmcnt(0)
	v_pk_fma_f16 v20, v8, v3, v20
	v_pk_fma_f16 v21, v9, v3, v21
	v_pk_fma_f16 v22, v10, v3, v22
	v_pk_fma_f16 v2, v11, v3, v2
	ds_read2_b64 v[8:11], v27 offset1:32
	v_mul_u32_u24_e32 v3, 0x10001, v41
	s_waitcnt lgkmcnt(0)
	v_pk_fma_f16 v20, v8, v3, v20
	v_pk_fma_f16 v21, v9, v3, v21
	v_pk_fma_f16 v22, v10, v3, v22
	v_pk_fma_f16 v2, v11, v3, v2
	ds_read2_b64 v[8:11], v27 offset0:128 offset1:160
	v_mul_u32_u24_e32 v3, 0x10001, v42
	s_waitcnt lgkmcnt(0)
	v_pk_fma_f16 v20, v8, v3, v20
	v_pk_fma_f16 v21, v9, v3, v21
	v_pk_fma_f16 v22, v10, v3, v22
	v_pk_fma_f16 v2, v11, v3, v2
	ds_read2_b64 v[8:11], v29 offset1:32
	v_mul_u32_u24_e32 v3, 0x10001, v43
	s_waitcnt lgkmcnt(0)
	v_pk_fma_f16 v20, v8, v3, v20
	v_pk_fma_f16 v21, v9, v3, v21
	v_pk_fma_f16 v22, v10, v3, v22
	v_pk_fma_f16 v2, v11, v3, v2
	ds_read2_b64 v[8:11], v29 offset0:128 offset1:160
	v_mul_u32_u24_e32 v3, 0x10001, v47
	s_waitcnt lgkmcnt(0)
	v_pk_fma_f16 v20, v8, v3, v20
	v_pk_fma_f16 v21, v9, v3, v21
	v_pk_fma_f16 v22, v10, v3, v22
	v_pk_fma_f16 v2, v11, v3, v2
	ds_read2_b64 v[8:11], v30 offset1:32
	v_mul_u32_u24_e32 v3, 0x10001, v7
	s_waitcnt lgkmcnt(0)
	v_pk_fma_f16 v20, v8, v3, v20
	v_pk_fma_f16 v21, v9, v3, v21
	;; [unrolled: 1-line block ×3, first 2 shown]
	ds_read2_b64 v[7:10], v30 offset0:128 offset1:160
	v_pk_fma_f16 v2, v11, v3, v2
	v_mul_u32_u24_e32 v3, 0x10001, v6
	s_waitcnt lgkmcnt(0)
	v_pk_fma_f16 v11, v7, v3, v20
	v_pk_fma_f16 v20, v8, v3, v21
	;; [unrolled: 1-line block ×3, first 2 shown]
	ds_read2_b64 v[6:9], v31 offset1:32
	v_pk_fma_f16 v2, v10, v3, v2
	v_mul_u32_u24_e32 v3, 0x10001, v5
	s_waitcnt lgkmcnt(0)
	v_pk_fma_f16 v10, v6, v3, v11
	v_pk_fma_f16 v11, v7, v3, v20
	v_pk_fma_f16 v20, v8, v3, v21
	ds_read2_b64 v[5:8], v31 offset0:128 offset1:160
	v_pk_fma_f16 v9, v9, v3, v2
	v_mul_u32_u24_e32 v21, 0x10001, v4
	s_waitcnt lgkmcnt(0)
	s_barrier
	v_pk_fma_f16 v2, v5, v21, v10
	v_pk_fma_f16 v3, v6, v21, v11
	;; [unrolled: 1-line block ×4, first 2 shown]
	v_mov_b32_e32 v7, v19
.LBB52_26:
	v_cmp_lt_i32_e32 vcc, v14, v13
	v_cndmask_b32_e32 v6, v12, v14, vcc
	v_lshlrev_b32_e32 v6, 2, v6
	ds_bpermute_b32 v6, v6, v36
	v_cmp_lt_i32_e32 vcc, v15, v13
	v_cndmask_b32_e32 v8, v12, v15, vcc
	v_lshlrev_b32_e32 v8, 2, v8
	v_cmp_lt_i32_e32 vcc, v16, v13
	s_waitcnt lgkmcnt(0)
	v_add_f32_e32 v6, v36, v6
	ds_bpermute_b32 v8, v8, v6
	v_cndmask_b32_e32 v9, v12, v16, vcc
	v_lshlrev_b32_e32 v9, 2, v9
	v_cmp_lt_i32_e32 vcc, v17, v13
	v_cmp_ne_u32_e64 s[6:7], 0, v37
	s_waitcnt lgkmcnt(0)
	v_add_f32_e32 v6, v6, v8
	ds_bpermute_b32 v8, v9, v6
	v_cndmask_b32_e32 v9, v12, v17, vcc
	v_lshlrev_b32_e32 v9, 2, v9
	v_cmp_lt_i32_e32 vcc, v18, v13
	s_waitcnt lgkmcnt(0)
	v_add_f32_e32 v6, v6, v8
	ds_bpermute_b32 v8, v9, v6
	v_cndmask_b32_e32 v9, v12, v18, vcc
	v_lshlrev_b32_e32 v9, 2, v9
	v_cmp_eq_u32_e32 vcc, 0, v37
	s_waitcnt lgkmcnt(0)
	v_add_f32_e32 v6, v6, v8
	ds_bpermute_b32 v8, v9, v6
	s_waitcnt lgkmcnt(0)
	v_add_f32_e32 v8, v6, v8
	s_and_saveexec_b64 s[10:11], s[6:7]
	s_xor_b64 s[10:11], exec, s[10:11]
	s_cbranch_execnz .LBB52_30
; %bb.27:
	s_andn2_saveexec_b64 s[6:7], s[10:11]
	s_cbranch_execnz .LBB52_33
.LBB52_28:
	s_or_b64 exec, exec, s[6:7]
	s_and_saveexec_b64 s[6:7], vcc
	s_cbranch_execnz .LBB52_34
.LBB52_29:
	s_endpgm
.LBB52_30:
	v_lshl_add_u32 v6, v1, 9, v35
	v_cmp_eq_u32_e64 s[6:7], 0, v0
	ds_write_b128 v6, v[2:5]
	s_and_saveexec_b64 s[12:13], s[6:7]
; %bb.31:
	v_lshlrev_b32_e32 v1, 2, v1
	ds_write_b32 v1, v8 offset:17408
; %bb.32:
	s_or_b64 exec, exec, s[12:13]
                                        ; implicit-def: $vgpr1
                                        ; implicit-def: $vgpr35
	s_andn2_saveexec_b64 s[6:7], s[10:11]
	s_cbranch_execz .LBB52_28
.LBB52_33:
	v_lshl_add_u32 v6, v1, 9, v35
	v_lshlrev_b32_e32 v1, 2, v1
	s_waitcnt lgkmcnt(0)
	s_barrier
	ds_read_b128 v[9:12], v6 offset:512
	ds_read_b32 v1, v1 offset:17412
	s_waitcnt lgkmcnt(1)
	v_pk_add_f16 v2, v9, v2
	v_pk_add_f16 v3, v10, v3
	;; [unrolled: 1-line block ×4, first 2 shown]
	s_waitcnt lgkmcnt(0)
	v_add_f32_e32 v8, v8, v1
	s_or_b64 exec, exec, s[6:7]
	s_and_saveexec_b64 s[6:7], vcc
	s_cbranch_execz .LBB52_29
.LBB52_34:
	s_cmp_eq_u64 s[20:21], 0
	s_cselect_b64 s[6:7], -1, 0
	s_cmp_lg_u32 s9, 0
	s_cselect_b64 s[10:11], -1, 0
	s_or_b64 s[6:7], s[10:11], s[6:7]
	s_and_b64 vcc, exec, s[6:7]
	s_cbranch_vccnz .LBB52_36
; %bb.35:
	s_lshl_b64 s[6:7], s[34:35], 2
	s_add_u32 s6, s20, s6
	s_addc_u32 s7, s21, s7
	v_mov_b32_e32 v1, 0
	global_load_dword v1, v1, s[6:7]
	v_max_f32_e32 v6, v7, v7
	s_mov_b32 s6, 0x3fb8aa3b
	s_mov_b32 s7, 0xc2ce8ed0
	s_waitcnt vmcnt(0)
	v_max_f32_e32 v9, v1, v1
	v_max_f32_e32 v6, v6, v9
	v_sub_f32_e32 v7, v7, v6
	v_sub_f32_e32 v1, v1, v6
	v_mul_f32_e32 v9, 0x3fb8aa3b, v7
	v_mul_f32_e32 v10, 0x3fb8aa3b, v1
	v_fma_f32 v11, v7, s6, -v9
	v_rndne_f32_e32 v12, v9
	v_fma_f32 v13, v1, s6, -v10
	v_rndne_f32_e32 v14, v10
	v_fmac_f32_e32 v11, 0x32a5705f, v7
	v_sub_f32_e32 v9, v9, v12
	v_fmac_f32_e32 v13, 0x32a5705f, v1
	v_sub_f32_e32 v10, v10, v14
	v_add_f32_e32 v9, v9, v11
	v_cvt_i32_f32_e32 v12, v12
	v_add_f32_e32 v10, v10, v13
	v_exp_f32_e32 v9, v9
	v_cvt_i32_f32_e32 v14, v14
	v_exp_f32_e32 v10, v10
	v_cmp_ngt_f32_e32 vcc, s7, v7
	v_ldexp_f32 v9, v9, v12
	s_mov_b32 s6, 0x42b17218
	v_ldexp_f32 v10, v10, v14
	v_cndmask_b32_e32 v9, 0, v9, vcc
	v_cmp_ngt_f32_e32 vcc, s7, v1
	v_mov_b32_e32 v11, 0x7f800000
	v_cndmask_b32_e32 v10, 0, v10, vcc
	v_cmp_nlt_f32_e32 vcc, s6, v7
	v_cndmask_b32_e32 v7, v11, v9, vcc
	v_cvt_f16_f32_e32 v9, v7
	v_cmp_nlt_f32_e32 vcc, s6, v1
	v_cndmask_b32_e32 v1, v11, v10, vcc
	v_fmac_f32_e32 v1, v8, v7
	v_mov_b32_e32 v8, v1
	v_mul_u32_u24_e32 v1, 0x10001, v9
	v_pk_mul_f16 v2, v2, v1
	v_pk_mul_f16 v3, v3, v1
	;; [unrolled: 1-line block ×4, first 2 shown]
	v_mov_b32_e32 v7, v6
.LBB52_36:
	v_cmp_gt_i32_e32 vcc, s30, v33
	s_and_b64 exec, exec, vcc
	s_cbranch_execz .LBB52_29
; %bb.37:
	v_div_scale_f32 v1, s[6:7], v8, v8, 1.0
	v_div_scale_f32 v6, vcc, 1.0, v8, 1.0
	s_load_dword s6, s[4:5], 0xd4
	v_cmp_eq_u32_e64 s[4:5], 0, v0
	s_mul_i32 s33, s33, s30
	v_cvt_f32_f16_sdwa v10, v2 dst_sel:DWORD dst_unused:UNUSED_PAD src0_sel:WORD_1
	v_cvt_f32_f16_e32 v13, v2
	v_add_u32_e32 v2, s33, v33
	v_mul_lo_u32 v2, v2, s31
	v_cvt_f32_f16_sdwa v9, v3 dst_sel:DWORD dst_unused:UNUSED_PAD src0_sel:WORD_1
	v_cvt_f32_f16_e32 v3, v3
	v_cvt_f32_f16_sdwa v14, v5 dst_sel:DWORD dst_unused:UNUSED_PAD src0_sel:WORD_1
	v_cvt_f32_f16_e32 v15, v5
	s_waitcnt lgkmcnt(0)
	s_cmp_lg_u32 s6, 1
	v_rcp_f32_e32 v0, v1
	v_cvt_f32_f16_sdwa v16, v4 dst_sel:DWORD dst_unused:UNUSED_PAD src0_sel:WORD_1
	v_fma_f32 v11, -v1, v0, 1.0
	v_fmac_f32_e32 v0, v11, v0
	v_mul_f32_e32 v11, v6, v0
	v_fma_f32 v12, -v1, v11, v6
	v_fmac_f32_e32 v11, v12, v0
	v_fma_f32 v1, -v1, v11, v6
	v_div_fmas_f32 v11, v1, v0, v11
	v_add_u32_e32 v0, s34, v2
	v_mul_lo_u32 v0, s6, v0
	v_mov_b32_e32 v6, 0
	s_cselect_b64 s[6:7], -1, 0
	v_mov_b32_e32 v12, s25
	v_add_u32_e32 v0, s9, v0
	v_lshl_add_u32 v5, v0, 8, v34
	v_lshlrev_b64 v[1:2], 2, v[5:6]
	v_add_u32_e32 v5, 0x80, v5
	v_add_co_u32_e32 v1, vcc, s24, v1
	v_addc_co_u32_e32 v2, vcc, v12, v2, vcc
	v_lshlrev_b64 v[5:6], 2, v[5:6]
	s_and_b64 s[4:5], s[4:5], s[6:7]
	v_div_fixup_f32 v11, v11, v8, 1.0
	v_cndmask_b32_e64 v17, v11, 1.0, s[6:7]
	v_mul_f32_e32 v12, v17, v9
	v_mul_f32_e32 v11, v17, v3
	;; [unrolled: 1-line block ×4, first 2 shown]
	global_store_dwordx4 v[1:2], v[9:12], off
	v_cvt_f32_f16_e32 v1, v4
	v_mov_b32_e32 v9, s25
	v_add_co_u32_e32 v5, vcc, s24, v5
	v_mul_f32_e32 v4, v17, v14
	v_mul_f32_e32 v3, v17, v15
	;; [unrolled: 1-line block ×4, first 2 shown]
	v_addc_co_u32_e32 v6, vcc, v9, v6, vcc
	global_store_dwordx4 v[5:6], v[1:4], off
	s_and_b64 exec, exec, s[4:5]
	s_cbranch_execz .LBB52_29
; %bb.38:
	v_ashrrev_i32_e32 v1, 31, v0
	v_lshlrev_b64 v[0:1], 3, v[0:1]
	v_mov_b32_e32 v2, s27
	v_add_co_u32_e32 v0, vcc, s26, v0
	v_addc_co_u32_e32 v1, vcc, v2, v1, vcc
	global_store_dwordx2 v[0:1], v[7:8], off
	s_endpgm
	.section	.rodata,"a",@progbits
	.p2align	6, 0x0
	.amdhsa_kernel _ZL15flash_attn_tileILi256ELi256ELi4ELi1ELb0EEvPKcS1_S1_S1_S1_PKiPfP15HIP_vector_typeIfLj2EEffffjfiS5_IjLj3EEiiiiiiiiiiiliiliiiiil
		.amdhsa_group_segment_fixed_size 20032
		.amdhsa_private_segment_fixed_size 32
		.amdhsa_kernarg_size 464
		.amdhsa_user_sgpr_count 8
		.amdhsa_user_sgpr_private_segment_buffer 1
		.amdhsa_user_sgpr_dispatch_ptr 0
		.amdhsa_user_sgpr_queue_ptr 0
		.amdhsa_user_sgpr_kernarg_segment_ptr 1
		.amdhsa_user_sgpr_dispatch_id 0
		.amdhsa_user_sgpr_flat_scratch_init 1
		.amdhsa_user_sgpr_private_segment_size 0
		.amdhsa_uses_dynamic_stack 0
		.amdhsa_system_sgpr_private_segment_wavefront_offset 1
		.amdhsa_system_sgpr_workgroup_id_x 1
		.amdhsa_system_sgpr_workgroup_id_y 1
		.amdhsa_system_sgpr_workgroup_id_z 1
		.amdhsa_system_sgpr_workgroup_info 0
		.amdhsa_system_vgpr_workitem_id 1
		.amdhsa_next_free_vgpr 106
		.amdhsa_next_free_sgpr 96
		.amdhsa_reserve_vcc 1
		.amdhsa_reserve_flat_scratch 1
		.amdhsa_float_round_mode_32 0
		.amdhsa_float_round_mode_16_64 0
		.amdhsa_float_denorm_mode_32 3
		.amdhsa_float_denorm_mode_16_64 3
		.amdhsa_dx10_clamp 1
		.amdhsa_ieee_mode 1
		.amdhsa_fp16_overflow 0
		.amdhsa_exception_fp_ieee_invalid_op 0
		.amdhsa_exception_fp_denorm_src 0
		.amdhsa_exception_fp_ieee_div_zero 0
		.amdhsa_exception_fp_ieee_overflow 0
		.amdhsa_exception_fp_ieee_underflow 0
		.amdhsa_exception_fp_ieee_inexact 0
		.amdhsa_exception_int_div_zero 0
	.end_amdhsa_kernel
	.section	.text._ZL15flash_attn_tileILi256ELi256ELi4ELi1ELb0EEvPKcS1_S1_S1_S1_PKiPfP15HIP_vector_typeIfLj2EEffffjfiS5_IjLj3EEiiiiiiiiiiiliiliiiiil,"axG",@progbits,_ZL15flash_attn_tileILi256ELi256ELi4ELi1ELb0EEvPKcS1_S1_S1_S1_PKiPfP15HIP_vector_typeIfLj2EEffffjfiS5_IjLj3EEiiiiiiiiiiiliiliiiiil,comdat
.Lfunc_end52:
	.size	_ZL15flash_attn_tileILi256ELi256ELi4ELi1ELb0EEvPKcS1_S1_S1_S1_PKiPfP15HIP_vector_typeIfLj2EEffffjfiS5_IjLj3EEiiiiiiiiiiiliiliiiiil, .Lfunc_end52-_ZL15flash_attn_tileILi256ELi256ELi4ELi1ELb0EEvPKcS1_S1_S1_S1_PKiPfP15HIP_vector_typeIfLj2EEffffjfiS5_IjLj3EEiiiiiiiiiiiliiliiiiil
                                        ; -- End function
	.set _ZL15flash_attn_tileILi256ELi256ELi4ELi1ELb0EEvPKcS1_S1_S1_S1_PKiPfP15HIP_vector_typeIfLj2EEffffjfiS5_IjLj3EEiiiiiiiiiiiliiliiiiil.num_vgpr, 106
	.set _ZL15flash_attn_tileILi256ELi256ELi4ELi1ELb0EEvPKcS1_S1_S1_S1_PKiPfP15HIP_vector_typeIfLj2EEffffjfiS5_IjLj3EEiiiiiiiiiiiliiliiiiil.num_agpr, 0
	.set _ZL15flash_attn_tileILi256ELi256ELi4ELi1ELb0EEvPKcS1_S1_S1_S1_PKiPfP15HIP_vector_typeIfLj2EEffffjfiS5_IjLj3EEiiiiiiiiiiiliiliiiiil.numbered_sgpr, 52
	.set _ZL15flash_attn_tileILi256ELi256ELi4ELi1ELb0EEvPKcS1_S1_S1_S1_PKiPfP15HIP_vector_typeIfLj2EEffffjfiS5_IjLj3EEiiiiiiiiiiiliiliiiiil.num_named_barrier, 0
	.set _ZL15flash_attn_tileILi256ELi256ELi4ELi1ELb0EEvPKcS1_S1_S1_S1_PKiPfP15HIP_vector_typeIfLj2EEffffjfiS5_IjLj3EEiiiiiiiiiiiliiliiiiil.private_seg_size, 32
	.set _ZL15flash_attn_tileILi256ELi256ELi4ELi1ELb0EEvPKcS1_S1_S1_S1_PKiPfP15HIP_vector_typeIfLj2EEffffjfiS5_IjLj3EEiiiiiiiiiiiliiliiiiil.uses_vcc, 1
	.set _ZL15flash_attn_tileILi256ELi256ELi4ELi1ELb0EEvPKcS1_S1_S1_S1_PKiPfP15HIP_vector_typeIfLj2EEffffjfiS5_IjLj3EEiiiiiiiiiiiliiliiiiil.uses_flat_scratch, 1
	.set _ZL15flash_attn_tileILi256ELi256ELi4ELi1ELb0EEvPKcS1_S1_S1_S1_PKiPfP15HIP_vector_typeIfLj2EEffffjfiS5_IjLj3EEiiiiiiiiiiiliiliiiiil.has_dyn_sized_stack, 0
	.set _ZL15flash_attn_tileILi256ELi256ELi4ELi1ELb0EEvPKcS1_S1_S1_S1_PKiPfP15HIP_vector_typeIfLj2EEffffjfiS5_IjLj3EEiiiiiiiiiiiliiliiiiil.has_recursion, 0
	.set _ZL15flash_attn_tileILi256ELi256ELi4ELi1ELb0EEvPKcS1_S1_S1_S1_PKiPfP15HIP_vector_typeIfLj2EEffffjfiS5_IjLj3EEiiiiiiiiiiiliiliiiiil.has_indirect_call, 0
	.section	.AMDGPU.csdata,"",@progbits
; Kernel info:
; codeLenInByte = 14832
; TotalNumSgprs: 58
; NumVgprs: 106
; ScratchSize: 32
; MemoryBound: 0
; FloatMode: 240
; IeeeMode: 1
; LDSByteSize: 20032 bytes/workgroup (compile time only)
; SGPRBlocks: 12
; VGPRBlocks: 26
; NumSGPRsForWavesPerEU: 102
; NumVGPRsForWavesPerEU: 106
; Occupancy: 2
; WaveLimiterHint : 1
; COMPUTE_PGM_RSRC2:SCRATCH_EN: 1
; COMPUTE_PGM_RSRC2:USER_SGPR: 8
; COMPUTE_PGM_RSRC2:TRAP_HANDLER: 0
; COMPUTE_PGM_RSRC2:TGID_X_EN: 1
; COMPUTE_PGM_RSRC2:TGID_Y_EN: 1
; COMPUTE_PGM_RSRC2:TGID_Z_EN: 1
; COMPUTE_PGM_RSRC2:TIDIG_COMP_CNT: 1
	.section	.text._ZL33flash_attn_stream_k_fixup_uniformILi256ELi4ELi1EEvPfPK15HIP_vector_typeIfLj2EEiiiiiiS1_IjLj3EES5_S5_,"axG",@progbits,_ZL33flash_attn_stream_k_fixup_uniformILi256ELi4ELi1EEvPfPK15HIP_vector_typeIfLj2EEiiiiiiS1_IjLj3EES5_S5_,comdat
	.globl	_ZL33flash_attn_stream_k_fixup_uniformILi256ELi4ELi1EEvPfPK15HIP_vector_typeIfLj2EEiiiiiiS1_IjLj3EES5_S5_ ; -- Begin function _ZL33flash_attn_stream_k_fixup_uniformILi256ELi4ELi1EEvPfPK15HIP_vector_typeIfLj2EEiiiiiiS1_IjLj3EES5_S5_
	.p2align	8
	.type	_ZL33flash_attn_stream_k_fixup_uniformILi256ELi4ELi1EEvPfPK15HIP_vector_typeIfLj2EEiiiiiiS1_IjLj3EES5_S5_,@function
_ZL33flash_attn_stream_k_fixup_uniformILi256ELi4ELi1EEvPfPK15HIP_vector_typeIfLj2EEiiiiiiS1_IjLj3EES5_S5_: ; @_ZL33flash_attn_stream_k_fixup_uniformILi256ELi4ELi1EEvPfPK15HIP_vector_typeIfLj2EEiiiiiiS1_IjLj3EES5_S5_
; %bb.0:
	s_load_dwordx8 s[12:19], s[4:5], 0x1c
	s_load_dwordx2 s[10:11], s[4:5], 0x10
	s_load_dwordx4 s[0:3], s[4:5], 0x3c
	s_waitcnt lgkmcnt(0)
	s_mul_hi_u32 s9, s15, s6
	s_add_i32 s9, s6, s9
	s_lshr_b32 s9, s9, s16
	s_mul_i32 s15, s9, s17
	s_sub_i32 s15, s6, s15
	s_mul_hi_u32 s16, s15, s18
	s_add_i32 s16, s15, s16
	s_lshr_b32 s16, s16, s19
	s_mul_i32 s0, s16, s0
	s_sub_i32 s0, s15, s0
	;; [unrolled: 5-line block ×3, first 2 shown]
	s_lshl_b32 s0, s17, 2
	s_add_i32 s0, s0, s7
	s_cmp_lt_i32 s0, s10
	s_cselect_b64 s[0:1], -1, 0
	s_add_i32 s2, s15, s8
	s_cmp_lt_i32 s2, s13
	s_cselect_b64 s[2:3], -1, 0
	s_and_b64 s[0:1], s[0:1], s[2:3]
	s_andn2_b64 vcc, exec, s[0:1]
	s_cbranch_vccnz .LBB53_6
; %bb.1:
	s_load_dwordx4 s[0:3], s[4:5], 0x0
	s_mul_i32 s4, s9, s10
	s_add_i32 s4, s4, s7
	s_mul_i32 s4, s4, s11
	s_mul_i32 s16, s16, s13
	s_add_i32 s4, s4, s8
	s_add_i32 s4, s4, s16
	s_mul_i32 s5, s11, s17
	s_add_i32 s4, s4, s15
	s_lshl_b32 s5, s5, 10
	s_lshl_b32 s4, s4, 8
	s_add_i32 s5, s5, s4
	v_or_b32_e32 v1, s5, v0
	v_ashrrev_i32_e32 v2, 31, v1
	v_lshlrev_b64 v[1:2], 2, v[1:2]
	s_waitcnt lgkmcnt(0)
	v_mov_b32_e32 v3, s1
	v_add_co_u32_e32 v1, vcc, s0, v1
	v_addc_co_u32_e32 v2, vcc, v3, v2, vcc
	global_load_dword v8, v[1:2], off
	s_add_i32 s4, s7, s8
	s_mul_i32 s7, s14, s6
	s_add_i32 s5, s7, s14
	s_lshl_b32 s0, s5, 2
	s_add_i32 s0, s4, s0
	s_add_i32 s0, s0, -4
	s_ashr_i32 s1, s0, 31
	s_lshl_b64 s[0:1], s[0:1], 3
	s_add_u32 s0, s2, s0
	s_addc_u32 s1, s3, s1
	s_load_dword s10, s[0:1], 0x4
	s_add_i32 s8, s5, -2
	s_cmp_lt_i32 s8, s7
	s_cbranch_scc1 .LBB53_4
; %bb.2:
	s_lshl_b32 s8, s12, 4
	s_ashr_i32 s9, s8, 31
	s_lshl_b64 s[8:9], s[8:9], 2
	s_add_u32 s8, s2, s8
	s_addc_u32 s11, s3, s9
	s_add_i32 s6, s6, 1
	s_add_i32 s9, s5, -1
	s_mul_i32 s5, s14, s6
	s_load_dword s0, s[0:1], 0x0
	s_lshl_b32 s1, s4, 8
	s_lshl_b32 s6, s5, 10
	s_add_i32 s1, s1, s6
	v_or_b32_e32 v0, s1, v0
	s_lshl_b32 s1, s5, 2
	s_add_i32 s1, s4, s1
	s_lshl_b32 s4, s12, 2
	s_add_i32 s1, s1, s4
	v_add_u32_e32 v3, 0xfffff800, v0
	s_add_i32 s4, s1, -8
	s_waitcnt lgkmcnt(0)
	v_mov_b32_e32 v7, s10
	v_mov_b32_e32 v6, s0
	;; [unrolled: 1-line block ×3, first 2 shown]
	s_mov_b32 s6, 0x3fb8aa3b
	s_mov_b32 s10, 0xc2ce8ed0
	;; [unrolled: 1-line block ×3, first 2 shown]
	v_mov_b32_e32 v5, 0x7f800000
	s_mov_b32 s12, 0xc1a00000
.LBB53_3:                               ; =>This Inner Loop Header: Depth=1
	v_ashrrev_i32_e32 v4, 31, v3
	v_lshlrev_b64 v[9:10], 2, v[3:4]
	s_ashr_i32 s5, s4, 31
	v_add_co_u32_e32 v9, vcc, s8, v9
	v_addc_co_u32_e32 v10, vcc, v0, v10, vcc
	global_load_dword v4, v[9:10], off
	s_lshl_b64 s[0:1], s[4:5], 3
	s_add_u32 s0, s2, s0
	s_addc_u32 s1, s3, s1
	s_load_dwordx2 s[14:15], s[0:1], 0x0
	s_waitcnt vmcnt(1)
	v_mov_b32_e32 v9, v8
	v_max_f32_e32 v8, v6, v6
	v_mov_b32_e32 v10, v7
	s_add_i32 s9, s9, -1
	s_waitcnt lgkmcnt(0)
	v_max_f32_e64 v7, s14, s14
	v_max_f32_e32 v7, v8, v7
	v_sub_f32_e32 v11, s14, v7
	v_sub_f32_e32 v8, v6, v7
	v_mul_f32_e32 v12, 0x3fb8aa3b, v11
	v_mov_b32_e32 v6, v7
	v_mul_f32_e32 v7, 0x3fb8aa3b, v8
	v_fma_f32 v15, v11, s6, -v12
	v_rndne_f32_e32 v16, v12
	v_fma_f32 v13, v8, s6, -v7
	v_rndne_f32_e32 v14, v7
	v_fmac_f32_e32 v15, 0x32a5705f, v11
	v_sub_f32_e32 v12, v12, v16
	v_fmac_f32_e32 v13, 0x32a5705f, v8
	v_sub_f32_e32 v7, v7, v14
	v_add_f32_e32 v12, v12, v15
	v_cvt_i32_f32_e32 v16, v16
	v_add_f32_e32 v7, v7, v13
	v_exp_f32_e32 v12, v12
	v_cvt_i32_f32_e32 v14, v14
	v_exp_f32_e32 v7, v7
	v_cmp_ngt_f32_e32 vcc, s10, v11
	v_ldexp_f32 v12, v12, v16
	v_cmp_ngt_f32_e64 s[0:1], s10, v8
	v_ldexp_f32 v7, v7, v14
	v_cndmask_b32_e32 v12, 0, v12, vcc
	v_cmp_nlt_f32_e32 vcc, s11, v11
	v_cndmask_b32_e64 v7, 0, v7, s[0:1]
	v_cmp_nlt_f32_e64 s[0:1], s11, v8
	v_cndmask_b32_e32 v12, v5, v12, vcc
	v_cmp_le_f32_e32 vcc, s12, v11
	v_cndmask_b32_e64 v7, v5, v7, s[0:1]
	v_cmp_le_f32_e64 s[0:1], s12, v8
	v_cndmask_b32_e32 v8, 0, v12, vcc
	s_add_i32 s4, s4, -4
	v_cndmask_b32_e64 v11, 0, v7, s[0:1]
	v_mul_f32_e32 v7, s15, v8
	v_add_u32_e32 v3, 0xfffffc00, v3
	s_cmp_le_i32 s9, s7
	v_fmac_f32_e32 v7, v10, v11
	s_waitcnt vmcnt(0)
	v_mul_f32_e32 v8, v4, v8
	v_fmac_f32_e32 v8, v9, v11
	s_cbranch_scc0 .LBB53_3
	s_branch .LBB53_5
.LBB53_4:
	s_waitcnt lgkmcnt(0)
	v_mov_b32_e32 v7, s10
.LBB53_5:
	s_waitcnt vmcnt(0)
	v_div_scale_f32 v0, s[0:1], v7, v7, v8
	v_div_scale_f32 v3, vcc, v8, v7, v8
	v_rcp_f32_e32 v4, v0
	v_fma_f32 v5, -v0, v4, 1.0
	v_fmac_f32_e32 v4, v5, v4
	v_mul_f32_e32 v5, v3, v4
	v_fma_f32 v6, -v0, v5, v3
	v_fmac_f32_e32 v5, v6, v4
	v_fma_f32 v0, -v0, v5, v3
	v_div_fmas_f32 v0, v0, v4, v5
	v_div_fixup_f32 v0, v0, v7, v8
	global_store_dword v[1:2], v0, off
.LBB53_6:
	s_endpgm
	.section	.rodata,"a",@progbits
	.p2align	6, 0x0
	.amdhsa_kernel _ZL33flash_attn_stream_k_fixup_uniformILi256ELi4ELi1EEvPfPK15HIP_vector_typeIfLj2EEiiiiiiS1_IjLj3EES5_S5_
		.amdhsa_group_segment_fixed_size 0
		.amdhsa_private_segment_fixed_size 0
		.amdhsa_kernarg_size 76
		.amdhsa_user_sgpr_count 6
		.amdhsa_user_sgpr_private_segment_buffer 1
		.amdhsa_user_sgpr_dispatch_ptr 0
		.amdhsa_user_sgpr_queue_ptr 0
		.amdhsa_user_sgpr_kernarg_segment_ptr 1
		.amdhsa_user_sgpr_dispatch_id 0
		.amdhsa_user_sgpr_flat_scratch_init 0
		.amdhsa_user_sgpr_private_segment_size 0
		.amdhsa_uses_dynamic_stack 0
		.amdhsa_system_sgpr_private_segment_wavefront_offset 0
		.amdhsa_system_sgpr_workgroup_id_x 1
		.amdhsa_system_sgpr_workgroup_id_y 1
		.amdhsa_system_sgpr_workgroup_id_z 1
		.amdhsa_system_sgpr_workgroup_info 0
		.amdhsa_system_vgpr_workitem_id 0
		.amdhsa_next_free_vgpr 17
		.amdhsa_next_free_sgpr 20
		.amdhsa_reserve_vcc 1
		.amdhsa_reserve_flat_scratch 0
		.amdhsa_float_round_mode_32 0
		.amdhsa_float_round_mode_16_64 0
		.amdhsa_float_denorm_mode_32 3
		.amdhsa_float_denorm_mode_16_64 3
		.amdhsa_dx10_clamp 1
		.amdhsa_ieee_mode 1
		.amdhsa_fp16_overflow 0
		.amdhsa_exception_fp_ieee_invalid_op 0
		.amdhsa_exception_fp_denorm_src 0
		.amdhsa_exception_fp_ieee_div_zero 0
		.amdhsa_exception_fp_ieee_overflow 0
		.amdhsa_exception_fp_ieee_underflow 0
		.amdhsa_exception_fp_ieee_inexact 0
		.amdhsa_exception_int_div_zero 0
	.end_amdhsa_kernel
	.section	.text._ZL33flash_attn_stream_k_fixup_uniformILi256ELi4ELi1EEvPfPK15HIP_vector_typeIfLj2EEiiiiiiS1_IjLj3EES5_S5_,"axG",@progbits,_ZL33flash_attn_stream_k_fixup_uniformILi256ELi4ELi1EEvPfPK15HIP_vector_typeIfLj2EEiiiiiiS1_IjLj3EES5_S5_,comdat
.Lfunc_end53:
	.size	_ZL33flash_attn_stream_k_fixup_uniformILi256ELi4ELi1EEvPfPK15HIP_vector_typeIfLj2EEiiiiiiS1_IjLj3EES5_S5_, .Lfunc_end53-_ZL33flash_attn_stream_k_fixup_uniformILi256ELi4ELi1EEvPfPK15HIP_vector_typeIfLj2EEiiiiiiS1_IjLj3EES5_S5_
                                        ; -- End function
	.set _ZL33flash_attn_stream_k_fixup_uniformILi256ELi4ELi1EEvPfPK15HIP_vector_typeIfLj2EEiiiiiiS1_IjLj3EES5_S5_.num_vgpr, 17
	.set _ZL33flash_attn_stream_k_fixup_uniformILi256ELi4ELi1EEvPfPK15HIP_vector_typeIfLj2EEiiiiiiS1_IjLj3EES5_S5_.num_agpr, 0
	.set _ZL33flash_attn_stream_k_fixup_uniformILi256ELi4ELi1EEvPfPK15HIP_vector_typeIfLj2EEiiiiiiS1_IjLj3EES5_S5_.numbered_sgpr, 20
	.set _ZL33flash_attn_stream_k_fixup_uniformILi256ELi4ELi1EEvPfPK15HIP_vector_typeIfLj2EEiiiiiiS1_IjLj3EES5_S5_.num_named_barrier, 0
	.set _ZL33flash_attn_stream_k_fixup_uniformILi256ELi4ELi1EEvPfPK15HIP_vector_typeIfLj2EEiiiiiiS1_IjLj3EES5_S5_.private_seg_size, 0
	.set _ZL33flash_attn_stream_k_fixup_uniformILi256ELi4ELi1EEvPfPK15HIP_vector_typeIfLj2EEiiiiiiS1_IjLj3EES5_S5_.uses_vcc, 1
	.set _ZL33flash_attn_stream_k_fixup_uniformILi256ELi4ELi1EEvPfPK15HIP_vector_typeIfLj2EEiiiiiiS1_IjLj3EES5_S5_.uses_flat_scratch, 0
	.set _ZL33flash_attn_stream_k_fixup_uniformILi256ELi4ELi1EEvPfPK15HIP_vector_typeIfLj2EEiiiiiiS1_IjLj3EES5_S5_.has_dyn_sized_stack, 0
	.set _ZL33flash_attn_stream_k_fixup_uniformILi256ELi4ELi1EEvPfPK15HIP_vector_typeIfLj2EEiiiiiiS1_IjLj3EES5_S5_.has_recursion, 0
	.set _ZL33flash_attn_stream_k_fixup_uniformILi256ELi4ELi1EEvPfPK15HIP_vector_typeIfLj2EEiiiiiiS1_IjLj3EES5_S5_.has_indirect_call, 0
	.section	.AMDGPU.csdata,"",@progbits
; Kernel info:
; codeLenInByte = 836
; TotalNumSgprs: 24
; NumVgprs: 17
; ScratchSize: 0
; MemoryBound: 0
; FloatMode: 240
; IeeeMode: 1
; LDSByteSize: 0 bytes/workgroup (compile time only)
; SGPRBlocks: 2
; VGPRBlocks: 4
; NumSGPRsForWavesPerEU: 24
; NumVGPRsForWavesPerEU: 17
; Occupancy: 10
; WaveLimiterHint : 0
; COMPUTE_PGM_RSRC2:SCRATCH_EN: 0
; COMPUTE_PGM_RSRC2:USER_SGPR: 6
; COMPUTE_PGM_RSRC2:TRAP_HANDLER: 0
; COMPUTE_PGM_RSRC2:TGID_X_EN: 1
; COMPUTE_PGM_RSRC2:TGID_Y_EN: 1
; COMPUTE_PGM_RSRC2:TGID_Z_EN: 1
; COMPUTE_PGM_RSRC2:TIDIG_COMP_CNT: 0
	.section	.text._ZL33flash_attn_stream_k_fixup_generalILi256ELi4ELi1EEvPfPK15HIP_vector_typeIfLj2EEiiiiS1_IjLj3EES5_S5_S5_,"axG",@progbits,_ZL33flash_attn_stream_k_fixup_generalILi256ELi4ELi1EEvPfPK15HIP_vector_typeIfLj2EEiiiiS1_IjLj3EES5_S5_S5_,comdat
	.globl	_ZL33flash_attn_stream_k_fixup_generalILi256ELi4ELi1EEvPfPK15HIP_vector_typeIfLj2EEiiiiS1_IjLj3EES5_S5_S5_ ; -- Begin function _ZL33flash_attn_stream_k_fixup_generalILi256ELi4ELi1EEvPfPK15HIP_vector_typeIfLj2EEiiiiS1_IjLj3EES5_S5_S5_
	.p2align	8
	.type	_ZL33flash_attn_stream_k_fixup_generalILi256ELi4ELi1EEvPfPK15HIP_vector_typeIfLj2EEiiiiS1_IjLj3EES5_S5_S5_,@function
_ZL33flash_attn_stream_k_fixup_generalILi256ELi4ELi1EEvPfPK15HIP_vector_typeIfLj2EEiiiiS1_IjLj3EES5_S5_S5_: ; @_ZL33flash_attn_stream_k_fixup_generalILi256ELi4ELi1EEvPfPK15HIP_vector_typeIfLj2EEiiiiS1_IjLj3EES5_S5_S5_
; %bb.0:
	s_load_dwordx4 s[0:3], s[4:5], 0x10
	s_load_dword s22, s[4:5], 0x50
	s_mov_b32 s12, 0
	s_waitcnt lgkmcnt(0)
	s_mul_hi_i32 s13, s3, s6
	s_cmp_lg_u64 s[12:13], 0
	s_mul_i32 s9, s3, s6
	s_cbranch_scc0 .LBB54_20
; %bb.1:
	s_add_u32 s10, s22, 0
	s_addc_u32 s11, 0, 0
	s_xor_b64 s[10:11], s[10:11], 0
	v_cvt_f32_u32_e32 v1, s10
	v_cvt_f32_u32_e32 v2, s11
	s_sub_u32 s12, 0, s10
	s_subb_u32 s18, 0, s11
	v_madmk_f32 v1, v2, 0x4f800000, v1
	v_rcp_f32_e32 v1, v1
	v_mul_f32_e32 v1, 0x5f7ffffc, v1
	v_mul_f32_e32 v2, 0x2f800000, v1
	v_trunc_f32_e32 v2, v2
	v_madmk_f32 v1, v2, 0xcf800000, v1
	v_cvt_u32_f32_e32 v2, v2
	v_cvt_u32_f32_e32 v1, v1
	v_readfirstlane_b32 s19, v2
	v_readfirstlane_b32 s14, v1
	s_mul_i32 s15, s12, s19
	s_mul_hi_u32 s21, s12, s14
	s_mul_i32 s20, s18, s14
	s_add_i32 s15, s21, s15
	s_add_i32 s15, s15, s20
	s_mul_i32 s23, s12, s14
	s_mul_i32 s21, s14, s15
	s_mul_hi_u32 s24, s14, s23
	s_mul_hi_u32 s20, s14, s15
	s_add_u32 s21, s24, s21
	s_addc_u32 s20, 0, s20
	s_mul_hi_u32 s25, s19, s23
	s_mul_i32 s23, s19, s23
	s_add_u32 s21, s21, s23
	s_mul_hi_u32 s24, s19, s15
	s_addc_u32 s20, s20, s25
	s_addc_u32 s21, s24, 0
	s_mul_i32 s15, s19, s15
	s_add_u32 s15, s20, s15
	s_addc_u32 s20, 0, s21
	s_add_u32 s21, s14, s15
	s_cselect_b64 s[14:15], -1, 0
	s_cmp_lg_u64 s[14:15], 0
	s_addc_u32 s19, s19, s20
	s_mul_i32 s14, s12, s19
	s_mul_hi_u32 s15, s12, s21
	s_add_i32 s14, s15, s14
	s_mul_i32 s18, s18, s21
	s_add_i32 s14, s14, s18
	s_mul_i32 s12, s12, s21
	s_mul_hi_u32 s18, s19, s12
	s_mul_i32 s20, s19, s12
	s_mul_i32 s24, s21, s14
	s_mul_hi_u32 s12, s21, s12
	s_mul_hi_u32 s23, s21, s14
	s_add_u32 s12, s12, s24
	s_addc_u32 s23, 0, s23
	s_add_u32 s12, s12, s20
	s_mul_hi_u32 s15, s19, s14
	s_addc_u32 s12, s23, s18
	s_addc_u32 s15, s15, 0
	s_mul_i32 s14, s19, s14
	s_add_u32 s12, s12, s14
	s_addc_u32 s18, 0, s15
	s_add_u32 s20, s21, s12
	s_cselect_b64 s[14:15], -1, 0
	s_cmp_lg_u64 s[14:15], 0
	s_addc_u32 s18, s19, s18
	s_ashr_i32 s14, s13, 31
	s_add_u32 s12, s9, s14
	s_mov_b32 s15, s14
	s_addc_u32 s13, s13, s14
	s_xor_b64 s[12:13], s[12:13], s[14:15]
	s_mul_i32 s21, s12, s18
	s_mul_hi_u32 s23, s12, s20
	s_mul_hi_u32 s19, s12, s18
	s_add_u32 s21, s23, s21
	s_addc_u32 s19, 0, s19
	s_mul_hi_u32 s24, s13, s20
	s_mul_i32 s20, s13, s20
	s_add_u32 s20, s21, s20
	s_mul_hi_u32 s23, s13, s18
	s_addc_u32 s19, s19, s24
	s_addc_u32 s20, s23, 0
	s_mul_i32 s18, s13, s18
	s_add_u32 s23, s19, s18
	s_addc_u32 s24, 0, s20
	s_mul_i32 s18, s10, s24
	s_mul_hi_u32 s19, s10, s23
	s_add_i32 s18, s19, s18
	s_mul_i32 s19, s11, s23
	s_add_i32 s25, s18, s19
	s_sub_i32 s20, s13, s25
	s_mul_i32 s18, s10, s23
	s_sub_u32 s12, s12, s18
	s_cselect_b64 s[18:19], -1, 0
	s_cmp_lg_u64 s[18:19], 0
	s_subb_u32 s26, s20, s11
	s_sub_u32 s27, s12, s10
	s_cselect_b64 s[20:21], -1, 0
	s_cmp_lg_u64 s[20:21], 0
	s_subb_u32 s20, s26, 0
	s_cmp_ge_u32 s20, s11
	s_cselect_b32 s21, -1, 0
	s_cmp_ge_u32 s27, s10
	s_cselect_b32 s26, -1, 0
	s_cmp_eq_u32 s20, s11
	s_cselect_b32 s20, s26, s21
	s_add_u32 s21, s23, 1
	s_addc_u32 s26, s24, 0
	s_add_u32 s27, s23, 2
	s_addc_u32 s28, s24, 0
	s_cmp_lg_u32 s20, 0
	s_cselect_b32 s20, s27, s21
	s_cselect_b32 s21, s28, s26
	s_cmp_lg_u64 s[18:19], 0
	s_subb_u32 s13, s13, s25
	s_cmp_ge_u32 s13, s11
	s_cselect_b32 s18, -1, 0
	s_cmp_ge_u32 s12, s10
	s_cselect_b32 s10, -1, 0
	s_cmp_eq_u32 s13, s11
	s_cselect_b32 s10, s10, s18
	s_cmp_lg_u32 s10, 0
	s_cselect_b32 s11, s21, s24
	s_cselect_b32 s10, s20, s23
	s_xor_b64 s[12:13], s[14:15], 0
	s_xor_b64 s[10:11], s[10:11], s[12:13]
	s_sub_u32 s10, s10, s12
	s_load_dwordx4 s[12:15], s[4:5], 0x44
	s_cbranch_execnz .LBB54_3
.LBB54_2:
	v_cvt_f32_u32_e32 v1, s22
	s_sub_i32 s10, 0, s22
	v_rcp_iflag_f32_e32 v1, v1
	v_mul_f32_e32 v1, 0x4f7ffffe, v1
	v_cvt_u32_f32_e32 v1, v1
	v_readfirstlane_b32 s11, v1
	s_mul_i32 s10, s10, s11
	s_mul_hi_u32 s10, s11, s10
	s_add_i32 s11, s11, s10
	s_mul_hi_u32 s10, s9, s11
	s_waitcnt lgkmcnt(0)
	s_mul_i32 s15, s10, s22
	s_sub_i32 s9, s9, s15
	s_add_i32 s11, s10, 1
	s_sub_i32 s15, s9, s22
	s_cmp_ge_u32 s9, s22
	s_cselect_b32 s10, s11, s10
	s_cselect_b32 s9, s15, s9
	s_add_i32 s11, s10, 1
	s_cmp_ge_u32 s9, s22
	s_cselect_b32 s10, s11, s10
.LBB54_3:
	s_add_i32 s9, s6, 1
	s_mul_hi_i32 s21, s3, s9
	s_mov_b32 s20, 0
	s_cmp_lg_u64 s[20:21], 0
	s_mul_i32 s9, s3, s9
	s_cbranch_scc0 .LBB54_21
; %bb.4:
	s_add_u32 s16, s22, 0
	s_addc_u32 s17, 0, 0
	s_xor_b64 s[18:19], s[16:17], 0
	v_cvt_f32_u32_e32 v1, s18
	v_cvt_f32_u32_e32 v2, s19
	s_sub_u32 s11, 0, s18
	s_waitcnt lgkmcnt(0)
	s_subb_u32 s15, 0, s19
	v_madmk_f32 v1, v2, 0x4f800000, v1
	v_rcp_f32_e32 v1, v1
	v_mul_f32_e32 v1, 0x5f7ffffc, v1
	v_mul_f32_e32 v2, 0x2f800000, v1
	v_trunc_f32_e32 v2, v2
	v_madmk_f32 v1, v2, 0xcf800000, v1
	v_cvt_u32_f32_e32 v2, v2
	v_cvt_u32_f32_e32 v1, v1
	v_readfirstlane_b32 s20, v2
	v_readfirstlane_b32 s23, v1
	s_mul_i32 s24, s11, s20
	s_mul_hi_u32 s26, s11, s23
	s_mul_i32 s25, s15, s23
	s_add_i32 s24, s26, s24
	s_add_i32 s24, s24, s25
	s_mul_i32 s27, s11, s23
	s_mul_i32 s26, s23, s24
	s_mul_hi_u32 s28, s23, s27
	s_mul_hi_u32 s25, s23, s24
	s_add_u32 s26, s28, s26
	s_addc_u32 s25, 0, s25
	s_mul_hi_u32 s29, s20, s27
	s_mul_i32 s27, s20, s27
	s_add_u32 s26, s26, s27
	s_mul_hi_u32 s28, s20, s24
	s_addc_u32 s25, s25, s29
	s_addc_u32 s26, s28, 0
	s_mul_i32 s24, s20, s24
	s_add_u32 s24, s25, s24
	s_addc_u32 s26, 0, s26
	s_add_u32 s23, s23, s24
	s_cselect_b64 s[24:25], -1, 0
	s_cmp_lg_u64 s[24:25], 0
	s_addc_u32 s20, s20, s26
	s_mul_i32 s24, s11, s20
	s_mul_hi_u32 s25, s11, s23
	s_add_i32 s24, s25, s24
	s_mul_i32 s15, s15, s23
	s_add_i32 s24, s24, s15
	s_mul_i32 s11, s11, s23
	s_mul_hi_u32 s25, s20, s11
	s_mul_i32 s26, s20, s11
	s_mul_i32 s28, s23, s24
	s_mul_hi_u32 s11, s23, s11
	s_mul_hi_u32 s27, s23, s24
	s_add_u32 s11, s11, s28
	s_addc_u32 s27, 0, s27
	s_add_u32 s11, s11, s26
	s_mul_hi_u32 s15, s20, s24
	s_addc_u32 s11, s27, s25
	s_addc_u32 s15, s15, 0
	s_mul_i32 s24, s20, s24
	s_add_u32 s11, s11, s24
	s_addc_u32 s15, 0, s15
	s_add_u32 s11, s23, s11
	s_cselect_b64 s[24:25], -1, 0
	s_cmp_lg_u64 s[24:25], 0
	s_addc_u32 s15, s20, s15
	s_ashr_i32 s24, s21, 31
	s_add_u32 s20, s9, s24
	s_mov_b32 s25, s24
	s_addc_u32 s21, s21, s24
	s_xor_b64 s[20:21], s[20:21], s[24:25]
	s_mul_i32 s26, s20, s15
	s_mul_hi_u32 s27, s20, s11
	s_mul_hi_u32 s23, s20, s15
	s_add_u32 s26, s27, s26
	s_addc_u32 s23, 0, s23
	s_mul_hi_u32 s28, s21, s11
	s_mul_i32 s11, s21, s11
	s_add_u32 s11, s26, s11
	s_mul_hi_u32 s27, s21, s15
	s_addc_u32 s11, s23, s28
	s_addc_u32 s23, s27, 0
	s_mul_i32 s15, s21, s15
	s_add_u32 s11, s11, s15
	s_addc_u32 s15, 0, s23
	s_mul_i32 s23, s18, s15
	s_mul_hi_u32 s26, s18, s11
	s_add_i32 s23, s26, s23
	s_mul_i32 s26, s19, s11
	s_add_i32 s23, s23, s26
	s_sub_i32 s28, s21, s23
	s_mul_i32 s26, s18, s11
	s_sub_u32 s20, s20, s26
	s_cselect_b64 s[26:27], -1, 0
	s_cmp_lg_u64 s[26:27], 0
	s_subb_u32 s30, s28, s19
	s_sub_u32 s31, s20, s18
	s_cselect_b64 s[28:29], -1, 0
	s_cmp_lg_u64 s[28:29], 0
	s_subb_u32 s28, s30, 0
	s_cmp_ge_u32 s28, s19
	s_cselect_b32 s29, -1, 0
	s_cmp_ge_u32 s31, s18
	s_cselect_b32 s30, -1, 0
	s_cmp_eq_u32 s28, s19
	s_cselect_b32 s28, s30, s29
	s_add_u32 s29, s11, 1
	s_addc_u32 s30, s15, 0
	s_add_u32 s31, s11, 2
	s_addc_u32 s33, s15, 0
	s_cmp_lg_u32 s28, 0
	s_cselect_b32 s28, s31, s29
	s_cselect_b32 s29, s33, s30
	s_cmp_lg_u64 s[26:27], 0
	s_subb_u32 s21, s21, s23
	s_cmp_ge_u32 s21, s19
	s_cselect_b32 s23, -1, 0
	s_cmp_ge_u32 s20, s18
	s_cselect_b32 s18, -1, 0
	s_cmp_eq_u32 s21, s19
	s_cselect_b32 s18, s18, s23
	s_cmp_lg_u32 s18, 0
	s_cselect_b32 s19, s29, s15
	s_cselect_b32 s18, s28, s11
	s_xor_b64 s[20:21], s[24:25], 0
	s_xor_b64 s[18:19], s[18:19], s[20:21]
	s_sub_u32 s18, s18, s20
	s_cbranch_execnz .LBB54_6
.LBB54_5:
	v_cvt_f32_u32_e32 v1, s22
	s_sub_i32 s11, 0, s22
	v_rcp_iflag_f32_e32 v1, v1
	v_mul_f32_e32 v1, 0x4f7ffffe, v1
	v_cvt_u32_f32_e32 v1, v1
	s_waitcnt lgkmcnt(0)
	v_readfirstlane_b32 s15, v1
	s_mul_i32 s11, s11, s15
	s_mul_hi_u32 s11, s15, s11
	s_add_i32 s15, s15, s11
	s_mul_hi_u32 s11, s9, s15
	s_mul_i32 s16, s11, s22
	s_sub_i32 s9, s9, s16
	s_add_i32 s15, s11, 1
	s_sub_i32 s16, s9, s22
	s_cmp_ge_u32 s9, s22
	s_cselect_b32 s11, s15, s11
	s_cselect_b32 s9, s16, s9
	s_add_i32 s15, s11, 1
	s_cmp_ge_u32 s9, s22
	s_cselect_b32 s18, s15, s11
.LBB54_6:
	s_cmp_eq_u32 s10, s18
	s_waitcnt lgkmcnt(0)
	s_mul_hi_u32 s9, s10, s12
	s_cselect_b64 s[16:17], -1, 0
	s_add_i32 s9, s9, s10
	s_lshr_b32 s11, s9, s13
	s_mul_i32 s9, s11, s14
	s_cmp_eq_u32 s9, s10
	s_mul_hi_u32 s9, s18, s12
	s_cselect_b64 s[20:21], -1, 0
	s_add_i32 s9, s9, s18
	s_lshr_b32 s9, s9, s13
	s_cmp_eq_u32 s11, s9
	s_mul_i32 s9, s9, s14
	s_cselect_b64 s[24:25], -1, 0
	s_cmp_lg_u32 s9, s18
	s_cselect_b64 s[18:19], -1, 0
	s_and_b64 s[18:19], s[24:25], s[18:19]
	s_or_b64 s[16:17], s[16:17], s[20:21]
	s_or_b64 s[16:17], s[16:17], s[18:19]
	s_and_b64 vcc, exec, s[16:17]
	s_cbranch_vccnz .LBB54_23
; %bb.7:
	s_load_dwordx8 s[24:31], s[4:5], 0x20
	s_load_dword s15, s[4:5], 0x40
	s_waitcnt lgkmcnt(0)
	s_mul_hi_u32 s9, s10, s24
	s_add_i32 s9, s9, s10
	s_lshr_b32 s9, s9, s25
	s_mul_i32 s16, s9, s26
	s_sub_i32 s16, s10, s16
	s_mul_hi_u32 s17, s16, s27
	s_add_i32 s17, s16, s17
	s_lshr_b32 s24, s17, s28
	s_mul_i32 s17, s24, s29
	s_sub_i32 s16, s16, s17
	s_mul_hi_u32 s17, s16, s30
	s_add_i32 s17, s16, s17
	s_lshr_b32 s23, s17, s31
	s_mul_i32 s15, s23, s15
	s_sub_i32 s15, s16, s15
	s_mul_hi_u32 s16, s15, s12
	s_add_i32 s15, s15, s16
	s_lshr_b32 s25, s15, s13
	s_lshl_b32 s15, s25, 2
	s_add_i32 s15, s15, s7
	s_cmp_lt_i32 s15, s0
	s_cselect_b64 s[16:17], -1, 0
	s_add_i32 s15, s23, s8
	s_cmp_lt_i32 s15, s2
	s_cselect_b64 s[18:19], -1, 0
	s_and_b64 s[16:17], s[16:17], s[18:19]
	s_andn2_b64 vcc, exec, s[16:17]
	s_cbranch_vccnz .LBB54_23
; %bb.8:
	s_load_dwordx4 s[16:19], s[4:5], 0x0
	s_mov_b32 s4, 0
	s_lshl_b32 s20, s22, 4
	s_mov_b32 s21, s4
	s_add_i32 s15, s7, s8
	s_lshl_b64 s[20:21], s[20:21], 2
	s_waitcnt lgkmcnt(0)
	s_add_u32 s20, s18, s20
	s_mul_i32 s0, s9, s0
	s_addc_u32 s21, s19, s21
	s_add_i32 s0, s0, s7
	s_mul_i32 s0, s0, s1
	s_mul_i32 s24, s24, s2
	s_add_i32 s0, s0, s8
	s_add_i32 s0, s0, s24
	s_mul_i32 s2, s1, s25
	s_add_i32 s0, s0, s23
	s_lshl_b32 s2, s2, 10
	s_lshl_b32 s0, s0, 8
	s_add_i32 s2, s2, s0
	v_or_b32_e32 v1, s2, v0
	v_ashrrev_i32_e32 v2, 31, v1
	v_lshlrev_b64 v[1:2], 2, v[1:2]
	v_mov_b32_e32 v3, s17
	v_add_co_u32_e32 v1, vcc, s16, v1
	v_addc_co_u32_e32 v2, vcc, v3, v2, vcc
	global_load_dword v3, v[1:2], off
	v_cvt_f32_u32_e32 v4, s22
	s_lshl_b32 s0, s6, 2
	s_add_i32 s0, s0, s15
	s_ashr_i32 s1, s0, 31
	s_lshl_b64 s[0:1], s[0:1], 3
	v_rcp_iflag_f32_e32 v4, v4
	s_add_u32 s0, s18, s0
	s_addc_u32 s1, s19, s1
	s_load_dwordx2 s[0:1], s[0:1], 0x0
	v_mul_f32_e32 v4, 0x4f7ffffe, v4
	v_cvt_u32_f32_e32 v4, v4
	s_add_i32 s24, s6, -1
	v_lshl_or_b32 v0, s15, 8, v0
	s_waitcnt lgkmcnt(0)
	v_mov_b32_e32 v6, s1
	v_mov_b32_e32 v7, s0
	s_mov_b32 s2, 0x3fb8aa3b
	s_mov_b32 s16, 0xc2ce8ed0
	;; [unrolled: 1-line block ×4, first 2 shown]
	v_mov_b32_e32 v5, 0x7f800000
	s_mul_hi_i32 s5, s24, s3
	s_cmp_lg_u64 s[4:5], 0
	s_mul_i32 s8, s24, s3
	s_cbranch_scc0 .LBB54_19
.LBB54_9:
	s_add_u32 s0, s22, 0
	s_addc_u32 s1, 0, 0
	s_xor_b64 s[0:1], s[0:1], 0
	v_cvt_f32_u32_e32 v8, s0
	v_cvt_f32_u32_e32 v9, s1
	s_sub_u32 s9, 0, s0
	s_subb_u32 s25, 0, s1
	v_mac_f32_e32 v8, 0x4f800000, v9
	v_rcp_f32_e32 v8, v8
	v_mul_f32_e32 v8, 0x5f7ffffc, v8
	v_mul_f32_e32 v9, 0x2f800000, v8
	v_trunc_f32_e32 v9, v9
	v_mac_f32_e32 v8, 0xcf800000, v9
	v_cvt_u32_f32_e32 v9, v9
	v_cvt_u32_f32_e32 v8, v8
	v_readfirstlane_b32 s26, v9
	v_readfirstlane_b32 s6, v8
	s_mul_i32 s7, s9, s26
	s_mul_hi_u32 s28, s9, s6
	s_mul_i32 s27, s25, s6
	s_add_i32 s7, s28, s7
	s_mul_i32 s29, s9, s6
	s_add_i32 s7, s7, s27
	s_mul_i32 s28, s6, s7
	s_mul_hi_u32 s30, s6, s29
	s_mul_hi_u32 s27, s6, s7
	s_add_u32 s28, s30, s28
	s_addc_u32 s27, 0, s27
	s_mul_hi_u32 s31, s26, s29
	s_mul_i32 s29, s26, s29
	s_add_u32 s28, s28, s29
	s_mul_hi_u32 s30, s26, s7
	s_addc_u32 s27, s27, s31
	s_addc_u32 s28, s30, 0
	s_mul_i32 s7, s26, s7
	s_add_u32 s7, s27, s7
	s_addc_u32 s27, 0, s28
	s_add_u32 s28, s6, s7
	s_cselect_b64 s[6:7], -1, 0
	s_cmp_lg_u64 s[6:7], 0
	s_addc_u32 s26, s26, s27
	s_mul_i32 s6, s9, s26
	s_mul_hi_u32 s7, s9, s28
	s_add_i32 s6, s7, s6
	s_mul_i32 s25, s25, s28
	s_add_i32 s6, s6, s25
	s_mul_i32 s9, s9, s28
	s_mul_hi_u32 s25, s26, s9
	s_mul_i32 s27, s26, s9
	s_mul_i32 s30, s28, s6
	s_mul_hi_u32 s9, s28, s9
	s_mul_hi_u32 s29, s28, s6
	s_add_u32 s9, s9, s30
	s_addc_u32 s29, 0, s29
	s_add_u32 s9, s9, s27
	s_mul_hi_u32 s7, s26, s6
	s_addc_u32 s9, s29, s25
	s_addc_u32 s7, s7, 0
	s_mul_i32 s6, s26, s6
	s_add_u32 s6, s9, s6
	s_addc_u32 s9, 0, s7
	s_add_u32 s25, s28, s6
	s_cselect_b64 s[6:7], -1, 0
	s_cmp_lg_u64 s[6:7], 0
	s_addc_u32 s9, s26, s9
	s_ashr_i32 s6, s5, 31
	s_add_u32 s26, s8, s6
	s_mov_b32 s7, s6
	s_addc_u32 s27, s5, s6
	s_xor_b64 s[26:27], s[26:27], s[6:7]
	s_mul_i32 s28, s26, s9
	s_mul_hi_u32 s29, s26, s25
	s_mul_hi_u32 s5, s26, s9
	s_add_u32 s28, s29, s28
	s_addc_u32 s5, 0, s5
	s_mul_hi_u32 s30, s27, s25
	s_mul_i32 s25, s27, s25
	s_add_u32 s25, s28, s25
	s_mul_hi_u32 s29, s27, s9
	s_addc_u32 s5, s5, s30
	s_addc_u32 s25, s29, 0
	s_mul_i32 s9, s27, s9
	s_add_u32 s5, s5, s9
	s_addc_u32 s9, 0, s25
	s_mul_i32 s25, s0, s9
	s_mul_hi_u32 s28, s0, s5
	s_add_i32 s25, s28, s25
	s_mul_i32 s28, s1, s5
	s_add_i32 s25, s25, s28
	s_sub_i32 s30, s27, s25
	s_mul_i32 s28, s0, s5
	s_sub_u32 s26, s26, s28
	s_cselect_b64 s[28:29], -1, 0
	s_cmp_lg_u64 s[28:29], 0
	s_subb_u32 s33, s30, s1
	s_sub_u32 s34, s26, s0
	s_cselect_b64 s[30:31], -1, 0
	s_cmp_lg_u64 s[30:31], 0
	s_subb_u32 s30, s33, 0
	s_cmp_ge_u32 s30, s1
	s_cselect_b32 s31, -1, 0
	s_cmp_ge_u32 s34, s0
	s_cselect_b32 s33, -1, 0
	s_cmp_eq_u32 s30, s1
	s_cselect_b32 s30, s33, s31
	s_add_u32 s31, s5, 1
	s_addc_u32 s33, s9, 0
	s_add_u32 s34, s5, 2
	s_addc_u32 s35, s9, 0
	s_cmp_lg_u32 s30, 0
	s_cselect_b32 s30, s34, s31
	s_cselect_b32 s31, s35, s33
	s_cmp_lg_u64 s[28:29], 0
	s_subb_u32 s25, s27, s25
	s_cmp_ge_u32 s25, s1
	s_cselect_b32 s27, -1, 0
	s_cmp_ge_u32 s26, s0
	s_cselect_b32 s0, -1, 0
	s_cmp_eq_u32 s25, s1
	s_cselect_b32 s0, s0, s27
	s_cmp_lg_u32 s0, 0
	s_cselect_b32 s1, s31, s9
	s_cselect_b32 s0, s30, s5
	s_xor_b64 s[6:7], s[6:7], 0
	s_xor_b64 s[0:1], s[0:1], s[6:7]
	s_sub_u32 s6, s0, s6
	s_cbranch_execnz .LBB54_11
.LBB54_10:
	s_sub_i32 s0, 0, s22
	v_readfirstlane_b32 s1, v4
	s_mul_i32 s0, s0, s1
	s_mul_hi_u32 s0, s1, s0
	s_add_i32 s1, s1, s0
	s_mul_hi_u32 s0, s8, s1
	s_mul_i32 s5, s0, s22
	s_sub_i32 s5, s8, s5
	s_add_i32 s1, s0, 1
	s_sub_i32 s6, s5, s22
	s_cmp_ge_u32 s5, s22
	s_cselect_b32 s0, s1, s0
	s_cselect_b32 s5, s6, s5
	s_add_i32 s1, s0, 1
	s_cmp_ge_u32 s5, s22
	s_cselect_b32 s6, s1, s0
.LBB54_11:
	s_cmp_lg_u32 s10, s6
	s_mov_b64 s[8:9], -1
                                        ; implicit-def: $sgpr0_sgpr1
                                        ; implicit-def: $vgpr10
                                        ; implicit-def: $vgpr8
                                        ; implicit-def: $vgpr9
                                        ; implicit-def: $sgpr5
                                        ; implicit-def: $sgpr7
	s_cbranch_scc1 .LBB54_14
; %bb.12:
	s_andn2_b64 vcc, exec, s[8:9]
	s_cbranch_vccz .LBB54_17
.LBB54_13:
	s_andn2_b64 vcc, exec, s[0:1]
	s_cbranch_vccnz .LBB54_18
	s_branch .LBB54_22
.LBB54_14:
	s_add_i32 s0, s24, s22
	s_lshl_b32 s0, s0, 2
	s_add_i32 s0, s0, s15
	s_mov_b32 s1, s4
	s_lshl_b64 s[0:1], s[0:1], 3
	s_add_u32 s8, s18, s0
	s_mul_hi_u32 s0, s6, s12
	s_addc_u32 s9, s19, s1
	s_add_i32 s0, s0, s6
	s_lshr_b32 s5, s0, s13
	s_mul_i32 s0, s5, s14
	s_cmp_eq_u32 s0, s6
	s_cselect_b64 s[0:1], -1, 0
	s_cmp_lt_u32 s5, s11
	s_cselect_b64 s[26:27], -1, 0
	s_or_b64 s[26:27], s[26:27], s[0:1]
	s_mov_b64 s[0:1], -1
	s_and_b64 vcc, exec, s[26:27]
	s_mov_b32 s5, s24
	s_mov_b32 s7, s10
	s_cbranch_vccnz .LBB54_16
; %bb.15:
	s_add_i32 s5, s24, -1
	s_mov_b64 s[0:1], 0
	s_mov_b32 s7, s6
.LBB54_16:
	v_lshl_add_u32 v8, s24, 10, v0
	v_ashrrev_i32_e32 v9, 31, v8
	v_lshlrev_b64 v[8:9], 2, v[8:9]
	v_mov_b32_e32 v10, s21
	v_add_co_u32_e32 v8, vcc, s20, v8
	v_addc_co_u32_e32 v9, vcc, v10, v9, vcc
	global_load_dword v10, v[8:9], off
	s_load_dwordx2 s[8:9], s[8:9], 0x0
	v_max_f32_e32 v8, v7, v7
	s_waitcnt lgkmcnt(0)
	v_max_f32_e64 v9, s8, s8
	v_max_f32_e32 v8, v8, v9
	v_sub_f32_e32 v9, v7, v8
	v_sub_f32_e32 v11, s8, v8
	v_mul_f32_e32 v12, 0x3fb8aa3b, v9
	v_mul_f32_e32 v13, 0x3fb8aa3b, v11
	v_fma_f32 v14, v9, s2, -v12
	v_rndne_f32_e32 v15, v12
	v_fma_f32 v16, v11, s2, -v13
	v_rndne_f32_e32 v17, v13
	v_fmac_f32_e32 v14, 0x32a5705f, v9
	v_sub_f32_e32 v12, v12, v15
	v_fmac_f32_e32 v16, 0x32a5705f, v11
	v_sub_f32_e32 v13, v13, v17
	v_add_f32_e32 v12, v12, v14
	v_cvt_i32_f32_e32 v15, v15
	v_add_f32_e32 v13, v13, v16
	v_exp_f32_e32 v12, v12
	v_cvt_i32_f32_e32 v17, v17
	v_exp_f32_e32 v13, v13
	v_cmp_ngt_f32_e32 vcc, s16, v9
	v_ldexp_f32 v12, v12, v15
	v_cndmask_b32_e32 v12, 0, v12, vcc
	v_ldexp_f32 v13, v13, v17
	v_cmp_ngt_f32_e32 vcc, s16, v11
	v_cndmask_b32_e32 v13, 0, v13, vcc
	v_cmp_nlt_f32_e32 vcc, s17, v9
	v_cndmask_b32_e32 v12, v5, v12, vcc
	v_cmp_nlt_f32_e32 vcc, s17, v11
	v_cndmask_b32_e32 v13, v5, v13, vcc
	v_cmp_le_f32_e32 vcc, s23, v9
	v_cndmask_b32_e32 v12, 0, v12, vcc
	v_cmp_le_f32_e32 vcc, s23, v11
	v_cndmask_b32_e32 v11, 0, v13, vcc
	v_mul_f32_e32 v9, s9, v11
	v_fmac_f32_e32 v9, v6, v12
	s_waitcnt vmcnt(0)
	v_mul_f32_e32 v10, v10, v11
	v_fmac_f32_e32 v10, v3, v12
	s_cbranch_execnz .LBB54_13
.LBB54_17:
	s_add_i32 s5, s24, -1
	s_mov_b32 s7, s10
	v_mov_b32_e32 v9, v6
	v_mov_b32_e32 v8, v7
	s_waitcnt vmcnt(0)
	v_mov_b32_e32 v10, v3
	s_cbranch_execz .LBB54_22
.LBB54_18:
	s_mov_b32 s10, s7
	s_mov_b32 s24, s5
	v_mov_b32_e32 v6, v9
	v_mov_b32_e32 v7, v8
	s_waitcnt vmcnt(0)
	v_mov_b32_e32 v3, v10
	s_mul_hi_i32 s5, s24, s3
	s_cmp_lg_u64 s[4:5], 0
	s_mul_i32 s8, s24, s3
	s_cbranch_scc1 .LBB54_9
.LBB54_19:
                                        ; implicit-def: $sgpr6_sgpr7
	s_branch .LBB54_10
.LBB54_20:
                                        ; implicit-def: $sgpr10_sgpr11
	s_load_dwordx4 s[12:15], s[4:5], 0x44
	s_branch .LBB54_2
.LBB54_21:
                                        ; implicit-def: $sgpr18_sgpr19
	s_branch .LBB54_5
.LBB54_22:
	v_div_scale_f32 v0, s[0:1], v9, v9, v10
	s_waitcnt vmcnt(0)
	v_div_scale_f32 v3, vcc, v10, v9, v10
	v_rcp_f32_e32 v4, v0
	v_fma_f32 v5, -v0, v4, 1.0
	v_fmac_f32_e32 v4, v5, v4
	v_mul_f32_e32 v5, v3, v4
	v_fma_f32 v6, -v0, v5, v3
	v_fmac_f32_e32 v5, v6, v4
	v_fma_f32 v0, -v0, v5, v3
	v_div_fmas_f32 v0, v0, v4, v5
	v_div_fixup_f32 v0, v0, v9, v10
	global_store_dword v[1:2], v0, off
.LBB54_23:
	s_endpgm
	.section	.rodata,"a",@progbits
	.p2align	6, 0x0
	.amdhsa_kernel _ZL33flash_attn_stream_k_fixup_generalILi256ELi4ELi1EEvPfPK15HIP_vector_typeIfLj2EEiiiiS1_IjLj3EES5_S5_S5_
		.amdhsa_group_segment_fixed_size 0
		.amdhsa_private_segment_fixed_size 0
		.amdhsa_kernarg_size 336
		.amdhsa_user_sgpr_count 6
		.amdhsa_user_sgpr_private_segment_buffer 1
		.amdhsa_user_sgpr_dispatch_ptr 0
		.amdhsa_user_sgpr_queue_ptr 0
		.amdhsa_user_sgpr_kernarg_segment_ptr 1
		.amdhsa_user_sgpr_dispatch_id 0
		.amdhsa_user_sgpr_flat_scratch_init 0
		.amdhsa_user_sgpr_private_segment_size 0
		.amdhsa_uses_dynamic_stack 0
		.amdhsa_system_sgpr_private_segment_wavefront_offset 0
		.amdhsa_system_sgpr_workgroup_id_x 1
		.amdhsa_system_sgpr_workgroup_id_y 1
		.amdhsa_system_sgpr_workgroup_id_z 1
		.amdhsa_system_sgpr_workgroup_info 0
		.amdhsa_system_vgpr_workitem_id 0
		.amdhsa_next_free_vgpr 18
		.amdhsa_next_free_sgpr 36
		.amdhsa_reserve_vcc 1
		.amdhsa_reserve_flat_scratch 0
		.amdhsa_float_round_mode_32 0
		.amdhsa_float_round_mode_16_64 0
		.amdhsa_float_denorm_mode_32 3
		.amdhsa_float_denorm_mode_16_64 3
		.amdhsa_dx10_clamp 1
		.amdhsa_ieee_mode 1
		.amdhsa_fp16_overflow 0
		.amdhsa_exception_fp_ieee_invalid_op 0
		.amdhsa_exception_fp_denorm_src 0
		.amdhsa_exception_fp_ieee_div_zero 0
		.amdhsa_exception_fp_ieee_overflow 0
		.amdhsa_exception_fp_ieee_underflow 0
		.amdhsa_exception_fp_ieee_inexact 0
		.amdhsa_exception_int_div_zero 0
	.end_amdhsa_kernel
	.section	.text._ZL33flash_attn_stream_k_fixup_generalILi256ELi4ELi1EEvPfPK15HIP_vector_typeIfLj2EEiiiiS1_IjLj3EES5_S5_S5_,"axG",@progbits,_ZL33flash_attn_stream_k_fixup_generalILi256ELi4ELi1EEvPfPK15HIP_vector_typeIfLj2EEiiiiS1_IjLj3EES5_S5_S5_,comdat
.Lfunc_end54:
	.size	_ZL33flash_attn_stream_k_fixup_generalILi256ELi4ELi1EEvPfPK15HIP_vector_typeIfLj2EEiiiiS1_IjLj3EES5_S5_S5_, .Lfunc_end54-_ZL33flash_attn_stream_k_fixup_generalILi256ELi4ELi1EEvPfPK15HIP_vector_typeIfLj2EEiiiiS1_IjLj3EES5_S5_S5_
                                        ; -- End function
	.set _ZL33flash_attn_stream_k_fixup_generalILi256ELi4ELi1EEvPfPK15HIP_vector_typeIfLj2EEiiiiS1_IjLj3EES5_S5_S5_.num_vgpr, 18
	.set _ZL33flash_attn_stream_k_fixup_generalILi256ELi4ELi1EEvPfPK15HIP_vector_typeIfLj2EEiiiiS1_IjLj3EES5_S5_S5_.num_agpr, 0
	.set _ZL33flash_attn_stream_k_fixup_generalILi256ELi4ELi1EEvPfPK15HIP_vector_typeIfLj2EEiiiiS1_IjLj3EES5_S5_S5_.numbered_sgpr, 36
	.set _ZL33flash_attn_stream_k_fixup_generalILi256ELi4ELi1EEvPfPK15HIP_vector_typeIfLj2EEiiiiS1_IjLj3EES5_S5_S5_.num_named_barrier, 0
	.set _ZL33flash_attn_stream_k_fixup_generalILi256ELi4ELi1EEvPfPK15HIP_vector_typeIfLj2EEiiiiS1_IjLj3EES5_S5_S5_.private_seg_size, 0
	.set _ZL33flash_attn_stream_k_fixup_generalILi256ELi4ELi1EEvPfPK15HIP_vector_typeIfLj2EEiiiiS1_IjLj3EES5_S5_S5_.uses_vcc, 1
	.set _ZL33flash_attn_stream_k_fixup_generalILi256ELi4ELi1EEvPfPK15HIP_vector_typeIfLj2EEiiiiS1_IjLj3EES5_S5_S5_.uses_flat_scratch, 0
	.set _ZL33flash_attn_stream_k_fixup_generalILi256ELi4ELi1EEvPfPK15HIP_vector_typeIfLj2EEiiiiS1_IjLj3EES5_S5_S5_.has_dyn_sized_stack, 0
	.set _ZL33flash_attn_stream_k_fixup_generalILi256ELi4ELi1EEvPfPK15HIP_vector_typeIfLj2EEiiiiS1_IjLj3EES5_S5_S5_.has_recursion, 0
	.set _ZL33flash_attn_stream_k_fixup_generalILi256ELi4ELi1EEvPfPK15HIP_vector_typeIfLj2EEiiiiS1_IjLj3EES5_S5_S5_.has_indirect_call, 0
	.section	.AMDGPU.csdata,"",@progbits
; Kernel info:
; codeLenInByte = 2932
; TotalNumSgprs: 40
; NumVgprs: 18
; ScratchSize: 0
; MemoryBound: 0
; FloatMode: 240
; IeeeMode: 1
; LDSByteSize: 0 bytes/workgroup (compile time only)
; SGPRBlocks: 4
; VGPRBlocks: 4
; NumSGPRsForWavesPerEU: 40
; NumVGPRsForWavesPerEU: 18
; Occupancy: 10
; WaveLimiterHint : 0
; COMPUTE_PGM_RSRC2:SCRATCH_EN: 0
; COMPUTE_PGM_RSRC2:USER_SGPR: 6
; COMPUTE_PGM_RSRC2:TRAP_HANDLER: 0
; COMPUTE_PGM_RSRC2:TGID_X_EN: 1
; COMPUTE_PGM_RSRC2:TGID_Y_EN: 1
; COMPUTE_PGM_RSRC2:TGID_Z_EN: 1
; COMPUTE_PGM_RSRC2:TIDIG_COMP_CNT: 0
	.section	.text._ZL15flash_attn_tileILi256ELi256ELi2ELi1ELb0EEvPKcS1_S1_S1_S1_PKiPfP15HIP_vector_typeIfLj2EEffffjfiS5_IjLj3EEiiiiiiiiiiiliiliiiiil,"axG",@progbits,_ZL15flash_attn_tileILi256ELi256ELi2ELi1ELb0EEvPKcS1_S1_S1_S1_PKiPfP15HIP_vector_typeIfLj2EEffffjfiS5_IjLj3EEiiiiiiiiiiiliiliiiiil,comdat
	.globl	_ZL15flash_attn_tileILi256ELi256ELi2ELi1ELb0EEvPKcS1_S1_S1_S1_PKiPfP15HIP_vector_typeIfLj2EEffffjfiS5_IjLj3EEiiiiiiiiiiiliiliiiiil ; -- Begin function _ZL15flash_attn_tileILi256ELi256ELi2ELi1ELb0EEvPKcS1_S1_S1_S1_PKiPfP15HIP_vector_typeIfLj2EEffffjfiS5_IjLj3EEiiiiiiiiiiiliiliiiiil
	.p2align	8
	.type	_ZL15flash_attn_tileILi256ELi256ELi2ELi1ELb0EEvPKcS1_S1_S1_S1_PKiPfP15HIP_vector_typeIfLj2EEffffjfiS5_IjLj3EEiiiiiiiiiiiliiliiiiil,@function
_ZL15flash_attn_tileILi256ELi256ELi2ELi1ELb0EEvPKcS1_S1_S1_S1_PKiPfP15HIP_vector_typeIfLj2EEffffjfiS5_IjLj3EEiiiiiiiiiiiliiliiiiil: ; @_ZL15flash_attn_tileILi256ELi256ELi2ELi1ELb0EEvPKcS1_S1_S1_S1_PKiPfP15HIP_vector_typeIfLj2EEffffjfiS5_IjLj3EEiiiiiiiiiiiliiliiiiil
; %bb.0:
	s_load_dwordx4 s[28:31], s[4:5], 0x5c
	s_load_dwordx2 s[42:43], s[4:5], 0x80
	s_add_u32 flat_scratch_lo, s6, s11
	s_addc_u32 flat_scratch_hi, s7, 0
	s_add_u32 s0, s0, s11
	s_waitcnt lgkmcnt(0)
	v_cvt_f32_u32_e32 v2, s31
	s_addc_u32 s1, s1, 0
	s_sub_i32 s6, 0, s31
	s_load_dwordx2 s[44:45], s[4:5], 0xb8
	v_rcp_iflag_f32_e32 v2, v2
	s_mov_b64 s[40:41], 0
	v_mul_f32_e32 v2, 0x4f7ffffe, v2
	v_cvt_u32_f32_e32 v2, v2
	v_readfirstlane_b32 s7, v2
	s_mul_i32 s6, s6, s7
	s_mul_hi_u32 s6, s7, s6
	s_add_i32 s7, s7, s6
	s_mul_hi_u32 s6, s10, s7
	s_mul_i32 s7, s6, s31
	s_sub_i32 s7, s10, s7
	s_add_i32 s11, s6, 1
	s_sub_i32 s12, s7, s31
	s_cmp_ge_u32 s7, s31
	s_cselect_b32 s6, s11, s6
	s_cselect_b32 s7, s12, s7
	s_add_i32 s11, s6, 1
	s_cmp_ge_u32 s7, s31
	s_cselect_b32 s33, s11, s6
	s_abs_i32 s6, s43
	v_cvt_f32_u32_e32 v2, s6
	s_mul_i32 s12, s33, s31
	s_sub_i32 s13, 0, s6
	s_sub_i32 s34, s10, s12
	v_rcp_iflag_f32_e32 v2, v2
	s_abs_i32 s11, s31
	s_xor_b32 s7, s31, s43
	s_ashr_i32 s7, s7, 31
	v_mul_f32_e32 v2, 0x4f7ffffe, v2
	v_cvt_u32_f32_e32 v2, v2
	v_readfirstlane_b32 s10, v2
	s_mul_i32 s13, s13, s10
	s_mul_hi_u32 s12, s10, s13
	s_add_i32 s10, s10, s12
	s_mul_hi_u32 s10, s11, s10
	s_mul_i32 s12, s10, s6
	s_sub_i32 s11, s11, s12
	s_add_i32 s13, s10, 1
	s_sub_i32 s12, s11, s6
	s_cmp_ge_u32 s11, s6
	s_cselect_b32 s10, s13, s10
	s_cselect_b32 s11, s12, s11
	s_add_i32 s12, s10, 1
	s_cmp_ge_u32 s11, s6
	s_cselect_b32 s6, s12, s10
	s_xor_b32 s6, s6, s7
	s_sub_i32 s46, s6, s7
	s_abs_i32 s43, s46
	v_cvt_f32_u32_e32 v2, s43
	s_load_dwordx16 s[12:27], s[4:5], 0x0
	s_sub_i32 s7, 0, s43
	v_rcp_iflag_f32_e32 v2, v2
	s_waitcnt lgkmcnt(0)
	s_cmp_eq_u64 s[18:19], 0
	v_mul_f32_e32 v2, 0x4f7ffffe, v2
	v_cvt_u32_f32_e32 v2, v2
	v_readfirstlane_b32 s6, v2
	s_mul_i32 s7, s7, s6
	s_mul_hi_u32 s7, s6, s7
	s_cbranch_scc1 .LBB55_2
; %bb.1:
	s_abs_i32 s35, s44
	v_cvt_f32_u32_e32 v2, s35
	s_sub_i32 s38, 0, s35
	s_abs_i32 s37, s33
	s_ashr_i32 s36, s33, 31
	v_rcp_iflag_f32_e32 v2, v2
	s_load_dwordx2 s[10:11], s[4:5], 0xc8
	v_mul_f32_e32 v2, 0x4f7ffffe, v2
	v_cvt_u32_f32_e32 v2, v2
	v_readfirstlane_b32 s39, v2
	s_mul_i32 s38, s38, s39
	s_mul_hi_u32 s38, s39, s38
	s_add_i32 s39, s39, s38
	s_mul_hi_u32 s38, s37, s39
	s_mul_i32 s38, s38, s35
	s_sub_i32 s37, s37, s38
	s_sub_i32 s38, s37, s35
	s_cmp_ge_u32 s37, s35
	s_cselect_b32 s37, s38, s37
	s_sub_i32 s38, s37, s35
	s_cmp_ge_u32 s37, s35
	s_cselect_b32 s35, s38, s37
	s_xor_b32 s35, s35, s36
	s_sub_i32 s35, s35, s36
	s_ashr_i32 s36, s35, 31
	s_waitcnt lgkmcnt(0)
	s_mul_hi_u32 s37, s10, s35
	s_mul_i32 s36, s10, s36
	s_mul_i32 s11, s11, s35
	s_add_i32 s36, s37, s36
	s_add_i32 s36, s36, s11
	s_mul_i32 s10, s10, s35
	s_add_u32 s40, s18, s10
	s_addc_u32 s41, s19, s36
.LBB55_2:
	s_load_dwordx4 s[36:39], s[4:5], 0x40
	s_add_i32 s19, s6, s7
	s_load_dword s6, s[4:5], 0x50
	s_abs_i32 s18, s34
	v_mov_b32_e32 v40, 1.0
	s_waitcnt lgkmcnt(0)
	v_cmp_le_f32_e64 s[10:11], s37, 0
	s_and_b64 vcc, exec, s[10:11]
	s_cbranch_vccnz .LBB55_4
; %bb.3:
	v_mov_b32_e32 v2, s6
	v_sub_co_u32_e32 v2, vcc, s34, v2
	v_mov_b32_e32 v3, s39
	v_mov_b32_e32 v4, s38
	s_add_i32 s6, s34, 1
	v_lshlrev_b32_e32 v2, 1, v2
	v_cndmask_b32_e32 v3, v3, v4, vcc
	v_or_b32_e32 v2, 1, v2
	v_mov_b32_e32 v4, s6
	v_cndmask_b32_e32 v2, v2, v4, vcc
	v_cvt_f32_i32_e32 v2, v2
	v_cmp_neq_f32_e32 vcc, 1.0, v3
	s_mov_b32 s6, 0x3f2aaaab
	s_movk_i32 s10, 0x204
	v_cndmask_b32_e32 v4, 1.0, v2, vcc
	v_cmp_neq_f32_e32 vcc, 0, v4
	v_cndmask_b32_e32 v5, 1.0, v3, vcc
	v_frexp_mant_f32_e64 v2, |v5|
	v_cmp_gt_f32_e32 vcc, s6, v2
	v_cndmask_b32_e64 v3, 1.0, 2.0, vcc
	v_mul_f32_e32 v2, v2, v3
	v_add_f32_e32 v3, 1.0, v2
	v_rcp_f32_e32 v6, v3
	v_add_f32_e32 v7, -1.0, v2
	v_add_f32_e32 v8, -1.0, v3
	v_sub_f32_e32 v2, v2, v8
	v_mul_f32_e32 v8, v7, v6
	v_mul_f32_e32 v9, v3, v8
	v_fma_f32 v3, v8, v3, -v9
	v_fmac_f32_e32 v3, v8, v2
	v_add_f32_e32 v2, v9, v3
	v_sub_f32_e32 v10, v7, v2
	v_sub_f32_e32 v9, v2, v9
	;; [unrolled: 1-line block ×5, first 2 shown]
	v_add_f32_e32 v2, v3, v2
	v_add_f32_e32 v2, v10, v2
	v_mul_f32_e32 v2, v6, v2
	v_add_f32_e32 v6, v8, v2
	v_sub_f32_e32 v3, v6, v8
	v_sub_f32_e32 v7, v2, v3
	v_mul_f32_e32 v2, v6, v6
	v_fma_f32 v3, v6, v6, -v2
	v_add_f32_e32 v8, v7, v7
	v_fmac_f32_e32 v3, v6, v8
	v_add_f32_e32 v8, v2, v3
	v_mov_b32_e32 v9, 0x3e91f4c4
	v_sub_f32_e32 v2, v8, v2
	v_fmac_f32_e32 v9, 0x3e76c4e1, v8
	v_mov_b32_e32 v10, 0x3ecccdef
	v_sub_f32_e32 v2, v3, v2
	v_mul_f32_e32 v3, v6, v8
	v_fmac_f32_e32 v10, v8, v9
	v_fma_f32 v9, v8, v6, -v3
	v_fmac_f32_e32 v9, v8, v7
	v_fmac_f32_e32 v9, v2, v6
	v_add_f32_e32 v11, v3, v9
	v_sub_f32_e32 v3, v11, v3
	v_sub_f32_e32 v9, v9, v3
	v_mul_f32_e32 v3, v8, v10
	v_fma_f32 v8, v8, v10, -v3
	v_fmac_f32_e32 v8, v2, v10
	v_add_f32_e32 v10, v3, v8
	v_sub_f32_e32 v2, v10, v3
	v_sub_f32_e32 v8, v8, v2
	v_cvt_f64_f32_e64 v[2:3], |v5|
	v_add_f32_e32 v12, 0x3f2aaaaa, v10
	v_add_f32_e32 v13, 0xbf2aaaaa, v12
	v_add_f32_e32 v8, 0x31739010, v8
	v_frexp_exp_i32_f64_e32 v2, v[2:3]
	v_sub_f32_e32 v10, v10, v13
	v_add_f32_e32 v3, v8, v10
	v_add_f32_e32 v8, v12, v3
	v_sub_f32_e32 v10, v12, v8
	v_add_f32_e32 v3, v3, v10
	v_mul_f32_e32 v10, v11, v8
	v_fma_f32 v12, v11, v8, -v10
	v_subbrev_co_u32_e32 v2, vcc, 0, v2, vcc
	v_cvt_f32_i32_e32 v2, v2
	v_fmac_f32_e32 v12, v11, v3
	s_mov_b32 s6, 0x3f317218
	v_fmac_f32_e32 v12, v9, v8
	v_mul_f32_e32 v3, 0x3f317218, v2
	v_fma_f32 v8, v2, s6, -v3
	v_fmac_f32_e32 v8, 0xb102e308, v2
	v_ldexp_f32 v2, v7, 1
	v_add_f32_e32 v7, v3, v8
	v_sub_f32_e32 v3, v7, v3
	v_ldexp_f32 v6, v6, 1
	v_sub_f32_e32 v3, v8, v3
	v_add_f32_e32 v8, v10, v12
	v_sub_f32_e32 v9, v8, v10
	v_add_f32_e32 v10, v6, v8
	v_sub_f32_e32 v9, v12, v9
	v_sub_f32_e32 v6, v10, v6
	;; [unrolled: 1-line block ×3, first 2 shown]
	v_add_f32_e32 v2, v2, v9
	v_add_f32_e32 v2, v2, v6
	v_add_f32_e32 v6, v10, v2
	v_sub_f32_e32 v8, v6, v10
	v_sub_f32_e32 v2, v2, v8
	v_add_f32_e32 v8, v7, v6
	v_sub_f32_e32 v9, v8, v7
	v_sub_f32_e32 v10, v8, v9
	;; [unrolled: 1-line block ×4, first 2 shown]
	v_add_f32_e32 v6, v6, v7
	v_add_f32_e32 v7, v3, v2
	v_sub_f32_e32 v9, v7, v3
	v_sub_f32_e32 v10, v7, v9
	;; [unrolled: 1-line block ×4, first 2 shown]
	v_add_f32_e32 v2, v2, v3
	v_add_f32_e32 v3, v7, v6
	;; [unrolled: 1-line block ×3, first 2 shown]
	v_sub_f32_e32 v7, v6, v8
	v_sub_f32_e32 v3, v3, v7
	v_add_f32_e32 v2, v2, v3
	v_add_f32_e32 v3, v6, v2
	v_sub_f32_e32 v6, v3, v6
	v_sub_f32_e32 v2, v2, v6
	v_mul_f32_e32 v6, v4, v3
	v_fma_f32 v3, v4, v3, -v6
	v_fmac_f32_e32 v3, v4, v2
	v_add_f32_e32 v2, v6, v3
	v_cmp_class_f32_e64 vcc, v6, s10
	v_sub_f32_e32 v7, v2, v6
	v_cndmask_b32_e32 v2, v2, v6, vcc
	s_mov_b32 s7, 0x42b17218
	v_mov_b32_e32 v6, 0x37000000
	v_cmp_eq_f32_e32 vcc, s7, v2
	v_cndmask_b32_e32 v6, 0, v6, vcc
	v_sub_f32_e32 v3, v3, v7
	v_sub_f32_e32 v7, v2, v6
	s_mov_b32 s11, 0x3fb8aa3b
	v_mul_f32_e32 v8, 0x3fb8aa3b, v7
	v_fma_f32 v9, v7, s11, -v8
	v_rndne_f32_e32 v10, v8
	v_fmac_f32_e32 v9, 0x32a5705f, v7
	v_sub_f32_e32 v8, v8, v10
	v_add_f32_e32 v8, v8, v9
	v_exp_f32_e32 v8, v8
	v_cvt_i32_f32_e32 v9, v10
	s_mov_b32 s6, 0x7f800000
	v_cmp_neq_f32_e64 vcc, |v2|, s6
	s_mov_b32 s6, 0xc2ce8ed0
	v_cndmask_b32_e32 v2, 0, v3, vcc
	v_ldexp_f32 v3, v8, v9
	v_cmp_ngt_f32_e32 vcc, s6, v7
	v_add_f32_e32 v2, v6, v2
	v_cndmask_b32_e32 v3, 0, v3, vcc
	v_mov_b32_e32 v6, 0x7f800000
	v_cmp_nlt_f32_e32 vcc, s7, v7
	v_cndmask_b32_e32 v3, v6, v3, vcc
	v_fma_f32 v2, v3, v2, v3
	v_cmp_class_f32_e64 vcc, v3, s10
	v_cndmask_b32_e32 v2, v2, v3, vcc
	v_trunc_f32_e32 v3, v4
	v_cmp_eq_f32_e32 vcc, v3, v4
	v_mul_f32_e32 v3, 0.5, v4
	v_trunc_f32_e32 v8, v3
	v_cmp_neq_f32_e64 s[6:7], v8, v3
	s_and_b64 s[6:7], vcc, s[6:7]
	v_cndmask_b32_e64 v3, 1.0, v5, s[6:7]
	s_brev_b32 s35, -2
	v_mov_b32_e32 v7, 0x7fc00000
	v_bfi_b32 v2, s35, v2, v3
	v_cndmask_b32_e32 v3, v7, v2, vcc
	v_cmp_gt_f32_e32 vcc, 0, v5
	v_cndmask_b32_e32 v2, v2, v3, vcc
	v_cmp_class_f32_e64 s[38:39], v5, s10
	v_cmp_eq_f32_e32 vcc, 0, v5
	v_cmp_gt_f32_e64 s[10:11], 0, v4
	s_xor_b64 s[10:11], s[10:11], vcc
	v_cndmask_b32_e64 v3, v6, 0, s[10:11]
	v_cndmask_b32_e64 v4, 0, v5, s[6:7]
	v_bfi_b32 v3, s35, v3, v4
	s_or_b64 vcc, vcc, s[38:39]
	v_cndmask_b32_e32 v2, v2, v3, vcc
	v_cmp_o_f32_e32 vcc, v5, v5
	v_cndmask_b32_e32 v40, v7, v2, vcc
.LBB55_4:
	v_lshlrev_b32_e32 v3, 7, v1
	v_and_b32_e32 v3, 0x180, v3
	v_lshlrev_b32_e32 v33, 2, v0
	s_lshl_b32 s6, s8, 1
	v_lshrrev_b32_e32 v2, 2, v1
	v_add_u32_e32 v4, v3, v33
	s_movk_i32 s7, 0x100
	s_mul_hi_u32 s10, s18, s19
	v_cmp_gt_u32_e32 vcc, s7, v4
	v_lshlrev_b32_e32 v39, 3, v0
	v_add_u32_e32 v34, s6, v2
	v_lshlrev_b32_e32 v37, 2, v33
	s_and_saveexec_b64 s[6:7], vcc
	s_cbranch_execz .LBB55_6
; %bb.5:
	s_load_dwordx4 s[48:51], s[4:5], 0x70
	v_mul_hi_u32 v4, s28, v34
	v_lshlrev_b32_e32 v3, 2, v3
	v_lshlrev_b32_e32 v7, 8, v1
	;; [unrolled: 1-line block ×3, first 2 shown]
	v_add_u32_e32 v4, v34, v4
	s_waitcnt lgkmcnt(0)
	s_mul_i32 s11, s33, s50
	s_ashr_i32 s35, s11, 31
	v_lshrrev_b32_e32 v4, s29, v4
	s_mul_i32 s19, s34, s49
	s_add_u32 s11, s12, s11
	v_mul_lo_u32 v4, v4, s30
	s_addc_u32 s12, s13, s35
	s_ashr_i32 s13, s19, 31
	s_add_u32 s11, s11, s19
	s_addc_u32 s19, s12, s13
	s_ashr_i32 s49, s48, 31
	s_lshr_b64 s[12:13], s[48:49], 2
	v_sub_u32_e32 v6, v34, v4
	v_mad_u64_u32 v[4:5], s[12:13], s12, v6, 0
	s_lshr_b32 s12, s49, 2
	v_and_b32_e32 v7, 0x300, v7
	v_mad_u64_u32 v[5:6], s[12:13], s12, v6, v[5:6]
	v_mov_b32_e32 v6, s19
	v_add3_u32 v7, v2, v7, v39
	v_lshlrev_b64 v[4:5], 2, v[4:5]
	v_add_co_u32_e32 v4, vcc, s11, v4
	v_addc_co_u32_e32 v5, vcc, v6, v5, vcc
	v_add_co_u32_e32 v3, vcc, v4, v3
	v_addc_co_u32_e32 v4, vcc, 0, v5, vcc
	;; [unrolled: 2-line block ×3, first 2 shown]
	global_load_dwordx4 v[3:6], v[3:4], off
	s_waitcnt vmcnt(0)
	v_fma_mixlo_f16 v2, s36, v3, 0
	v_fma_mixlo_f16 v3, s36, v4, 0
	;; [unrolled: 1-line block ×4, first 2 shown]
	v_lshlrev_b32_e32 v3, 16, v3
	v_and_b32_e32 v2, 0xffff, v2
	v_lshlrev_b32_e32 v5, 16, v5
	v_and_b32_e32 v4, 0xffff, v4
	v_or_b32_e32 v2, v3, v2
	v_or3_b32 v3, v5, v4, 0
	v_or3_b32 v2, 0, 0, v2
	ds_write_b64 v7, v[2:3] offset:18432
.LBB55_6:
	s_or_b64 exec, exec, s[6:7]
	s_ashr_i32 s35, s34, 31
	s_ashr_i32 s6, s46, 31
	s_cmp_eq_u64 s[22:23], 0
	s_waitcnt lgkmcnt(0)
	s_barrier
	s_cbranch_scc1 .LBB55_8
; %bb.7:
	s_load_dword s7, s[4:5], 0xd0
	s_mov_b32 s13, 0
	s_waitcnt lgkmcnt(0)
	s_mul_i32 s7, s7, s33
	s_add_i32 s12, s7, s8
	s_lshl_b64 s[12:13], s[12:13], 2
	s_add_u32 s12, s22, s12
	s_addc_u32 s13, s23, s13
	s_load_dword s42, s[12:13], 0x0
.LBB55_8:
	s_nop 0
	s_load_dwordx2 s[12:13], s[4:5], 0x8c
	s_load_dwordx4 s[36:39], s[4:5], 0x98
	s_load_dwordx2 s[46:47], s[4:5], 0xa8
	s_ashr_i32 s7, s33, 31
	s_ashr_i32 s19, s45, 1
	s_waitcnt lgkmcnt(0)
	s_ashr_i32 s23, s12, 2
	s_mul_hi_u32 s11, s36, s33
	s_mul_i32 s12, s36, s7
	s_add_i32 s11, s11, s12
	s_mul_i32 s12, s37, s33
	s_ashr_i32 s8, s38, 2
	s_add_i32 s11, s11, s12
	s_mul_i32 s12, s36, s33
	s_add_u32 s12, s14, s12
	s_mul_i32 s14, s10, s43
	s_addc_u32 s11, s15, s11
	s_sub_i32 s14, s18, s14
	s_xor_b32 s6, s35, s6
	s_add_i32 s15, s10, 1
	s_sub_i32 s18, s14, s43
	s_cmp_ge_u32 s14, s43
	s_cselect_b32 s10, s15, s10
	s_cselect_b32 s14, s18, s14
	s_add_i32 s15, s10, 1
	s_cmp_ge_u32 s14, s43
	s_cselect_b32 s10, s15, s10
	s_xor_b32 s10, s10, s6
	s_sub_i32 s6, s10, s6
	s_mul_i32 s10, s6, s13
	s_ashr_i32 s13, s10, 31
	s_add_u32 s36, s12, s10
	s_mul_hi_u32 s10, s46, s33
	s_mul_i32 s7, s46, s7
	s_addc_u32 s37, s11, s13
	s_add_i32 s7, s10, s7
	s_mul_i32 s10, s47, s33
	s_add_i32 s7, s7, s10
	s_mul_i32 s10, s46, s33
	s_add_u32 s10, s16, s10
	s_mul_i32 s6, s6, s39
	s_addc_u32 s7, s17, s7
	s_ashr_i32 s11, s6, 31
	v_mul_lo_u32 v6, s8, v1
	s_add_u32 s16, s10, s6
	s_addc_u32 s17, s7, s11
	s_lshl_b32 s18, s9, 7
	s_add_i32 s22, s42, 0xffffff80
	s_cmp_ge_i32 s18, s22
	v_lshlrev_b32_e32 v35, 2, v1
	v_lshrrev_b32_e32 v45, 3, v0
	v_and_b32_e32 v44, 28, v33
	v_lshlrev_b32_e32 v43, 5, v1
	v_and_b32_e32 v41, 3, v0
	v_and_b32_e32 v36, 3, v1
	v_mbcnt_lo_u32_b32 v42, -1, 0
	s_cbranch_scc1 .LBB55_16
; %bb.9:
	v_mul_hi_u32 v8, s28, v34
	v_add_u32_e32 v2, v45, v35
	v_mul_lo_u32 v4, s23, v2
	v_lshlrev_b32_e32 v5, 2, v44
	v_add_u32_e32 v8, v34, v8
	v_lshrrev_b32_e32 v8, s29, v8
	v_mul_lo_u32 v8, v8, s30
	s_movk_i32 s6, 0x90
	v_mad_u32_u24 v46, v2, s6, v5
	s_lshl_b32 s6, s23, 5
	v_add_u32_e32 v11, s6, v4
	v_and_b32_e32 v7, 0x60, v43
	v_mov_b32_e32 v3, 0
	v_add_u32_e32 v13, s6, v11
	v_add_u32_e32 v2, v7, v0
	v_and_b32_e32 v10, 0x1f80, v43
	v_mov_b32_e32 v9, 0x4800
	v_sub_u32_e32 v8, v34, v8
	v_add_u32_e32 v15, s6, v13
	v_lshl_add_u32 v51, v10, 2, v9
	s_cmp_lg_u64 s[40:41], 0
	v_mad_u64_u32 v[8:9], s[6:7], v8, s19, v[2:3]
	s_movk_i32 s12, 0xfc
	v_mul_u32_u24_e32 v50, 0x90, v2
	s_cselect_b64 s[10:11], -1, 0
	v_and_or_b32 v2, v1, s12, v41
	v_mov_b32_e32 v9, 0x4e00
	s_lshl_b32 s12, s8, 3
	v_lshl_add_u32 v53, v2, 2, v9
	v_mov_b32_e32 v2, 0x4c00
	v_add_u32_e32 v19, s12, v6
	v_lshl_add_u32 v2, v10, 1, v2
	v_add_u32_e32 v21, s12, v19
	v_lshl_or_b32 v7, v7, 1, v2
	v_add_u32_e32 v23, s12, v21
	v_ashrrev_i32_e32 v5, 31, v4
	v_ashrrev_i32_e32 v12, 31, v11
	;; [unrolled: 1-line block ×4, first 2 shown]
	v_lshl_add_u32 v54, v0, 1, v7
	v_ashrrev_i32_e32 v7, 31, v6
	v_ashrrev_i32_e32 v20, 31, v19
	v_ashrrev_i32_e32 v22, 31, v21
	v_ashrrev_i32_e32 v24, 31, v23
	v_and_b32_e32 v9, 3, v1
	v_lshl_add_u32 v55, v1, 9, v37
	v_lshl_or_b32 v59, v9, 1, v2
	v_lshl_add_u32 v60, v9, 9, v39
	s_add_u32 s12, s4, 0xd0
	v_lshlrev_b64 v[9:10], 2, v[4:5]
	v_lshlrev_b64 v[11:12], 2, v[11:12]
	;; [unrolled: 1-line block ×4, first 2 shown]
	v_cndmask_b32_e64 v2, 0, 1, s[10:11]
	v_lshlrev_b64 v[17:18], 2, v[6:7]
	v_lshlrev_b64 v[19:20], 2, v[19:20]
	;; [unrolled: 1-line block ×4, first 2 shown]
	v_add_u32_e32 v47, 0x1200, v46
	v_add_u32_e32 v48, 0x2400, v46
	v_add_u32_e32 v49, 0x3600, v46
	v_cmp_eq_u32_e64 s[6:7], 0, v0
	v_add_u32_e32 v52, 0x4e00, v35
	v_add_u32_e32 v56, 0x1000, v55
	;; [unrolled: 1-line block ×4, first 2 shown]
	s_addc_u32 s13, s5, 0
	v_mov_b32_e32 v65, 0xfeffffff
	v_lshlrev_b32_e32 v61, 2, v44
	v_mbcnt_hi_u32_b32 v62, -1, v42
	s_mov_b32 s38, 0x3fb8aa3b
	s_mov_b32 s39, 0xc2ce8ed0
	;; [unrolled: 1-line block ×3, first 2 shown]
	v_lshlrev_b32_e32 v63, 2, v33
	v_cmp_ne_u32_e64 s[10:11], 1, v2
	v_mov_b32_e32 v64, 0x7f800000
	v_mov_b32_e32 v2, v3
	v_mov_b32_e32 v4, v3
	v_mov_b32_e32 v5, v3
	v_mov_b32_e32 v38, v3
.LBB55_10:                              ; =>This Inner Loop Header: Depth=1
	s_mul_hi_i32 s15, s18, s23
	s_mul_i32 s14, s18, s23
	s_lshl_b64 s[14:15], s[14:15], 2
	s_add_u32 s14, s36, s14
	s_addc_u32 s15, s37, s15
	v_mov_b32_e32 v7, s15
	v_add_co_u32_e32 v25, vcc, s14, v9
	v_addc_co_u32_e32 v7, vcc, v7, v10, vcc
	v_add_co_u32_e32 v25, vcc, v25, v61
	v_addc_co_u32_e32 v26, vcc, 0, v7, vcc
	v_mov_b32_e32 v7, s15
	v_add_co_u32_e32 v27, vcc, s14, v11
	v_addc_co_u32_e32 v7, vcc, v7, v12, vcc
	v_add_co_u32_e32 v27, vcc, v27, v61
	v_addc_co_u32_e32 v28, vcc, 0, v7, vcc
	;; [unrolled: 5-line block ×3, first 2 shown]
	v_mov_b32_e32 v7, s15
	v_add_co_u32_e32 v31, vcc, s14, v15
	v_addc_co_u32_e32 v7, vcc, v7, v16, vcc
	v_add_co_u32_e32 v31, vcc, v31, v61
	global_load_dwordx4 v[66:69], v[25:26], off
	global_load_dwordx4 v[70:73], v[27:28], off
	v_addc_co_u32_e32 v32, vcc, 0, v7, vcc
	global_load_dwordx4 v[74:77], v[29:30], off
	global_load_dwordx4 v[78:81], v[31:32], off
	v_mov_b32_e32 v7, 0
	s_and_b64 vcc, exec, s[10:11]
	s_waitcnt vmcnt(3)
	ds_write_b128 v46, v[66:69]
	s_waitcnt vmcnt(2)
	ds_write_b128 v47, v[70:73]
	;; [unrolled: 2-line block ×4, first 2 shown]
	s_waitcnt lgkmcnt(0)
	s_barrier
	ds_read_b128 v[66:69], v50
	ds_read_b128 v[70:73], v51
	s_waitcnt lgkmcnt(0)
	;;#ASMSTART
	v_dot2_f32_f16 v7, v66, v70, v7
	;;#ASMEND
	;;#ASMSTART
	v_dot2_f32_f16 v7, v67, v71, v7
	;;#ASMEND
	;;#ASMSTART
	v_dot2_f32_f16 v7, v68, v72, v7
	;;#ASMEND
	;;#ASMSTART
	v_dot2_f32_f16 v7, v69, v73, v7
	;;#ASMEND
	ds_read_b128 v[66:69], v50 offset:16
	ds_read_b128 v[70:73], v51 offset:16
	s_waitcnt lgkmcnt(0)
	;;#ASMSTART
	v_dot2_f32_f16 v7, v66, v70, v7
	;;#ASMEND
	;;#ASMSTART
	v_dot2_f32_f16 v7, v67, v71, v7
	;;#ASMEND
	;;#ASMSTART
	v_dot2_f32_f16 v7, v68, v72, v7
	;;#ASMEND
	;;#ASMSTART
	v_dot2_f32_f16 v7, v69, v73, v7
	;;#ASMEND
	ds_read_b128 v[66:69], v50 offset:32
	ds_read_b128 v[70:73], v51 offset:32
	;; [unrolled: 15-line block ×7, first 2 shown]
	s_waitcnt lgkmcnt(0)
	;;#ASMSTART
	v_dot2_f32_f16 v7, v66, v70, v7
	;;#ASMEND
	;;#ASMSTART
	v_dot2_f32_f16 v7, v67, v71, v7
	;;#ASMEND
	;; [unrolled: 3-line block ×4, first 2 shown]
	s_barrier
	global_load_dwordx4 v[66:69], v[25:26], off offset:128
	global_load_dwordx4 v[70:73], v[27:28], off offset:128
	;; [unrolled: 1-line block ×4, first 2 shown]
	s_waitcnt vmcnt(3)
	ds_write_b128 v46, v[66:69]
	s_waitcnt vmcnt(2)
	ds_write_b128 v47, v[70:73]
	;; [unrolled: 2-line block ×4, first 2 shown]
	s_waitcnt lgkmcnt(0)
	s_barrier
	ds_read_b128 v[66:69], v50
	ds_read_b128 v[70:73], v51 offset:128
	s_waitcnt lgkmcnt(0)
	;;#ASMSTART
	v_dot2_f32_f16 v7, v66, v70, v7
	;;#ASMEND
	;;#ASMSTART
	v_dot2_f32_f16 v7, v67, v71, v7
	;;#ASMEND
	;;#ASMSTART
	v_dot2_f32_f16 v7, v68, v72, v7
	;;#ASMEND
	;;#ASMSTART
	v_dot2_f32_f16 v7, v69, v73, v7
	;;#ASMEND
	ds_read_b128 v[66:69], v50 offset:16
	ds_read_b128 v[70:73], v51 offset:144
	s_waitcnt lgkmcnt(0)
	;;#ASMSTART
	v_dot2_f32_f16 v7, v66, v70, v7
	;;#ASMEND
	;;#ASMSTART
	v_dot2_f32_f16 v7, v67, v71, v7
	;;#ASMEND
	;;#ASMSTART
	v_dot2_f32_f16 v7, v68, v72, v7
	;;#ASMEND
	;;#ASMSTART
	v_dot2_f32_f16 v7, v69, v73, v7
	;;#ASMEND
	ds_read_b128 v[66:69], v50 offset:32
	;; [unrolled: 15-line block ×7, first 2 shown]
	ds_read_b128 v[70:73], v51 offset:240
	s_waitcnt lgkmcnt(0)
	;;#ASMSTART
	v_dot2_f32_f16 v7, v66, v70, v7
	;;#ASMEND
	;;#ASMSTART
	v_dot2_f32_f16 v7, v67, v71, v7
	;;#ASMEND
	;; [unrolled: 3-line block ×4, first 2 shown]
	s_barrier
	global_load_dwordx4 v[66:69], v[25:26], off offset:256
	global_load_dwordx4 v[70:73], v[27:28], off offset:256
	;; [unrolled: 1-line block ×4, first 2 shown]
	s_waitcnt vmcnt(3)
	ds_write_b128 v46, v[66:69]
	s_waitcnt vmcnt(2)
	ds_write_b128 v47, v[70:73]
	s_waitcnt vmcnt(1)
	ds_write_b128 v48, v[74:77]
	s_waitcnt vmcnt(0)
	ds_write_b128 v49, v[78:81]
	s_waitcnt lgkmcnt(0)
	s_barrier
	ds_read_b128 v[66:69], v50
	ds_read_b128 v[70:73], v51 offset:256
	s_waitcnt lgkmcnt(0)
	;;#ASMSTART
	v_dot2_f32_f16 v7, v66, v70, v7
	;;#ASMEND
	;;#ASMSTART
	v_dot2_f32_f16 v7, v67, v71, v7
	;;#ASMEND
	;;#ASMSTART
	v_dot2_f32_f16 v7, v68, v72, v7
	;;#ASMEND
	;;#ASMSTART
	v_dot2_f32_f16 v7, v69, v73, v7
	;;#ASMEND
	ds_read_b128 v[66:69], v50 offset:16
	ds_read_b128 v[70:73], v51 offset:272
	s_waitcnt lgkmcnt(0)
	;;#ASMSTART
	v_dot2_f32_f16 v7, v66, v70, v7
	;;#ASMEND
	;;#ASMSTART
	v_dot2_f32_f16 v7, v67, v71, v7
	;;#ASMEND
	;;#ASMSTART
	v_dot2_f32_f16 v7, v68, v72, v7
	;;#ASMEND
	;;#ASMSTART
	v_dot2_f32_f16 v7, v69, v73, v7
	;;#ASMEND
	ds_read_b128 v[66:69], v50 offset:32
	;; [unrolled: 15-line block ×7, first 2 shown]
	ds_read_b128 v[70:73], v51 offset:368
	s_waitcnt lgkmcnt(0)
	;;#ASMSTART
	v_dot2_f32_f16 v7, v66, v70, v7
	;;#ASMEND
	;;#ASMSTART
	v_dot2_f32_f16 v7, v67, v71, v7
	;;#ASMEND
	;;#ASMSTART
	v_dot2_f32_f16 v7, v68, v72, v7
	;;#ASMEND
	;;#ASMSTART
	v_dot2_f32_f16 v7, v69, v73, v7
	;;#ASMEND
	s_barrier
	global_load_dwordx4 v[66:69], v[25:26], off offset:384
	s_nop 0
	global_load_dwordx4 v[25:28], v[27:28], off offset:384
	s_nop 0
	;; [unrolled: 2-line block ×3, first 2 shown]
	global_load_dwordx4 v[29:32], v[31:32], off offset:384
	s_waitcnt vmcnt(3)
	ds_write_b128 v46, v[66:69]
	s_waitcnt vmcnt(2)
	ds_write_b128 v47, v[25:28]
	;; [unrolled: 2-line block ×4, first 2 shown]
	s_waitcnt lgkmcnt(0)
	s_barrier
	ds_read_b128 v[25:28], v50
	ds_read_b128 v[29:32], v51 offset:384
	s_waitcnt lgkmcnt(0)
	;;#ASMSTART
	v_dot2_f32_f16 v7, v25, v29, v7
	;;#ASMEND
	;;#ASMSTART
	v_dot2_f32_f16 v7, v26, v30, v7
	;;#ASMEND
	;;#ASMSTART
	v_dot2_f32_f16 v7, v27, v31, v7
	;;#ASMEND
	;;#ASMSTART
	v_dot2_f32_f16 v7, v28, v32, v7
	;;#ASMEND
	ds_read_b128 v[25:28], v50 offset:16
	ds_read_b128 v[29:32], v51 offset:400
	s_waitcnt lgkmcnt(0)
	;;#ASMSTART
	v_dot2_f32_f16 v7, v25, v29, v7
	;;#ASMEND
	;;#ASMSTART
	v_dot2_f32_f16 v7, v26, v30, v7
	;;#ASMEND
	;;#ASMSTART
	v_dot2_f32_f16 v7, v27, v31, v7
	;;#ASMEND
	;;#ASMSTART
	v_dot2_f32_f16 v7, v28, v32, v7
	;;#ASMEND
	ds_read_b128 v[25:28], v50 offset:32
	;; [unrolled: 15-line block ×7, first 2 shown]
	ds_read_b128 v[29:32], v51 offset:496
	s_waitcnt lgkmcnt(0)
	;;#ASMSTART
	v_dot2_f32_f16 v7, v25, v29, v7
	;;#ASMEND
	;;#ASMSTART
	v_dot2_f32_f16 v7, v26, v30, v7
	;;#ASMEND
	;; [unrolled: 3-line block ×3, first 2 shown]
	v_mov_b32_e32 v25, 0
	;;#ASMSTART
	v_dot2_f32_f16 v7, v28, v32, v7
	;;#ASMEND
	s_cbranch_vccnz .LBB55_12
; %bb.11:                               ;   in Loop: Header=BB55_10 Depth=1
	v_add_u32_e32 v25, s18, v8
	v_ashrrev_i32_e32 v26, 31, v25
	v_lshlrev_b64 v[25:26], 1, v[25:26]
	v_mov_b32_e32 v27, s41
	v_add_co_u32_e32 v25, vcc, s40, v25
	v_addc_co_u32_e32 v26, vcc, v27, v26, vcc
	global_load_ushort v25, v[25:26], off
	s_waitcnt vmcnt(0)
	v_cvt_f32_f16_e32 v25, v25
	v_mul_f32_e32 v25, v40, v25
.LBB55_12:                              ;   in Loop: Header=BB55_10 Depth=1
	v_and_b32_e32 v26, 0x60, v62
	v_add_u32_e32 v27, 32, v26
	v_xor_b32_e32 v26, 16, v62
	v_cmp_lt_i32_e32 vcc, v26, v27
	v_add_f32_e32 v25, v7, v25
	v_cndmask_b32_e32 v26, v62, v26, vcc
	v_add_f32_e32 v7, 0x40051340, v25
	v_max_f32_e32 v28, v65, v65
	v_lshlrev_b32_e32 v26, 2, v26
	v_max_f32_e32 v7, v28, v7
	ds_bpermute_b32 v26, v26, v7
	v_xor_b32_e32 v28, 8, v62
	v_cmp_lt_i32_e32 vcc, v28, v27
	v_cndmask_b32_e32 v28, v62, v28, vcc
	v_lshlrev_b32_e32 v28, 2, v28
	s_waitcnt lgkmcnt(0)
	v_max_f32_e32 v26, v26, v26
	v_max_f32_e32 v7, v7, v26
	ds_bpermute_b32 v26, v28, v7
	v_xor_b32_e32 v28, 4, v62
	v_cmp_lt_i32_e32 vcc, v28, v27
	v_cndmask_b32_e32 v28, v62, v28, vcc
	v_lshlrev_b32_e32 v28, 2, v28
	s_waitcnt lgkmcnt(0)
	v_max_f32_e32 v26, v26, v26
	v_max_f32_e32 v26, v7, v26
	ds_bpermute_b32 v28, v28, v26
	v_xor_b32_e32 v7, 2, v62
	v_cmp_lt_i32_e32 vcc, v7, v27
	v_cndmask_b32_e32 v29, v62, v7, vcc
	v_lshlrev_b32_e32 v29, 2, v29
	s_waitcnt lgkmcnt(0)
	v_max_f32_e32 v28, v28, v28
	v_max_f32_e32 v28, v26, v28
	ds_bpermute_b32 v29, v29, v28
	v_xor_b32_e32 v26, 1, v62
	v_cmp_lt_i32_e32 vcc, v26, v27
	v_cndmask_b32_e32 v27, v62, v26, vcc
	v_lshlrev_b32_e32 v30, 2, v27
	s_waitcnt lgkmcnt(0)
	v_max_f32_e32 v27, v29, v29
	v_max_f32_e32 v27, v28, v27
	ds_bpermute_b32 v28, v30, v27
	s_and_saveexec_b64 s[14:15], s[6:7]
	s_cbranch_execz .LBB55_14
; %bb.13:                               ;   in Loop: Header=BB55_10 Depth=1
	s_waitcnt lgkmcnt(0)
	v_max_f32_e32 v28, v28, v28
	v_max_f32_e32 v27, v27, v27
	;; [unrolled: 1-line block ×3, first 2 shown]
	ds_write_b32 v52, v27
.LBB55_14:                              ;   in Loop: Header=BB55_10 Depth=1
	s_or_b64 exec, exec, s[14:15]
	s_waitcnt lgkmcnt(0)
	s_barrier
	ds_read_b32 v27, v53
	v_and_b32_e32 v28, 0x7c, v62
	v_add_u32_e32 v28, 4, v28
	v_cmp_lt_i32_e32 vcc, v7, v28
	v_cndmask_b32_e32 v7, v62, v7, vcc
	v_lshlrev_b32_e32 v7, 2, v7
	s_waitcnt lgkmcnt(0)
	ds_bpermute_b32 v7, v7, v27
	v_cmp_lt_i32_e32 vcc, v26, v28
	v_max_f32_e32 v27, v27, v27
	v_cndmask_b32_e32 v26, v62, v26, vcc
	v_lshlrev_b32_e32 v26, 2, v26
	s_waitcnt lgkmcnt(0)
	v_max_f32_e32 v7, v7, v7
	v_max_f32_e32 v7, v27, v7
	ds_bpermute_b32 v26, v26, v7
	s_mul_hi_i32 s15, s18, s8
	s_mul_i32 s14, s18, s8
	s_lshl_b64 s[14:15], s[14:15], 2
	s_add_u32 s14, s16, s14
	s_waitcnt lgkmcnt(0)
	v_max_f32_e32 v26, v26, v26
	v_max_f32_e32 v7, v7, v26
	v_sub_f32_e32 v25, v25, v7
	v_mul_f32_e32 v26, 0x3fb8aa3b, v25
	v_fma_f32 v27, v25, s38, -v26
	v_rndne_f32_e32 v28, v26
	v_fmac_f32_e32 v27, 0x32a5705f, v25
	v_sub_f32_e32 v26, v26, v28
	v_add_f32_e32 v26, v26, v27
	v_exp_f32_e32 v26, v26
	v_cvt_i32_f32_e32 v27, v28
	v_cmp_ngt_f32_e32 vcc, s39, v25
	s_addc_u32 s15, s17, s15
	v_ldexp_f32 v26, v26, v27
	v_cndmask_b32_e32 v26, 0, v26, vcc
	v_cmp_nlt_f32_e32 vcc, s43, v25
	v_cndmask_b32_e32 v25, v64, v26, vcc
	v_sub_f32_e32 v26, v65, v7
	v_mul_f32_e32 v27, 0x3fb8aa3b, v26
	v_fma_f32 v28, v26, s38, -v27
	v_rndne_f32_e32 v29, v27
	v_fmac_f32_e32 v28, 0x32a5705f, v26
	v_sub_f32_e32 v27, v27, v29
	v_add_f32_e32 v27, v27, v28
	v_exp_f32_e32 v27, v27
	v_cvt_i32_f32_e32 v28, v29
	v_cmp_ngt_f32_e32 vcc, s39, v26
	v_ldexp_f32 v27, v27, v28
	v_cndmask_b32_e32 v27, 0, v27, vcc
	v_cmp_nlt_f32_e32 vcc, s43, v26
	v_cndmask_b32_e32 v26, v64, v27, vcc
	v_fma_f32 v38, v38, v26, v25
	v_cvt_f16_f32_e32 v26, v26
	v_mul_u32_u24_e32 v29, 0x10001, v26
	v_pk_mul_f16 v30, v4, v29
	v_cvt_f16_f32_e32 v4, v25
	v_pk_mul_f16 v31, v5, v29
	v_mov_b32_e32 v5, s15
	ds_write_b16 v54, v4
	v_add_co_u32_e32 v4, vcc, s14, v17
	v_addc_co_u32_e32 v5, vcc, v5, v18, vcc
	v_add_co_u32_e32 v4, vcc, v4, v63
	v_addc_co_u32_e32 v5, vcc, 0, v5, vcc
	global_load_dwordx4 v[25:28], v[4:5], off
	v_add_co_u32_e32 v4, vcc, s14, v19
	v_mov_b32_e32 v5, s15
	v_addc_co_u32_e32 v5, vcc, v5, v20, vcc
	v_add_co_u32_e32 v4, vcc, v4, v63
	v_addc_co_u32_e32 v5, vcc, 0, v5, vcc
	s_waitcnt vmcnt(0)
	ds_write_b128 v55, v[25:28]
	global_load_dwordx4 v[25:28], v[4:5], off
	v_add_co_u32_e32 v4, vcc, s14, v21
	v_mov_b32_e32 v5, s15
	v_addc_co_u32_e32 v5, vcc, v5, v22, vcc
	v_add_co_u32_e32 v4, vcc, v4, v63
	v_addc_co_u32_e32 v5, vcc, 0, v5, vcc
	s_waitcnt vmcnt(0)
	ds_write_b128 v56, v[25:28]
	global_load_dwordx4 v[25:28], v[4:5], off
	v_add_co_u32_e32 v4, vcc, s14, v23
	v_mov_b32_e32 v5, s15
	v_addc_co_u32_e32 v5, vcc, v5, v24, vcc
	v_add_co_u32_e32 v4, vcc, v4, v63
	v_addc_co_u32_e32 v5, vcc, 0, v5, vcc
	s_or_b32 s14, s18, 32
	s_mul_hi_i32 s15, s14, s8
	s_mul_i32 s14, s14, s8
	s_lshl_b64 s[14:15], s[14:15], 2
	s_add_u32 s14, s16, s14
	s_addc_u32 s15, s17, s15
	s_waitcnt vmcnt(0)
	ds_write_b128 v57, v[25:28]
	global_load_dwordx4 v[25:28], v[4:5], off
	s_waitcnt vmcnt(0)
	ds_write_b128 v58, v[25:28]
	s_waitcnt lgkmcnt(0)
	s_barrier
	ds_read2_b64 v[25:28], v60 offset1:32
	ds_read_u16 v4, v59
	ds_read_u16 v32, v59 offset:8
	ds_read_u16 v65, v59 offset:16
	;; [unrolled: 1-line block ×7, first 2 shown]
	s_waitcnt lgkmcnt(7)
	v_mul_u32_u24_e32 v4, 0x10001, v4
	v_pk_mul_f16 v5, v25, v4
	v_pk_fma_f16 v25, v2, v29, v5
	v_pk_mul_f16 v2, v26, v4
	v_add_u32_e32 v26, 0x800, v60
	v_pk_fma_f16 v29, v3, v29, v2
	v_pk_fma_f16 v27, v27, v4, v30
	;; [unrolled: 1-line block ×3, first 2 shown]
	ds_read2_b64 v[2:5], v26 offset1:32
	s_waitcnt lgkmcnt(7)
	v_mul_u32_u24_e32 v30, 0x10001, v32
	s_waitcnt lgkmcnt(6)
	v_mul_u32_u24_e32 v31, 0x10001, v65
	s_waitcnt lgkmcnt(0)
	v_pk_fma_f16 v25, v2, v30, v25
	v_add_u32_e32 v2, 0x1000, v60
	v_pk_fma_f16 v3, v3, v30, v29
	v_pk_fma_f16 v4, v4, v30, v27
	;; [unrolled: 1-line block ×3, first 2 shown]
	ds_read2_b64 v[27:30], v2 offset1:32
	s_waitcnt lgkmcnt(0)
	v_pk_fma_f16 v32, v28, v31, v3
	v_add_u32_e32 v3, 0x1800, v60
	v_pk_fma_f16 v25, v27, v31, v25
	v_pk_fma_f16 v4, v29, v31, v4
	;; [unrolled: 1-line block ×3, first 2 shown]
	ds_read2_b64 v[27:30], v3 offset1:32
	v_mul_u32_u24_e32 v31, 0x10001, v66
	v_mul_u32_u24_e32 v66, 0x10001, v68
	;; [unrolled: 1-line block ×3, first 2 shown]
	s_waitcnt lgkmcnt(0)
	v_pk_fma_f16 v65, v29, v31, v4
	v_add_u32_e32 v4, 0x2000, v60
	v_pk_fma_f16 v25, v27, v31, v25
	v_pk_fma_f16 v32, v28, v31, v32
	;; [unrolled: 1-line block ×3, first 2 shown]
	ds_read2_b64 v[27:30], v4 offset1:32
	v_mul_u32_u24_e32 v31, 0x10001, v67
	s_waitcnt lgkmcnt(0)
	v_pk_fma_f16 v25, v27, v31, v25
	v_pk_fma_f16 v32, v28, v31, v32
	;; [unrolled: 1-line block ×4, first 2 shown]
	v_add_u32_e32 v5, 0x2800, v60
	ds_read2_b64 v[27:30], v5 offset1:32
	s_waitcnt lgkmcnt(0)
	v_pk_fma_f16 v67, v27, v66, v25
	v_add_u32_e32 v25, 0x3000, v60
	v_pk_fma_f16 v32, v28, v66, v32
	v_pk_fma_f16 v65, v29, v66, v65
	;; [unrolled: 1-line block ×3, first 2 shown]
	ds_read2_b64 v[27:30], v25 offset1:32
	v_mul_u32_u24_e32 v66, 0x10001, v69
	s_waitcnt lgkmcnt(0)
	v_pk_fma_f16 v67, v27, v66, v67
	v_add_u32_e32 v27, 0x3800, v60
	v_pk_fma_f16 v32, v28, v66, v32
	v_pk_fma_f16 v65, v29, v66, v65
	v_pk_fma_f16 v66, v30, v66, v31
	ds_read2_b64 v[28:31], v27 offset1:32
	s_waitcnt lgkmcnt(0)
	s_barrier
	v_pk_fma_f16 v67, v28, v68, v67
	v_pk_fma_f16 v32, v29, v68, v32
	v_add_co_u32_e32 v28, vcc, s14, v17
	v_mov_b32_e32 v29, s15
	v_addc_co_u32_e32 v29, vcc, v29, v18, vcc
	v_add_co_u32_e32 v28, vcc, v28, v63
	v_addc_co_u32_e32 v29, vcc, 0, v29, vcc
	v_pk_fma_f16 v65, v30, v68, v65
	v_pk_fma_f16 v66, v31, v68, v66
	global_load_dwordx4 v[28:31], v[28:29], off
	s_waitcnt vmcnt(0)
	ds_write_b128 v55, v[28:31]
	v_add_co_u32_e32 v28, vcc, s14, v19
	v_mov_b32_e32 v29, s15
	v_addc_co_u32_e32 v29, vcc, v29, v20, vcc
	v_add_co_u32_e32 v28, vcc, v28, v63
	v_addc_co_u32_e32 v29, vcc, 0, v29, vcc
	global_load_dwordx4 v[28:31], v[28:29], off
	s_waitcnt vmcnt(0)
	ds_write_b128 v56, v[28:31]
	v_add_co_u32_e32 v28, vcc, s14, v21
	v_mov_b32_e32 v29, s15
	v_addc_co_u32_e32 v29, vcc, v29, v22, vcc
	v_add_co_u32_e32 v28, vcc, v28, v63
	v_addc_co_u32_e32 v29, vcc, 0, v29, vcc
	;; [unrolled: 8-line block ×3, first 2 shown]
	global_load_dwordx4 v[28:31], v[28:29], off
	s_or_b32 s14, s18, 64
	s_mul_hi_i32 s15, s14, s8
	s_mul_i32 s14, s14, s8
	s_lshl_b64 s[14:15], s[14:15], 2
	s_add_u32 s14, s16, s14
	s_addc_u32 s15, s17, s15
	s_waitcnt vmcnt(0)
	ds_write_b128 v58, v[28:31]
	s_waitcnt lgkmcnt(0)
	s_barrier
	ds_read2_b64 v[28:31], v60 offset1:32
	ds_read_u16 v68, v59 offset:64
	ds_read_u16 v69, v59 offset:72
	;; [unrolled: 1-line block ×8, first 2 shown]
	s_waitcnt lgkmcnt(7)
	v_mul_u32_u24_e32 v68, 0x10001, v68
	v_pk_fma_f16 v67, v28, v68, v67
	v_pk_fma_f16 v32, v29, v68, v32
	v_pk_fma_f16 v65, v30, v68, v65
	v_pk_fma_f16 v66, v31, v68, v66
	ds_read2_b64 v[28:31], v26 offset1:32
	s_waitcnt lgkmcnt(7)
	v_mul_u32_u24_e32 v68, 0x10001, v69
	s_waitcnt lgkmcnt(0)
	v_pk_fma_f16 v67, v28, v68, v67
	v_pk_fma_f16 v32, v29, v68, v32
	v_pk_fma_f16 v65, v30, v68, v65
	v_pk_fma_f16 v66, v31, v68, v66
	ds_read2_b64 v[28:31], v2 offset1:32
	v_mul_u32_u24_e32 v68, 0x10001, v70
	s_waitcnt lgkmcnt(0)
	v_pk_fma_f16 v67, v28, v68, v67
	v_pk_fma_f16 v32, v29, v68, v32
	v_pk_fma_f16 v65, v30, v68, v65
	v_pk_fma_f16 v66, v31, v68, v66
	ds_read2_b64 v[28:31], v3 offset1:32
	;; [unrolled: 7-line block ×6, first 2 shown]
	v_mul_u32_u24_e32 v68, 0x10001, v75
	s_waitcnt lgkmcnt(0)
	s_barrier
	v_pk_fma_f16 v67, v28, v68, v67
	v_pk_fma_f16 v32, v29, v68, v32
	v_add_co_u32_e32 v28, vcc, s14, v17
	v_mov_b32_e32 v29, s15
	v_addc_co_u32_e32 v29, vcc, v29, v18, vcc
	v_add_co_u32_e32 v28, vcc, v28, v63
	v_addc_co_u32_e32 v29, vcc, 0, v29, vcc
	v_pk_fma_f16 v65, v30, v68, v65
	v_pk_fma_f16 v66, v31, v68, v66
	global_load_dwordx4 v[28:31], v[28:29], off
	s_waitcnt vmcnt(0)
	ds_write_b128 v55, v[28:31]
	v_add_co_u32_e32 v28, vcc, s14, v19
	v_mov_b32_e32 v29, s15
	v_addc_co_u32_e32 v29, vcc, v29, v20, vcc
	v_add_co_u32_e32 v28, vcc, v28, v63
	v_addc_co_u32_e32 v29, vcc, 0, v29, vcc
	global_load_dwordx4 v[28:31], v[28:29], off
	s_waitcnt vmcnt(0)
	ds_write_b128 v56, v[28:31]
	v_add_co_u32_e32 v28, vcc, s14, v21
	v_mov_b32_e32 v29, s15
	v_addc_co_u32_e32 v29, vcc, v29, v22, vcc
	v_add_co_u32_e32 v28, vcc, v28, v63
	v_addc_co_u32_e32 v29, vcc, 0, v29, vcc
	;; [unrolled: 8-line block ×3, first 2 shown]
	global_load_dwordx4 v[28:31], v[28:29], off
	s_or_b32 s14, s18, 0x60
	s_mul_hi_i32 s15, s14, s8
	s_mul_i32 s14, s14, s8
	s_lshl_b64 s[14:15], s[14:15], 2
	s_add_u32 s14, s16, s14
	s_addc_u32 s15, s17, s15
	s_waitcnt vmcnt(0)
	ds_write_b128 v58, v[28:31]
	s_waitcnt lgkmcnt(0)
	s_barrier
	ds_read2_b64 v[28:31], v60 offset1:32
	ds_read_u16 v68, v59 offset:128
	ds_read_u16 v69, v59 offset:136
	;; [unrolled: 1-line block ×8, first 2 shown]
	s_waitcnt lgkmcnt(7)
	v_mul_u32_u24_e32 v68, 0x10001, v68
	v_pk_fma_f16 v67, v28, v68, v67
	v_pk_fma_f16 v32, v29, v68, v32
	;; [unrolled: 1-line block ×4, first 2 shown]
	ds_read2_b64 v[28:31], v26 offset1:32
	s_waitcnt lgkmcnt(7)
	v_mul_u32_u24_e32 v68, 0x10001, v69
	s_waitcnt lgkmcnt(0)
	v_pk_fma_f16 v67, v28, v68, v67
	v_pk_fma_f16 v32, v29, v68, v32
	v_pk_fma_f16 v65, v30, v68, v65
	v_pk_fma_f16 v66, v31, v68, v66
	ds_read2_b64 v[28:31], v2 offset1:32
	v_mul_u32_u24_e32 v68, 0x10001, v70
	s_waitcnt lgkmcnt(0)
	v_pk_fma_f16 v67, v28, v68, v67
	v_pk_fma_f16 v32, v29, v68, v32
	v_pk_fma_f16 v65, v30, v68, v65
	v_pk_fma_f16 v66, v31, v68, v66
	ds_read2_b64 v[28:31], v3 offset1:32
	;; [unrolled: 7-line block ×6, first 2 shown]
	v_mul_u32_u24_e32 v68, 0x10001, v75
	s_waitcnt lgkmcnt(0)
	s_barrier
	v_pk_fma_f16 v67, v28, v68, v67
	v_pk_fma_f16 v32, v29, v68, v32
	v_add_co_u32_e32 v28, vcc, s14, v17
	v_mov_b32_e32 v29, s15
	v_addc_co_u32_e32 v29, vcc, v29, v18, vcc
	v_add_co_u32_e32 v28, vcc, v28, v63
	v_addc_co_u32_e32 v29, vcc, 0, v29, vcc
	v_pk_fma_f16 v65, v30, v68, v65
	v_pk_fma_f16 v66, v31, v68, v66
	global_load_dwordx4 v[28:31], v[28:29], off
	s_waitcnt vmcnt(0)
	ds_write_b128 v55, v[28:31]
	v_add_co_u32_e32 v28, vcc, s14, v19
	v_mov_b32_e32 v29, s15
	v_addc_co_u32_e32 v29, vcc, v29, v20, vcc
	v_add_co_u32_e32 v28, vcc, v28, v63
	v_addc_co_u32_e32 v29, vcc, 0, v29, vcc
	global_load_dwordx4 v[28:31], v[28:29], off
	s_waitcnt vmcnt(0)
	ds_write_b128 v56, v[28:31]
	v_add_co_u32_e32 v28, vcc, s14, v21
	v_mov_b32_e32 v29, s15
	v_addc_co_u32_e32 v29, vcc, v29, v22, vcc
	v_add_co_u32_e32 v28, vcc, v28, v63
	v_addc_co_u32_e32 v29, vcc, 0, v29, vcc
	;; [unrolled: 8-line block ×3, first 2 shown]
	global_load_dwordx4 v[28:31], v[28:29], off
	s_waitcnt vmcnt(0)
	ds_write_b128 v58, v[28:31]
	s_waitcnt lgkmcnt(0)
	s_barrier
	ds_read2_b64 v[28:31], v60 offset1:32
	ds_read_u16 v68, v59 offset:192
	ds_read_u16 v69, v59 offset:200
	;; [unrolled: 1-line block ×8, first 2 shown]
	s_waitcnt lgkmcnt(7)
	v_mul_u32_u24_e32 v68, 0x10001, v68
	v_pk_fma_f16 v67, v28, v68, v67
	v_pk_fma_f16 v32, v29, v68, v32
	;; [unrolled: 1-line block ×4, first 2 shown]
	ds_read2_b64 v[28:31], v26 offset1:32
	s_waitcnt lgkmcnt(7)
	v_mul_u32_u24_e32 v26, 0x10001, v69
	s_waitcnt lgkmcnt(0)
	v_pk_fma_f16 v67, v28, v26, v67
	v_pk_fma_f16 v32, v29, v26, v32
	v_pk_fma_f16 v65, v30, v26, v65
	v_pk_fma_f16 v26, v31, v26, v66
	ds_read2_b64 v[28:31], v2 offset1:32
	v_mul_u32_u24_e32 v2, 0x10001, v70
	s_waitcnt lgkmcnt(0)
	v_pk_fma_f16 v66, v28, v2, v67
	v_pk_fma_f16 v32, v29, v2, v32
	v_pk_fma_f16 v65, v30, v2, v65
	v_pk_fma_f16 v2, v31, v2, v26
	ds_read2_b64 v[28:31], v3 offset1:32
	;; [unrolled: 7-line block ×6, first 2 shown]
	s_waitcnt lgkmcnt(0)
	s_barrier
	s_load_dword s14, s[12:13], 0x4
	v_mul_u32_u24_e32 v27, 0x10001, v75
	v_pk_fma_f16 v2, v2, v27, v26
	v_pk_fma_f16 v3, v3, v27, v28
	;; [unrolled: 1-line block ×3, first 2 shown]
	s_waitcnt lgkmcnt(0)
	s_lshl_b32 s14, s14, 7
	s_add_i32 s18, s14, s18
	v_pk_fma_f16 v5, v5, v27, v25
	s_cmp_lt_i32 s18, s22
	s_cbranch_scc0 .LBB55_17
; %bb.15:                               ;   in Loop: Header=BB55_10 Depth=1
	v_mov_b32_e32 v65, v7
	s_branch .LBB55_10
.LBB55_16:
	v_mov_b32_e32 v5, 0
	v_mov_b32_e32 v38, 0
	;; [unrolled: 1-line block ×6, first 2 shown]
.LBB55_17:
	s_cmp_gt_i32 s42, s18
	s_cbranch_scc1 .LBB55_20
; %bb.18:
	v_mbcnt_hi_u32_b32 v12, -1, v42
	v_and_b32_e32 v8, 0x60, v12
	v_add_u32_e32 v13, 32, v8
	v_xor_b32_e32 v14, 16, v12
	v_xor_b32_e32 v15, 8, v12
	;; [unrolled: 1-line block ×5, first 2 shown]
	v_and_b32_e32 v8, 3, v1
	s_cbranch_execz .LBB55_21
; %bb.19:
	v_mov_b32_e32 v36, v8
	s_branch .LBB55_28
.LBB55_20:
                                        ; implicit-def: $vgpr12
                                        ; implicit-def: $vgpr13
                                        ; implicit-def: $vgpr14
                                        ; implicit-def: $vgpr15
                                        ; implicit-def: $vgpr16
                                        ; implicit-def: $vgpr17
                                        ; implicit-def: $vgpr18
                                        ; implicit-def: $vgpr8
.LBB55_21:
	v_lshl_add_u32 v26, v1, 2, v45
	v_mul_lo_u32 v13, s23, v26
	s_mul_hi_i32 s11, s18, s23
	s_mul_i32 s10, s18, s23
	s_sub_i32 s22, s42, s18
	s_lshl_b64 s[10:11], s[10:11], 2
	v_ashrrev_i32_e32 v14, 31, v13
	s_add_u32 s14, s36, s10
	v_lshlrev_b64 v[8:9], 2, v[13:14]
	s_addc_u32 s15, s37, s11
	v_mov_b32_e32 v10, s15
	v_add_co_u32_e32 v8, vcc, s14, v8
	v_lshlrev_b32_e32 v27, 2, v44
	v_addc_co_u32_e32 v9, vcc, v10, v9, vcc
	v_add_co_u32_e32 v18, vcc, v8, v27
	s_mov_b64 s[6:7], src_private_base
	v_addc_co_u32_e32 v19, vcc, 0, v9, vcc
	v_mov_b32_e32 v12, 0
	v_mov_b32_e32 v16, s7
	v_cmp_gt_i32_e32 vcc, s22, v26
	v_mov_b32_e32 v17, 0
	buffer_store_dword v12, off, s[0:3], 0
	buffer_store_dword v12, off, s[0:3], 0 offset:4
	buffer_store_dword v12, off, s[0:3], 0 offset:8
	;; [unrolled: 1-line block ×3, first 2 shown]
	v_cndmask_b32_e32 v9, v16, v19, vcc
	v_cndmask_b32_e32 v8, v17, v18, vcc
	flat_load_dwordx4 v[8:11], v[8:9]
	s_lshl_b32 s23, s23, 5
	v_add_u32_e32 v13, s23, v13
	v_ashrrev_i32_e32 v14, 31, v13
	v_lshlrev_b64 v[20:21], 2, v[13:14]
	s_movk_i32 s6, 0x90
	v_mad_u32_u24 v15, v26, s6, v27
	v_mov_b32_e32 v23, s15
	v_add_co_u32_e64 v14, s[6:7], s14, v20
	v_addc_co_u32_e64 v21, s[6:7], v23, v21, s[6:7]
	v_add_co_u32_e64 v20, s[6:7], v14, v27
	v_add_u32_e32 v22, 32, v26
	v_addc_co_u32_e64 v21, s[6:7], 0, v21, s[6:7]
	v_cmp_gt_i32_e64 s[6:7], s22, v22
	buffer_store_dword v12, off, s[0:3], 0
	buffer_store_dword v12, off, s[0:3], 0 offset:4
	buffer_store_dword v12, off, s[0:3], 0 offset:8
	buffer_store_dword v12, off, s[0:3], 0 offset:12
	v_cndmask_b32_e64 v23, v16, v21, s[6:7]
	v_cndmask_b32_e64 v22, v17, v20, s[6:7]
	v_add_u32_e32 v13, s23, v13
	v_ashrrev_i32_e32 v14, 31, v13
	v_mov_b32_e32 v25, s15
	v_add_u32_e32 v24, 64, v26
	v_cmp_gt_i32_e64 s[12:13], s22, v24
	v_add_u32_e32 v26, 0x60, v26
	s_waitcnt vmcnt(0) lgkmcnt(0)
	ds_write_b128 v15, v[8:11]
	flat_load_dwordx4 v[8:11], v[22:23]
	v_lshlrev_b64 v[22:23], 2, v[13:14]
	buffer_store_dword v12, off, s[0:3], 0
	buffer_store_dword v12, off, s[0:3], 0 offset:4
	buffer_store_dword v12, off, s[0:3], 0 offset:8
	;; [unrolled: 1-line block ×3, first 2 shown]
	v_add_co_u32_e64 v14, s[10:11], s14, v22
	v_addc_co_u32_e64 v23, s[10:11], v25, v23, s[10:11]
	v_add_co_u32_e64 v22, s[10:11], v14, v27
	v_addc_co_u32_e64 v23, s[10:11], 0, v23, s[10:11]
	v_cndmask_b32_e64 v25, v16, v23, s[12:13]
	v_cndmask_b32_e64 v24, v17, v22, s[12:13]
	v_add_u32_e32 v13, s23, v13
	v_ashrrev_i32_e32 v14, 31, v13
	v_lshlrev_b64 v[13:14], 2, v[13:14]
	s_movk_i32 s23, 0x80
	v_add_co_u32_e64 v13, s[10:11], s14, v13
	s_waitcnt vmcnt(0) lgkmcnt(0)
	ds_write_b128 v15, v[8:11] offset:4608
	flat_load_dwordx4 v[8:11], v[24:25]
	v_mov_b32_e32 v24, s15
	v_addc_co_u32_e64 v14, s[10:11], v24, v14, s[10:11]
	v_add_co_u32_e64 v24, s[10:11], v13, v27
	v_addc_co_u32_e64 v25, s[10:11], 0, v14, s[10:11]
	v_cmp_gt_i32_e64 s[10:11], s22, v26
	v_cndmask_b32_e64 v14, v16, v25, s[10:11]
	v_cndmask_b32_e64 v13, v17, v24, s[10:11]
	buffer_store_dword v12, off, s[0:3], 0
	buffer_store_dword v12, off, s[0:3], 0 offset:4
	buffer_store_dword v12, off, s[0:3], 0 offset:8
	;; [unrolled: 1-line block ×3, first 2 shown]
	v_add_co_u32_e64 v30, s[14:15], s23, v18
	v_addc_co_u32_e64 v31, s[14:15], 0, v19, s[14:15]
	v_cndmask_b32_e32 v31, v16, v31, vcc
	v_cndmask_b32_e32 v30, v17, v30, vcc
	s_waitcnt vmcnt(0) lgkmcnt(0)
	ds_write_b128 v15, v[8:11] offset:9216
	flat_load_dwordx4 v[26:29], v[13:14]
	v_and_b32_e32 v8, 0x60, v43
	v_add_u32_e32 v10, v8, v0
	v_and_b32_e32 v9, 0x1f80, v43
	v_mul_u32_u24_e32 v14, 0x90, v10
	v_lshlrev_b32_e32 v13, 2, v9
	v_mov_b32_e32 v11, 0
	s_waitcnt vmcnt(0) lgkmcnt(0)
	ds_write_b128 v15, v[26:29] offset:13824
	s_waitcnt lgkmcnt(0)
	s_barrier
	ds_read_b128 v[26:29], v14
	ds_read_b128 v[43:46], v13 offset:18432
	s_waitcnt lgkmcnt(0)
	;;#ASMSTART
	v_dot2_f32_f16 v11, v26, v43, v11
	;;#ASMEND
	;;#ASMSTART
	v_dot2_f32_f16 v11, v27, v44, v11
	;;#ASMEND
	;;#ASMSTART
	v_dot2_f32_f16 v11, v28, v45, v11
	;;#ASMEND
	;;#ASMSTART
	v_dot2_f32_f16 v11, v29, v46, v11
	;;#ASMEND
	ds_read_b128 v[26:29], v14 offset:16
	ds_read_b128 v[43:46], v13 offset:18448
	s_waitcnt lgkmcnt(0)
	;;#ASMSTART
	v_dot2_f32_f16 v11, v26, v43, v11
	;;#ASMEND
	;;#ASMSTART
	v_dot2_f32_f16 v11, v27, v44, v11
	;;#ASMEND
	;;#ASMSTART
	v_dot2_f32_f16 v11, v28, v45, v11
	;;#ASMEND
	;;#ASMSTART
	v_dot2_f32_f16 v11, v29, v46, v11
	;;#ASMEND
	ds_read_b128 v[26:29], v14 offset:32
	;; [unrolled: 15-line block ×7, first 2 shown]
	ds_read_b128 v[43:46], v13 offset:18544
	s_waitcnt lgkmcnt(0)
	;;#ASMSTART
	v_dot2_f32_f16 v11, v26, v43, v11
	;;#ASMEND
	;;#ASMSTART
	v_dot2_f32_f16 v11, v27, v44, v11
	;;#ASMEND
	;; [unrolled: 3-line block ×4, first 2 shown]
	s_barrier
	buffer_store_dword v12, off, s[0:3], 0
	buffer_store_dword v12, off, s[0:3], 0 offset:4
	buffer_store_dword v12, off, s[0:3], 0 offset:8
	;; [unrolled: 1-line block ×3, first 2 shown]
	flat_load_dwordx4 v[26:29], v[30:31]
	v_add_co_u32_e64 v30, s[14:15], s23, v20
	v_addc_co_u32_e64 v31, s[14:15], 0, v21, s[14:15]
	v_cndmask_b32_e64 v31, v16, v31, s[6:7]
	v_cndmask_b32_e64 v30, v17, v30, s[6:7]
	buffer_store_dword v12, off, s[0:3], 0
	buffer_store_dword v12, off, s[0:3], 0 offset:4
	buffer_store_dword v12, off, s[0:3], 0 offset:8
	;; [unrolled: 1-line block ×3, first 2 shown]
	s_waitcnt vmcnt(0) lgkmcnt(0)
	ds_write_b128 v15, v[26:29]
	flat_load_dwordx4 v[26:29], v[30:31]
	v_add_co_u32_e64 v30, s[14:15], s23, v22
	v_addc_co_u32_e64 v31, s[14:15], 0, v23, s[14:15]
	v_cndmask_b32_e64 v31, v16, v31, s[12:13]
	v_cndmask_b32_e64 v30, v17, v30, s[12:13]
	buffer_store_dword v12, off, s[0:3], 0
	buffer_store_dword v12, off, s[0:3], 0 offset:4
	buffer_store_dword v12, off, s[0:3], 0 offset:8
	;; [unrolled: 1-line block ×3, first 2 shown]
	s_waitcnt vmcnt(0) lgkmcnt(0)
	ds_write_b128 v15, v[26:29] offset:4608
	flat_load_dwordx4 v[26:29], v[30:31]
	v_add_co_u32_e64 v30, s[14:15], s23, v24
	v_addc_co_u32_e64 v31, s[14:15], 0, v25, s[14:15]
	v_cndmask_b32_e64 v31, v16, v31, s[10:11]
	v_cndmask_b32_e64 v30, v17, v30, s[10:11]
	buffer_store_dword v12, off, s[0:3], 0
	buffer_store_dword v12, off, s[0:3], 0 offset:4
	buffer_store_dword v12, off, s[0:3], 0 offset:8
	;; [unrolled: 1-line block ×3, first 2 shown]
	s_movk_i32 s23, 0x100
	s_waitcnt vmcnt(0) lgkmcnt(0)
	ds_write_b128 v15, v[26:29] offset:9216
	flat_load_dwordx4 v[26:29], v[30:31]
	v_add_co_u32_e64 v30, s[14:15], s23, v18
	v_addc_co_u32_e64 v31, s[14:15], 0, v19, s[14:15]
	v_cndmask_b32_e32 v31, v16, v31, vcc
	v_cndmask_b32_e32 v30, v17, v30, vcc
	s_waitcnt vmcnt(0) lgkmcnt(0)
	ds_write_b128 v15, v[26:29] offset:13824
	s_waitcnt lgkmcnt(0)
	s_barrier
	ds_read_b128 v[26:29], v14
	ds_read_b128 v[43:46], v13 offset:18560
	s_waitcnt lgkmcnt(0)
	;;#ASMSTART
	v_dot2_f32_f16 v11, v26, v43, v11
	;;#ASMEND
	;;#ASMSTART
	v_dot2_f32_f16 v11, v27, v44, v11
	;;#ASMEND
	;;#ASMSTART
	v_dot2_f32_f16 v11, v28, v45, v11
	;;#ASMEND
	;;#ASMSTART
	v_dot2_f32_f16 v11, v29, v46, v11
	;;#ASMEND
	ds_read_b128 v[26:29], v14 offset:16
	ds_read_b128 v[43:46], v13 offset:18576
	s_waitcnt lgkmcnt(0)
	;;#ASMSTART
	v_dot2_f32_f16 v11, v26, v43, v11
	;;#ASMEND
	;;#ASMSTART
	v_dot2_f32_f16 v11, v27, v44, v11
	;;#ASMEND
	;;#ASMSTART
	v_dot2_f32_f16 v11, v28, v45, v11
	;;#ASMEND
	;;#ASMSTART
	v_dot2_f32_f16 v11, v29, v46, v11
	;;#ASMEND
	ds_read_b128 v[26:29], v14 offset:32
	;; [unrolled: 15-line block ×7, first 2 shown]
	ds_read_b128 v[43:46], v13 offset:18672
	s_waitcnt lgkmcnt(0)
	;;#ASMSTART
	v_dot2_f32_f16 v11, v26, v43, v11
	;;#ASMEND
	;;#ASMSTART
	v_dot2_f32_f16 v11, v27, v44, v11
	;;#ASMEND
	;; [unrolled: 3-line block ×4, first 2 shown]
	s_barrier
	buffer_store_dword v12, off, s[0:3], 0
	buffer_store_dword v12, off, s[0:3], 0 offset:4
	buffer_store_dword v12, off, s[0:3], 0 offset:8
	;; [unrolled: 1-line block ×3, first 2 shown]
	flat_load_dwordx4 v[26:29], v[30:31]
	v_add_co_u32_e64 v30, s[14:15], s23, v20
	v_addc_co_u32_e64 v31, s[14:15], 0, v21, s[14:15]
	v_cndmask_b32_e64 v31, v16, v31, s[6:7]
	v_cndmask_b32_e64 v30, v17, v30, s[6:7]
	buffer_store_dword v12, off, s[0:3], 0
	buffer_store_dword v12, off, s[0:3], 0 offset:4
	buffer_store_dword v12, off, s[0:3], 0 offset:8
	;; [unrolled: 1-line block ×3, first 2 shown]
	s_waitcnt vmcnt(0) lgkmcnt(0)
	ds_write_b128 v15, v[26:29]
	flat_load_dwordx4 v[26:29], v[30:31]
	v_add_co_u32_e64 v30, s[14:15], s23, v22
	v_addc_co_u32_e64 v31, s[14:15], 0, v23, s[14:15]
	v_cndmask_b32_e64 v31, v16, v31, s[12:13]
	v_cndmask_b32_e64 v30, v17, v30, s[12:13]
	buffer_store_dword v12, off, s[0:3], 0
	buffer_store_dword v12, off, s[0:3], 0 offset:4
	buffer_store_dword v12, off, s[0:3], 0 offset:8
	;; [unrolled: 1-line block ×3, first 2 shown]
	s_waitcnt vmcnt(0) lgkmcnt(0)
	ds_write_b128 v15, v[26:29] offset:4608
	flat_load_dwordx4 v[26:29], v[30:31]
	v_add_co_u32_e64 v30, s[14:15], s23, v24
	v_addc_co_u32_e64 v31, s[14:15], 0, v25, s[14:15]
	v_cndmask_b32_e64 v31, v16, v31, s[10:11]
	v_cndmask_b32_e64 v30, v17, v30, s[10:11]
	buffer_store_dword v12, off, s[0:3], 0
	buffer_store_dword v12, off, s[0:3], 0 offset:4
	buffer_store_dword v12, off, s[0:3], 0 offset:8
	;; [unrolled: 1-line block ×3, first 2 shown]
	s_movk_i32 s23, 0x180
	v_add_co_u32_e64 v18, s[14:15], s23, v18
	v_addc_co_u32_e64 v19, s[14:15], 0, v19, s[14:15]
	v_cndmask_b32_e32 v19, v16, v19, vcc
	v_cndmask_b32_e32 v18, v17, v18, vcc
	s_waitcnt vmcnt(0) lgkmcnt(0)
	ds_write_b128 v15, v[26:29] offset:9216
	flat_load_dwordx4 v[26:29], v[30:31]
	s_waitcnt vmcnt(0) lgkmcnt(0)
	ds_write_b128 v15, v[26:29] offset:13824
	s_waitcnt lgkmcnt(0)
	s_barrier
	ds_read_b128 v[26:29], v14
	ds_read_b128 v[43:46], v13 offset:18688
	s_waitcnt lgkmcnt(0)
	;;#ASMSTART
	v_dot2_f32_f16 v11, v26, v43, v11
	;;#ASMEND
	;;#ASMSTART
	v_dot2_f32_f16 v11, v27, v44, v11
	;;#ASMEND
	;;#ASMSTART
	v_dot2_f32_f16 v11, v28, v45, v11
	;;#ASMEND
	;;#ASMSTART
	v_dot2_f32_f16 v11, v29, v46, v11
	;;#ASMEND
	ds_read_b128 v[26:29], v14 offset:16
	ds_read_b128 v[43:46], v13 offset:18704
	s_waitcnt lgkmcnt(0)
	;;#ASMSTART
	v_dot2_f32_f16 v11, v26, v43, v11
	;;#ASMEND
	;;#ASMSTART
	v_dot2_f32_f16 v11, v27, v44, v11
	;;#ASMEND
	;;#ASMSTART
	v_dot2_f32_f16 v11, v28, v45, v11
	;;#ASMEND
	;;#ASMSTART
	v_dot2_f32_f16 v11, v29, v46, v11
	;;#ASMEND
	ds_read_b128 v[26:29], v14 offset:32
	;; [unrolled: 15-line block ×7, first 2 shown]
	ds_read_b128 v[43:46], v13 offset:18800
	s_waitcnt lgkmcnt(0)
	;;#ASMSTART
	v_dot2_f32_f16 v11, v26, v43, v11
	;;#ASMEND
	;;#ASMSTART
	v_dot2_f32_f16 v11, v27, v44, v11
	;;#ASMEND
	;; [unrolled: 3-line block ×4, first 2 shown]
	s_barrier
	buffer_store_dword v12, off, s[0:3], 0
	buffer_store_dword v12, off, s[0:3], 0 offset:4
	buffer_store_dword v12, off, s[0:3], 0 offset:8
	;; [unrolled: 1-line block ×3, first 2 shown]
	flat_load_dwordx4 v[26:29], v[18:19]
	v_add_co_u32_e32 v18, vcc, s23, v20
	v_addc_co_u32_e32 v19, vcc, 0, v21, vcc
	v_cndmask_b32_e64 v19, v16, v19, s[6:7]
	v_cndmask_b32_e64 v18, v17, v18, s[6:7]
	buffer_store_dword v12, off, s[0:3], 0
	buffer_store_dword v12, off, s[0:3], 0 offset:4
	buffer_store_dword v12, off, s[0:3], 0 offset:8
	buffer_store_dword v12, off, s[0:3], 0 offset:12
	v_add_co_u32_e32 v22, vcc, s23, v22
	v_addc_co_u32_e32 v23, vcc, 0, v23, vcc
	v_cndmask_b32_e64 v23, v16, v23, s[12:13]
	v_cndmask_b32_e64 v22, v17, v22, s[12:13]
	s_waitcnt vmcnt(0) lgkmcnt(0)
	ds_write_b128 v15, v[26:29]
	flat_load_dwordx4 v[18:21], v[18:19]
	s_nop 0
	buffer_store_dword v12, off, s[0:3], 0
	buffer_store_dword v12, off, s[0:3], 0 offset:4
	buffer_store_dword v12, off, s[0:3], 0 offset:8
	;; [unrolled: 1-line block ×3, first 2 shown]
	s_waitcnt vmcnt(0) lgkmcnt(0)
	ds_write_b128 v15, v[18:21] offset:4608
	flat_load_dwordx4 v[18:21], v[22:23]
	v_add_co_u32_e32 v22, vcc, s23, v24
	v_addc_co_u32_e32 v23, vcc, 0, v25, vcc
	v_cndmask_b32_e64 v23, v16, v23, s[10:11]
	v_cndmask_b32_e64 v22, v17, v22, s[10:11]
	buffer_store_dword v12, off, s[0:3], 0
	buffer_store_dword v12, off, s[0:3], 0 offset:4
	buffer_store_dword v12, off, s[0:3], 0 offset:8
	;; [unrolled: 1-line block ×3, first 2 shown]
	v_cmp_gt_i32_e32 vcc, s22, v10
	s_waitcnt vmcnt(0) lgkmcnt(0)
	ds_write_b128 v15, v[18:21] offset:9216
	flat_load_dwordx4 v[16:19], v[22:23]
	s_waitcnt vmcnt(0) lgkmcnt(0)
	ds_write_b128 v15, v[16:19] offset:13824
	s_waitcnt lgkmcnt(0)
	s_barrier
	ds_read_b128 v[15:18], v14
	ds_read_b128 v[19:22], v13 offset:18816
	s_waitcnt lgkmcnt(0)
	;;#ASMSTART
	v_dot2_f32_f16 v11, v15, v19, v11
	;;#ASMEND
	;;#ASMSTART
	v_dot2_f32_f16 v11, v16, v20, v11
	;;#ASMEND
	;;#ASMSTART
	v_dot2_f32_f16 v11, v17, v21, v11
	;;#ASMEND
	;;#ASMSTART
	v_dot2_f32_f16 v11, v18, v22, v11
	;;#ASMEND
	ds_read_b128 v[15:18], v14 offset:16
	ds_read_b128 v[19:22], v13 offset:18832
	s_waitcnt lgkmcnt(0)
	;;#ASMSTART
	v_dot2_f32_f16 v11, v15, v19, v11
	;;#ASMEND
	;;#ASMSTART
	v_dot2_f32_f16 v11, v16, v20, v11
	;;#ASMEND
	;;#ASMSTART
	v_dot2_f32_f16 v11, v17, v21, v11
	;;#ASMEND
	;;#ASMSTART
	v_dot2_f32_f16 v11, v18, v22, v11
	;;#ASMEND
	ds_read_b128 v[15:18], v14 offset:32
	;; [unrolled: 15-line block ×7, first 2 shown]
	ds_read_b128 v[18:21], v13 offset:18928
	s_waitcnt lgkmcnt(0)
	;;#ASMSTART
	v_dot2_f32_f16 v11, v14, v18, v11
	;;#ASMEND
	;;#ASMSTART
	v_dot2_f32_f16 v11, v15, v19, v11
	;;#ASMEND
	;; [unrolled: 3-line block ×3, first 2 shown]
	v_mov_b32_e32 v16, v7
	;;#ASMSTART
	v_dot2_f32_f16 v11, v17, v21, v11
	;;#ASMEND
	s_and_saveexec_b64 s[6:7], vcc
	s_cbranch_execz .LBB55_25
; %bb.22:
	s_cmp_eq_u64 s[40:41], 0
	s_cbranch_scc1 .LBB55_24
; %bb.23:
	v_mul_hi_u32 v12, s28, v34
	v_mov_b32_e32 v14, s41
	v_add_u32_e32 v12, v34, v12
	v_lshrrev_b32_e32 v12, s29, v12
	v_mul_lo_u32 v12, v12, s30
	v_sub_u32_e32 v12, v34, v12
	v_mul_lo_u32 v12, v12, s19
	v_add3_u32 v12, v12, v10, s18
	v_ashrrev_i32_e32 v13, 31, v12
	v_lshlrev_b64 v[12:13], 1, v[12:13]
	v_add_co_u32_e32 v12, vcc, s40, v12
	v_addc_co_u32_e32 v13, vcc, v14, v13, vcc
	global_load_ushort v12, v[12:13], off
	s_waitcnt vmcnt(0)
	v_cvt_f32_f16_e32 v12, v12
	v_mul_f32_e32 v12, v40, v12
.LBB55_24:
	v_add_f32_e32 v11, v11, v12
	v_add_f32_e32 v12, 0x40051340, v11
	v_max_f32_e32 v13, v7, v7
	v_max_f32_e32 v16, v13, v12
.LBB55_25:
	s_or_b64 exec, exec, s[6:7]
	v_mbcnt_hi_u32_b32 v12, -1, v42
	v_and_b32_e32 v13, 0x60, v12
	v_add_u32_e32 v13, 32, v13
	v_xor_b32_e32 v14, 16, v12
	v_cmp_lt_i32_e32 vcc, v14, v13
	v_cndmask_b32_e32 v15, v12, v14, vcc
	v_lshlrev_b32_e32 v15, 2, v15
	ds_bpermute_b32 v17, v15, v16
	v_xor_b32_e32 v15, 8, v12
	v_cmp_lt_i32_e32 vcc, v15, v13
	v_cndmask_b32_e32 v18, v12, v15, vcc
	v_max_f32_e32 v16, v16, v16
	s_waitcnt lgkmcnt(0)
	v_max_f32_e32 v17, v17, v17
	v_lshlrev_b32_e32 v18, 2, v18
	v_max_f32_e32 v17, v16, v17
	ds_bpermute_b32 v18, v18, v17
	v_xor_b32_e32 v16, 4, v12
	v_cmp_lt_i32_e32 vcc, v16, v13
	v_cndmask_b32_e32 v19, v12, v16, vcc
	v_lshlrev_b32_e32 v19, 2, v19
	s_waitcnt lgkmcnt(0)
	v_max_f32_e32 v18, v18, v18
	v_max_f32_e32 v18, v17, v18
	ds_bpermute_b32 v19, v19, v18
	v_xor_b32_e32 v17, 2, v12
	v_cmp_lt_i32_e32 vcc, v17, v13
	v_cndmask_b32_e32 v20, v12, v17, vcc
	v_lshlrev_b32_e32 v20, 2, v20
	s_waitcnt lgkmcnt(0)
	v_max_f32_e32 v19, v19, v19
	;; [unrolled: 8-line block ×3, first 2 shown]
	v_max_f32_e32 v19, v19, v20
	ds_bpermute_b32 v20, v21, v19
	v_cmp_eq_u32_e32 vcc, 0, v0
	s_and_saveexec_b64 s[6:7], vcc
	s_cbranch_execz .LBB55_27
; %bb.26:
	s_waitcnt lgkmcnt(0)
	v_max_f32_e32 v20, v20, v20
	v_max_f32_e32 v19, v19, v19
	;; [unrolled: 1-line block ×3, first 2 shown]
	ds_write_b32 v35, v19 offset:20000
.LBB55_27:
	s_or_b64 exec, exec, s[6:7]
	s_movk_i32 s6, 0xfc
	v_and_or_b32 v19, v1, s6, v41
	v_lshlrev_b32_e32 v19, 2, v19
	s_waitcnt lgkmcnt(0)
	s_barrier
	ds_read_b32 v19, v19 offset:20000
	v_and_b32_e32 v20, 0x7c, v12
	v_add_u32_e32 v20, 4, v20
	v_cmp_lt_i32_e32 vcc, v17, v20
	v_cndmask_b32_e32 v21, v12, v17, vcc
	v_lshlrev_b32_e32 v21, 2, v21
	s_waitcnt lgkmcnt(0)
	ds_bpermute_b32 v21, v21, v19
	v_cmp_lt_i32_e32 vcc, v18, v20
	v_max_f32_e32 v19, v19, v19
	v_cndmask_b32_e32 v20, v12, v18, vcc
	v_lshlrev_b32_e32 v20, 2, v20
	s_waitcnt lgkmcnt(0)
	v_max_f32_e32 v21, v21, v21
	v_max_f32_e32 v19, v19, v21
	ds_bpermute_b32 v20, v20, v19
	v_cmp_gt_u32_e32 vcc, s22, v10
	s_mov_b32 s10, 0x3fb8aa3b
	s_mov_b32 s11, 0xc2ce8ed0
	;; [unrolled: 1-line block ×3, first 2 shown]
	s_waitcnt lgkmcnt(0)
	v_max_f32_e32 v20, v20, v20
	v_max_f32_e32 v19, v19, v20
	v_sub_f32_e32 v10, v11, v19
	v_mul_f32_e32 v11, 0x3fb8aa3b, v10
	v_fma_f32 v20, v10, s10, -v11
	v_rndne_f32_e32 v21, v11
	v_fmac_f32_e32 v20, 0x32a5705f, v10
	v_sub_f32_e32 v11, v11, v21
	v_add_f32_e32 v11, v11, v20
	v_exp_f32_e32 v11, v11
	v_cvt_i32_f32_e32 v20, v21
	v_sub_f32_e32 v7, v7, v19
	v_cmp_ngt_f32_e64 s[6:7], s11, v10
	v_lshlrev_b32_e32 v8, 1, v8
	v_ldexp_f32 v11, v11, v20
	v_mov_b32_e32 v20, 0x4c00
	v_lshl_add_u32 v20, v9, 1, v20
	v_mul_f32_e32 v9, 0x3fb8aa3b, v7
	v_fma_f32 v21, v7, s10, -v9
	v_rndne_f32_e32 v22, v9
	v_fmac_f32_e32 v21, 0x32a5705f, v7
	v_sub_f32_e32 v9, v9, v22
	v_add_f32_e32 v9, v9, v21
	v_exp_f32_e32 v9, v9
	v_cvt_i32_f32_e32 v21, v22
	v_cndmask_b32_e64 v11, 0, v11, s[6:7]
	v_cmp_nlt_f32_e64 s[6:7], s12, v10
	v_mov_b32_e32 v10, 0x7f800000
	v_cndmask_b32_e64 v11, v10, v11, s[6:7]
	v_cndmask_b32_e32 v11, 0, v11, vcc
	v_ldexp_f32 v9, v9, v21
	v_cmp_ngt_f32_e32 vcc, s11, v7
	v_cndmask_b32_e32 v9, 0, v9, vcc
	v_cmp_nlt_f32_e32 vcc, s12, v7
	v_cndmask_b32_e32 v7, v10, v9, vcc
	v_fma_f32 v38, v38, v7, v11
	v_cvt_f16_f32_e32 v7, v7
	s_lshl_b32 s6, s8, 3
	s_mul_hi_i32 s7, s18, s8
	s_mov_b64 s[10:11], src_private_base
	v_mul_u32_u24_e32 v32, 0x10001, v7
	v_pk_mul_f16 v41, v5, v32
	v_lshlrev_b32_e32 v5, 1, v0
	v_add3_u32 v5, v20, v8, v5
	v_add_u32_e32 v8, s6, v6
	v_add_u32_e32 v42, s6, v8
	v_pk_mul_f16 v40, v4, v32
	v_cvt_f16_f32_e32 v4, v11
	v_add_u32_e32 v46, s6, v42
	s_mul_i32 s6, s18, s8
	v_ashrrev_i32_e32 v7, 31, v6
	s_lshl_b64 s[6:7], s[6:7], 2
	s_add_u32 s10, s16, s6
	v_lshlrev_b64 v[10:11], 2, v[6:7]
	s_addc_u32 s12, s17, s7
	ds_write_b16 v5, v4
	v_add_co_u32_e64 v4, s[6:7], s10, v10
	v_mov_b32_e32 v5, s12
	v_addc_co_u32_e64 v5, s[6:7], v5, v11, s[6:7]
	v_add_co_u32_e64 v4, s[6:7], v4, v37
	v_mov_b32_e32 v27, 0
	v_cmp_gt_i32_e32 vcc, s22, v1
	v_addc_co_u32_e64 v5, s[6:7], 0, v5, s[6:7]
	v_mov_b32_e32 v28, s11
	v_mov_b32_e32 v29, 0
	buffer_store_dword v27, off, s[0:3], 0
	buffer_store_dword v27, off, s[0:3], 0 offset:4
	buffer_store_dword v27, off, s[0:3], 0 offset:8
	;; [unrolled: 1-line block ×3, first 2 shown]
	v_cndmask_b32_e32 v5, v28, v5, vcc
	v_cndmask_b32_e32 v4, v29, v4, vcc
	flat_load_dwordx4 v[4:7], v[4:5]
	v_lshl_add_u32 v22, v1, 9, v37
	v_ashrrev_i32_e32 v9, 31, v8
	v_add_u32_e32 v30, 8, v1
	v_cmp_gt_i32_e32 vcc, s22, v30
	v_lshl_add_u32 v25, v30, 9, v37
	v_ashrrev_i32_e32 v43, 31, v42
	v_add_u32_e32 v26, 16, v1
	v_ashrrev_i32_e32 v47, 31, v46
	v_lshl_add_u32 v24, v26, 9, v37
	v_add_u32_e32 v23, 24, v1
	v_lshl_add_u32 v21, v23, 9, v37
	v_lshl_add_u32 v20, v36, 1, v20
	s_waitcnt vmcnt(0) lgkmcnt(0)
	ds_write_b128 v22, v[4:7]
	v_lshlrev_b64 v[4:5], 2, v[8:9]
	v_mov_b32_e32 v7, s12
	v_add_co_u32_e64 v6, s[6:7], s10, v4
	v_addc_co_u32_e64 v7, s[6:7], v7, v5, s[6:7]
	v_add_co_u32_e64 v6, s[6:7], v6, v37
	v_addc_co_u32_e64 v7, s[6:7], 0, v7, s[6:7]
	buffer_store_dword v27, off, s[0:3], 0
	buffer_store_dword v27, off, s[0:3], 0 offset:4
	buffer_store_dword v27, off, s[0:3], 0 offset:8
	;; [unrolled: 1-line block ×3, first 2 shown]
	v_cndmask_b32_e32 v7, v28, v7, vcc
	v_cndmask_b32_e32 v6, v29, v6, vcc
	flat_load_dwordx4 v[6:9], v[6:7]
	v_cmp_gt_i32_e32 vcc, s22, v26
	s_waitcnt vmcnt(0) lgkmcnt(0)
	ds_write_b128 v25, v[6:9]
	v_lshlrev_b64 v[8:9], 2, v[42:43]
	v_mov_b32_e32 v7, s12
	v_add_co_u32_e64 v6, s[6:7], s10, v8
	v_addc_co_u32_e64 v7, s[6:7], v7, v9, s[6:7]
	v_add_co_u32_e64 v6, s[6:7], v6, v37
	v_addc_co_u32_e64 v7, s[6:7], 0, v7, s[6:7]
	buffer_store_dword v27, off, s[0:3], 0
	buffer_store_dword v27, off, s[0:3], 0 offset:4
	buffer_store_dword v27, off, s[0:3], 0 offset:8
	;; [unrolled: 1-line block ×3, first 2 shown]
	v_cndmask_b32_e32 v7, v28, v7, vcc
	v_cndmask_b32_e32 v6, v29, v6, vcc
	flat_load_dwordx4 v[42:45], v[6:7]
	v_lshlrev_b64 v[6:7], 2, v[46:47]
	v_cmp_gt_i32_e32 vcc, s22, v23
	v_add_co_u32_e64 v31, s[6:7], s10, v6
	s_waitcnt vmcnt(0) lgkmcnt(0)
	ds_write_b128 v24, v[42:45]
	v_mov_b32_e32 v42, s12
	v_addc_co_u32_e64 v42, s[6:7], v42, v7, s[6:7]
	v_add_co_u32_e64 v31, s[6:7], v31, v37
	v_addc_co_u32_e64 v42, s[6:7], 0, v42, s[6:7]
	buffer_store_dword v27, off, s[0:3], 0
	buffer_store_dword v27, off, s[0:3], 0 offset:4
	buffer_store_dword v27, off, s[0:3], 0 offset:8
	;; [unrolled: 1-line block ×3, first 2 shown]
	v_cndmask_b32_e32 v43, v28, v42, vcc
	v_cndmask_b32_e32 v42, v29, v31, vcc
	flat_load_dwordx4 v[42:45], v[42:43]
	v_lshl_add_u32 v31, v36, 9, v39
	s_or_b32 s6, s18, 32
	s_mul_hi_i32 s7, s6, s8
	s_mul_i32 s6, s6, s8
	s_lshl_b64 s[6:7], s[6:7], 2
	s_add_u32 s10, s16, s6
	s_addc_u32 s11, s17, s7
	s_sub_i32 s12, s22, 32
	v_cmp_gt_i32_e32 vcc, s12, v1
	s_waitcnt vmcnt(0) lgkmcnt(0)
	ds_write_b128 v21, v[42:45]
	s_waitcnt lgkmcnt(0)
	s_barrier
	ds_read2_b64 v[42:45], v31 offset1:32
	ds_read_u16 v39, v20
	ds_read_u16 v46, v20 offset:8
	ds_read_u16 v47, v20 offset:16
	;; [unrolled: 1-line block ×7, first 2 shown]
	s_waitcnt lgkmcnt(7)
	v_mul_u32_u24_e32 v39, 0x10001, v39
	v_pk_mul_f16 v42, v42, v39
	v_pk_fma_f16 v53, v2, v32, v42
	v_pk_mul_f16 v2, v43, v39
	v_pk_fma_f16 v3, v3, v32, v2
	v_add_u32_e32 v2, 0x800, v31
	v_pk_fma_f16 v32, v44, v39, v40
	v_pk_fma_f16 v43, v45, v39, v41
	ds_read2_b64 v[39:42], v2 offset1:32
	s_waitcnt lgkmcnt(7)
	v_mul_u32_u24_e32 v44, 0x10001, v46
	s_waitcnt lgkmcnt(0)
	v_pk_fma_f16 v46, v40, v44, v3
	v_add_u32_e32 v3, 0x1000, v31
	v_pk_fma_f16 v45, v39, v44, v53
	v_pk_fma_f16 v32, v41, v44, v32
	;; [unrolled: 1-line block ×3, first 2 shown]
	ds_read2_b64 v[39:42], v3 offset1:32
	v_mul_u32_u24_e32 v44, 0x10001, v47
	s_waitcnt lgkmcnt(0)
	v_pk_fma_f16 v47, v41, v44, v32
	v_add_u32_e32 v32, 0x1800, v31
	v_pk_fma_f16 v45, v39, v44, v45
	v_pk_fma_f16 v46, v40, v44, v46
	;; [unrolled: 1-line block ×3, first 2 shown]
	ds_read2_b64 v[39:42], v32 offset1:32
	v_mul_u32_u24_e32 v44, 0x10001, v48
	v_mul_u32_u24_e32 v48, 0x10001, v49
	;; [unrolled: 1-line block ×3, first 2 shown]
	s_waitcnt lgkmcnt(0)
	v_pk_fma_f16 v45, v39, v44, v45
	v_add_u32_e32 v39, 0x2000, v31
	v_pk_fma_f16 v46, v40, v44, v46
	v_pk_fma_f16 v47, v41, v44, v47
	v_pk_fma_f16 v44, v42, v44, v43
	ds_read2_b64 v[40:43], v39 offset1:32
	s_waitcnt lgkmcnt(0)
	v_pk_fma_f16 v45, v40, v48, v45
	v_add_u32_e32 v40, 0x2800, v31
	v_pk_fma_f16 v46, v41, v48, v46
	v_pk_fma_f16 v47, v42, v48, v47
	v_pk_fma_f16 v48, v43, v48, v44
	ds_read2_b64 v[41:44], v40 offset1:32
	;; [unrolled: 7-line block ×3, first 2 shown]
	v_mul_u32_u24_e32 v49, 0x10001, v51
	s_waitcnt lgkmcnt(0)
	v_pk_fma_f16 v50, v42, v49, v50
	v_add_u32_e32 v42, 0x3800, v31
	v_pk_fma_f16 v51, v43, v49, v46
	v_pk_fma_f16 v47, v44, v49, v47
	v_pk_fma_f16 v48, v45, v49, v48
	ds_read2_b64 v[43:46], v42 offset1:32
	v_mul_u32_u24_e32 v49, 0x10001, v52
	s_waitcnt lgkmcnt(0)
	s_barrier
	v_pk_fma_f16 v50, v43, v49, v50
	v_pk_fma_f16 v51, v44, v49, v51
	v_add_co_u32_e64 v43, s[6:7], s10, v10
	v_mov_b32_e32 v44, s11
	v_addc_co_u32_e64 v44, s[6:7], v44, v11, s[6:7]
	v_add_co_u32_e64 v43, s[6:7], v43, v37
	v_addc_co_u32_e64 v44, s[6:7], 0, v44, s[6:7]
	buffer_store_dword v27, off, s[0:3], 0
	buffer_store_dword v27, off, s[0:3], 0 offset:4
	buffer_store_dword v27, off, s[0:3], 0 offset:8
	;; [unrolled: 1-line block ×3, first 2 shown]
	v_cndmask_b32_e32 v44, v28, v44, vcc
	v_cndmask_b32_e32 v43, v29, v43, vcc
	v_pk_fma_f16 v47, v45, v49, v47
	v_pk_fma_f16 v48, v46, v49, v48
	flat_load_dwordx4 v[43:46], v[43:44]
	v_cmp_gt_i32_e32 vcc, s12, v30
	s_waitcnt vmcnt(0) lgkmcnt(0)
	ds_write_b128 v22, v[43:46]
	v_add_co_u32_e64 v43, s[6:7], s10, v4
	v_mov_b32_e32 v44, s11
	v_addc_co_u32_e64 v44, s[6:7], v44, v5, s[6:7]
	v_add_co_u32_e64 v43, s[6:7], v43, v37
	v_addc_co_u32_e64 v44, s[6:7], 0, v44, s[6:7]
	buffer_store_dword v27, off, s[0:3], 0
	buffer_store_dword v27, off, s[0:3], 0 offset:4
	buffer_store_dword v27, off, s[0:3], 0 offset:8
	buffer_store_dword v27, off, s[0:3], 0 offset:12
	v_cndmask_b32_e32 v44, v28, v44, vcc
	v_cndmask_b32_e32 v43, v29, v43, vcc
	flat_load_dwordx4 v[43:46], v[43:44]
	v_cmp_gt_i32_e32 vcc, s12, v26
	s_waitcnt vmcnt(0) lgkmcnt(0)
	ds_write_b128 v25, v[43:46]
	v_add_co_u32_e64 v43, s[6:7], s10, v8
	v_mov_b32_e32 v44, s11
	v_addc_co_u32_e64 v44, s[6:7], v44, v9, s[6:7]
	v_add_co_u32_e64 v43, s[6:7], v43, v37
	v_addc_co_u32_e64 v44, s[6:7], 0, v44, s[6:7]
	buffer_store_dword v27, off, s[0:3], 0
	buffer_store_dword v27, off, s[0:3], 0 offset:4
	buffer_store_dword v27, off, s[0:3], 0 offset:8
	buffer_store_dword v27, off, s[0:3], 0 offset:12
	v_cndmask_b32_e32 v44, v28, v44, vcc
	v_cndmask_b32_e32 v43, v29, v43, vcc
	;; [unrolled: 15-line block ×3, first 2 shown]
	flat_load_dwordx4 v[43:46], v[43:44]
	s_or_b32 s6, s18, 64
	s_mul_hi_i32 s7, s6, s8
	s_mul_i32 s6, s6, s8
	s_lshl_b64 s[6:7], s[6:7], 2
	s_add_u32 s10, s16, s6
	s_addc_u32 s11, s17, s7
	s_sub_i32 s12, s22, 64
	v_cmp_gt_i32_e32 vcc, s12, v1
	s_waitcnt vmcnt(0) lgkmcnt(0)
	ds_write_b128 v21, v[43:46]
	s_waitcnt lgkmcnt(0)
	s_barrier
	ds_read2_b64 v[43:46], v31 offset1:32
	ds_read_u16 v49, v20 offset:64
	ds_read_u16 v52, v20 offset:72
	;; [unrolled: 1-line block ×8, first 2 shown]
	s_waitcnt lgkmcnt(7)
	v_mul_u32_u24_e32 v49, 0x10001, v49
	v_pk_fma_f16 v50, v43, v49, v50
	v_pk_fma_f16 v51, v44, v49, v51
	;; [unrolled: 1-line block ×4, first 2 shown]
	ds_read2_b64 v[43:46], v2 offset1:32
	s_waitcnt lgkmcnt(7)
	v_mul_u32_u24_e32 v49, 0x10001, v52
	s_waitcnt lgkmcnt(0)
	v_pk_fma_f16 v50, v43, v49, v50
	v_pk_fma_f16 v51, v44, v49, v51
	v_pk_fma_f16 v47, v45, v49, v47
	v_pk_fma_f16 v48, v46, v49, v48
	ds_read2_b64 v[43:46], v3 offset1:32
	v_mul_u32_u24_e32 v49, 0x10001, v53
	s_waitcnt lgkmcnt(0)
	v_pk_fma_f16 v50, v43, v49, v50
	v_pk_fma_f16 v51, v44, v49, v51
	v_pk_fma_f16 v47, v45, v49, v47
	v_pk_fma_f16 v48, v46, v49, v48
	ds_read2_b64 v[43:46], v32 offset1:32
	v_mul_u32_u24_e32 v49, 0x10001, v54
	s_waitcnt lgkmcnt(0)
	v_pk_fma_f16 v50, v43, v49, v50
	v_pk_fma_f16 v51, v44, v49, v51
	v_pk_fma_f16 v47, v45, v49, v47
	v_pk_fma_f16 v48, v46, v49, v48
	ds_read2_b64 v[43:46], v39 offset1:32
	v_mul_u32_u24_e32 v49, 0x10001, v55
	s_waitcnt lgkmcnt(0)
	v_pk_fma_f16 v50, v43, v49, v50
	v_pk_fma_f16 v51, v44, v49, v51
	v_pk_fma_f16 v47, v45, v49, v47
	v_pk_fma_f16 v48, v46, v49, v48
	ds_read2_b64 v[43:46], v40 offset1:32
	v_mul_u32_u24_e32 v49, 0x10001, v56
	s_waitcnt lgkmcnt(0)
	v_pk_fma_f16 v50, v43, v49, v50
	v_pk_fma_f16 v51, v44, v49, v51
	v_pk_fma_f16 v47, v45, v49, v47
	v_pk_fma_f16 v48, v46, v49, v48
	ds_read2_b64 v[43:46], v41 offset1:32
	v_mul_u32_u24_e32 v49, 0x10001, v57
	s_waitcnt lgkmcnt(0)
	v_pk_fma_f16 v50, v43, v49, v50
	v_pk_fma_f16 v51, v44, v49, v51
	v_pk_fma_f16 v47, v45, v49, v47
	v_pk_fma_f16 v48, v46, v49, v48
	ds_read2_b64 v[43:46], v42 offset1:32
	v_mul_u32_u24_e32 v49, 0x10001, v58
	s_waitcnt lgkmcnt(0)
	s_barrier
	v_pk_fma_f16 v45, v45, v49, v47
	v_pk_fma_f16 v46, v46, v49, v48
	v_add_co_u32_e64 v47, s[6:7], s10, v10
	v_mov_b32_e32 v48, s11
	v_addc_co_u32_e64 v48, s[6:7], v48, v11, s[6:7]
	v_add_co_u32_e64 v47, s[6:7], v47, v37
	v_addc_co_u32_e64 v48, s[6:7], 0, v48, s[6:7]
	buffer_store_dword v27, off, s[0:3], 0
	buffer_store_dword v27, off, s[0:3], 0 offset:4
	buffer_store_dword v27, off, s[0:3], 0 offset:8
	buffer_store_dword v27, off, s[0:3], 0 offset:12
	v_cndmask_b32_e32 v48, v28, v48, vcc
	v_cndmask_b32_e32 v47, v29, v47, vcc
	v_pk_fma_f16 v43, v43, v49, v50
	v_pk_fma_f16 v44, v44, v49, v51
	flat_load_dwordx4 v[47:50], v[47:48]
	v_cmp_gt_i32_e32 vcc, s12, v30
	s_waitcnt vmcnt(0) lgkmcnt(0)
	ds_write_b128 v22, v[47:50]
	v_add_co_u32_e64 v47, s[6:7], s10, v4
	v_mov_b32_e32 v48, s11
	v_addc_co_u32_e64 v48, s[6:7], v48, v5, s[6:7]
	v_add_co_u32_e64 v47, s[6:7], v47, v37
	v_addc_co_u32_e64 v48, s[6:7], 0, v48, s[6:7]
	buffer_store_dword v27, off, s[0:3], 0
	buffer_store_dword v27, off, s[0:3], 0 offset:4
	buffer_store_dword v27, off, s[0:3], 0 offset:8
	buffer_store_dword v27, off, s[0:3], 0 offset:12
	v_cndmask_b32_e32 v48, v28, v48, vcc
	v_cndmask_b32_e32 v47, v29, v47, vcc
	flat_load_dwordx4 v[47:50], v[47:48]
	v_cmp_gt_i32_e32 vcc, s12, v26
	s_waitcnt vmcnt(0) lgkmcnt(0)
	ds_write_b128 v25, v[47:50]
	v_add_co_u32_e64 v47, s[6:7], s10, v8
	v_mov_b32_e32 v48, s11
	v_addc_co_u32_e64 v48, s[6:7], v48, v9, s[6:7]
	v_add_co_u32_e64 v47, s[6:7], v47, v37
	v_addc_co_u32_e64 v48, s[6:7], 0, v48, s[6:7]
	buffer_store_dword v27, off, s[0:3], 0
	buffer_store_dword v27, off, s[0:3], 0 offset:4
	buffer_store_dword v27, off, s[0:3], 0 offset:8
	buffer_store_dword v27, off, s[0:3], 0 offset:12
	v_cndmask_b32_e32 v48, v28, v48, vcc
	v_cndmask_b32_e32 v47, v29, v47, vcc
	;; [unrolled: 15-line block ×3, first 2 shown]
	flat_load_dwordx4 v[47:50], v[47:48]
	s_or_b32 s6, s18, 0x60
	s_mul_hi_i32 s7, s6, s8
	s_mul_i32 s6, s6, s8
	s_lshl_b64 s[6:7], s[6:7], 2
	s_add_u32 s8, s16, s6
	s_addc_u32 s10, s17, s7
	v_add_co_u32_e64 v10, s[6:7], s8, v10
	s_addk_i32 s22, 0xffa0
	v_cmp_gt_i32_e32 vcc, s22, v1
	s_waitcnt vmcnt(0) lgkmcnt(0)
	ds_write_b128 v21, v[47:50]
	s_waitcnt lgkmcnt(0)
	s_barrier
	ds_read2_b64 v[47:50], v31 offset1:32
	ds_read_u16 v51, v20 offset:128
	ds_read_u16 v52, v20 offset:136
	;; [unrolled: 1-line block ×8, first 2 shown]
	s_waitcnt lgkmcnt(7)
	v_mul_u32_u24_e32 v51, 0x10001, v51
	v_pk_fma_f16 v47, v47, v51, v43
	v_pk_fma_f16 v48, v48, v51, v44
	;; [unrolled: 1-line block ×4, first 2 shown]
	ds_read2_b64 v[43:46], v2 offset1:32
	s_waitcnt lgkmcnt(7)
	v_mul_u32_u24_e32 v51, 0x10001, v52
	s_waitcnt lgkmcnt(0)
	v_pk_fma_f16 v47, v43, v51, v47
	v_pk_fma_f16 v48, v44, v51, v48
	v_pk_fma_f16 v49, v45, v51, v49
	v_pk_fma_f16 v50, v46, v51, v50
	ds_read2_b64 v[43:46], v3 offset1:32
	v_mul_u32_u24_e32 v51, 0x10001, v53
	s_waitcnt lgkmcnt(0)
	v_pk_fma_f16 v47, v43, v51, v47
	v_pk_fma_f16 v48, v44, v51, v48
	v_pk_fma_f16 v49, v45, v51, v49
	v_pk_fma_f16 v50, v46, v51, v50
	ds_read2_b64 v[43:46], v32 offset1:32
	;; [unrolled: 7-line block ×6, first 2 shown]
	v_mul_u32_u24_e32 v51, 0x10001, v58
	s_waitcnt lgkmcnt(0)
	s_barrier
	v_pk_fma_f16 v43, v43, v51, v47
	v_mov_b32_e32 v47, s10
	v_addc_co_u32_e64 v11, s[6:7], v47, v11, s[6:7]
	v_add_co_u32_e64 v10, s[6:7], v10, v37
	v_addc_co_u32_e64 v11, s[6:7], 0, v11, s[6:7]
	buffer_store_dword v27, off, s[0:3], 0
	buffer_store_dword v27, off, s[0:3], 0 offset:4
	buffer_store_dword v27, off, s[0:3], 0 offset:8
	buffer_store_dword v27, off, s[0:3], 0 offset:12
	v_cndmask_b32_e32 v11, v28, v11, vcc
	v_cndmask_b32_e32 v10, v29, v10, vcc
	v_pk_fma_f16 v44, v44, v51, v48
	v_pk_fma_f16 v45, v45, v51, v49
	;; [unrolled: 1-line block ×3, first 2 shown]
	flat_load_dwordx4 v[47:50], v[10:11]
	v_add_co_u32_e64 v4, s[6:7], s8, v4
	v_mov_b32_e32 v10, s10
	v_addc_co_u32_e64 v5, s[6:7], v10, v5, s[6:7]
	v_add_co_u32_e64 v4, s[6:7], v4, v37
	v_cmp_gt_i32_e32 vcc, s22, v30
	v_addc_co_u32_e64 v5, s[6:7], 0, v5, s[6:7]
	v_cndmask_b32_e32 v5, v28, v5, vcc
	v_cndmask_b32_e32 v4, v29, v4, vcc
	v_cmp_gt_i32_e32 vcc, s22, v26
	s_waitcnt vmcnt(0) lgkmcnt(0)
	ds_write_b128 v22, v[47:50]
	buffer_store_dword v27, off, s[0:3], 0
	buffer_store_dword v27, off, s[0:3], 0 offset:4
	buffer_store_dword v27, off, s[0:3], 0 offset:8
	;; [unrolled: 1-line block ×3, first 2 shown]
	flat_load_dwordx4 v[47:50], v[4:5]
	v_add_co_u32_e64 v4, s[6:7], s8, v8
	v_mov_b32_e32 v5, s10
	v_addc_co_u32_e64 v5, s[6:7], v5, v9, s[6:7]
	v_add_co_u32_e64 v4, s[6:7], v4, v37
	v_addc_co_u32_e64 v5, s[6:7], 0, v5, s[6:7]
	v_cndmask_b32_e32 v5, v28, v5, vcc
	v_cndmask_b32_e32 v4, v29, v4, vcc
	v_cmp_gt_i32_e32 vcc, s22, v23
	s_waitcnt vmcnt(0) lgkmcnt(0)
	ds_write_b128 v25, v[47:50]
	buffer_store_dword v27, off, s[0:3], 0
	buffer_store_dword v27, off, s[0:3], 0 offset:4
	buffer_store_dword v27, off, s[0:3], 0 offset:8
	;; [unrolled: 1-line block ×3, first 2 shown]
	flat_load_dwordx4 v[8:11], v[4:5]
	v_add_co_u32_e64 v4, s[6:7], s8, v6
	v_mov_b32_e32 v5, s10
	v_addc_co_u32_e64 v5, s[6:7], v5, v7, s[6:7]
	v_add_co_u32_e64 v4, s[6:7], v4, v37
	v_addc_co_u32_e64 v5, s[6:7], 0, v5, s[6:7]
	v_cndmask_b32_e32 v5, v28, v5, vcc
	v_cndmask_b32_e32 v4, v29, v4, vcc
	s_waitcnt vmcnt(0) lgkmcnt(0)
	ds_write_b128 v24, v[8:11]
	buffer_store_dword v27, off, s[0:3], 0
	buffer_store_dword v27, off, s[0:3], 0 offset:4
	buffer_store_dword v27, off, s[0:3], 0 offset:8
	;; [unrolled: 1-line block ×3, first 2 shown]
	flat_load_dwordx4 v[4:7], v[4:5]
	s_waitcnt vmcnt(0) lgkmcnt(0)
	ds_write_b128 v21, v[4:7]
	s_waitcnt lgkmcnt(0)
	s_barrier
	ds_read2_b64 v[4:7], v31 offset1:32
	ds_read_u16 v8, v20 offset:192
	ds_read_u16 v9, v20 offset:200
	;; [unrolled: 1-line block ×8, first 2 shown]
	s_waitcnt lgkmcnt(7)
	v_mul_u32_u24_e32 v8, 0x10001, v8
	v_pk_fma_f16 v24, v4, v8, v43
	v_pk_fma_f16 v25, v5, v8, v44
	;; [unrolled: 1-line block ×4, first 2 shown]
	ds_read2_b64 v[4:7], v2 offset1:32
	s_waitcnt lgkmcnt(7)
	v_mul_u32_u24_e32 v2, 0x10001, v9
	s_waitcnt lgkmcnt(0)
	v_pk_fma_f16 v9, v4, v2, v24
	v_pk_fma_f16 v24, v5, v2, v25
	v_pk_fma_f16 v6, v6, v2, v26
	v_pk_fma_f16 v7, v7, v2, v8
	ds_read2_b64 v[2:5], v3 offset1:32
	v_mul_u32_u24_e32 v8, 0x10001, v10
	s_waitcnt lgkmcnt(0)
	v_pk_fma_f16 v9, v2, v8, v9
	v_pk_fma_f16 v10, v3, v8, v24
	v_pk_fma_f16 v6, v4, v8, v6
	v_pk_fma_f16 v7, v5, v8, v7
	ds_read2_b64 v[2:5], v32 offset1:32
	;; [unrolled: 7-line block ×6, first 2 shown]
	v_mul_u32_u24_e32 v8, 0x10001, v20
	s_waitcnt lgkmcnt(0)
	s_barrier
	v_pk_fma_f16 v2, v2, v8, v9
	v_pk_fma_f16 v3, v3, v8, v10
	;; [unrolled: 1-line block ×4, first 2 shown]
	v_mov_b32_e32 v7, v19
.LBB55_28:
	v_cmp_lt_i32_e32 vcc, v14, v13
	v_cndmask_b32_e32 v6, v12, v14, vcc
	v_lshlrev_b32_e32 v6, 2, v6
	ds_bpermute_b32 v6, v6, v38
	v_cmp_lt_i32_e32 vcc, v15, v13
	v_cndmask_b32_e32 v8, v12, v15, vcc
	v_lshlrev_b32_e32 v8, 2, v8
	v_cmp_lt_i32_e32 vcc, v16, v13
	s_waitcnt lgkmcnt(0)
	v_add_f32_e32 v6, v38, v6
	ds_bpermute_b32 v8, v8, v6
	v_cndmask_b32_e32 v9, v12, v16, vcc
	v_lshlrev_b32_e32 v9, 2, v9
	v_cmp_lt_i32_e32 vcc, v17, v13
	v_cmp_ne_u32_e64 s[6:7], 0, v36
	s_waitcnt lgkmcnt(0)
	v_add_f32_e32 v6, v6, v8
	ds_bpermute_b32 v8, v9, v6
	v_cndmask_b32_e32 v9, v12, v17, vcc
	v_lshlrev_b32_e32 v9, 2, v9
	v_cmp_lt_i32_e32 vcc, v18, v13
	s_waitcnt lgkmcnt(0)
	v_add_f32_e32 v6, v6, v8
	ds_bpermute_b32 v8, v9, v6
	v_cndmask_b32_e32 v9, v12, v18, vcc
	v_lshlrev_b32_e32 v9, 2, v9
	v_cmp_eq_u32_e32 vcc, 0, v36
	s_waitcnt lgkmcnt(0)
	v_add_f32_e32 v6, v6, v8
	ds_bpermute_b32 v8, v9, v6
	s_waitcnt lgkmcnt(0)
	v_add_f32_e32 v8, v6, v8
	s_and_saveexec_b64 s[10:11], s[6:7]
	s_xor_b64 s[10:11], exec, s[10:11]
	s_cbranch_execnz .LBB55_32
; %bb.29:
	s_andn2_saveexec_b64 s[6:7], s[10:11]
	s_cbranch_execnz .LBB55_35
.LBB55_30:
	s_or_b64 exec, exec, s[6:7]
	s_and_saveexec_b64 s[6:7], vcc
	s_cbranch_execnz .LBB55_36
.LBB55_31:
	s_endpgm
.LBB55_32:
	v_lshlrev_b32_e32 v6, 4, v0
	v_lshl_add_u32 v1, v1, 9, v6
	v_cmp_eq_u32_e64 s[6:7], 0, v0
	ds_write_b128 v1, v[2:5]
	s_and_saveexec_b64 s[12:13], s[6:7]
; %bb.33:
	ds_write_b32 v35, v8 offset:18432
; %bb.34:
	s_or_b64 exec, exec, s[12:13]
                                        ; implicit-def: $vgpr1
                                        ; implicit-def: $vgpr35
	s_andn2_saveexec_b64 s[6:7], s[10:11]
	s_cbranch_execz .LBB55_30
.LBB55_35:
	v_lshlrev_b32_e32 v1, 9, v1
	v_lshl_add_u32 v1, v0, 4, v1
	s_waitcnt lgkmcnt(0)
	s_barrier
	ds_read_b128 v[9:12], v1 offset:512
	ds_read_b128 v[13:16], v1 offset:1024
	s_waitcnt lgkmcnt(1)
	v_pk_add_f16 v6, v9, v2
	v_add_u32_e32 v2, 0x4804, v35
	ds_read2_b32 v[17:18], v2 offset1:1
	v_pk_add_f16 v9, v10, v3
	v_pk_add_f16 v10, v11, v4
	;; [unrolled: 1-line block ×3, first 2 shown]
	ds_read_b128 v[2:5], v1 offset:1536
	s_waitcnt lgkmcnt(1)
	v_add_f32_e32 v1, v8, v17
	v_pk_add_f16 v8, v14, v9
	v_pk_add_f16 v9, v15, v10
	;; [unrolled: 1-line block ×3, first 2 shown]
	ds_read_b32 v11, v35 offset:18444
	v_pk_add_f16 v6, v13, v6
	v_add_f32_e32 v1, v1, v18
	s_waitcnt lgkmcnt(1)
	v_pk_add_f16 v2, v2, v6
	v_pk_add_f16 v3, v3, v8
	;; [unrolled: 1-line block ×4, first 2 shown]
	s_waitcnt lgkmcnt(0)
	v_add_f32_e32 v8, v1, v11
	s_or_b64 exec, exec, s[6:7]
	s_and_saveexec_b64 s[6:7], vcc
	s_cbranch_execz .LBB55_31
.LBB55_36:
	s_cmp_eq_u64 s[20:21], 0
	s_cselect_b64 s[6:7], -1, 0
	s_cmp_lg_u32 s9, 0
	s_cselect_b64 s[10:11], -1, 0
	s_or_b64 s[6:7], s[10:11], s[6:7]
	s_and_b64 vcc, exec, s[6:7]
	s_cbranch_vccnz .LBB55_38
; %bb.37:
	s_lshl_b64 s[6:7], s[34:35], 2
	s_add_u32 s6, s20, s6
	s_addc_u32 s7, s21, s7
	v_mov_b32_e32 v1, 0
	global_load_dword v1, v1, s[6:7]
	v_max_f32_e32 v6, v7, v7
	s_mov_b32 s6, 0x3fb8aa3b
	s_mov_b32 s7, 0xc2ce8ed0
	s_waitcnt vmcnt(0)
	v_max_f32_e32 v9, v1, v1
	v_max_f32_e32 v6, v6, v9
	v_sub_f32_e32 v7, v7, v6
	v_sub_f32_e32 v1, v1, v6
	v_mul_f32_e32 v9, 0x3fb8aa3b, v7
	v_mul_f32_e32 v10, 0x3fb8aa3b, v1
	v_fma_f32 v11, v7, s6, -v9
	v_rndne_f32_e32 v12, v9
	v_fma_f32 v13, v1, s6, -v10
	v_rndne_f32_e32 v14, v10
	v_fmac_f32_e32 v11, 0x32a5705f, v7
	v_sub_f32_e32 v9, v9, v12
	v_fmac_f32_e32 v13, 0x32a5705f, v1
	v_sub_f32_e32 v10, v10, v14
	v_add_f32_e32 v9, v9, v11
	v_cvt_i32_f32_e32 v12, v12
	v_add_f32_e32 v10, v10, v13
	v_exp_f32_e32 v9, v9
	v_cvt_i32_f32_e32 v14, v14
	v_exp_f32_e32 v10, v10
	v_cmp_ngt_f32_e32 vcc, s7, v7
	v_ldexp_f32 v9, v9, v12
	s_mov_b32 s6, 0x42b17218
	v_ldexp_f32 v10, v10, v14
	v_cndmask_b32_e32 v9, 0, v9, vcc
	v_cmp_ngt_f32_e32 vcc, s7, v1
	v_mov_b32_e32 v11, 0x7f800000
	v_cndmask_b32_e32 v10, 0, v10, vcc
	v_cmp_nlt_f32_e32 vcc, s6, v7
	v_cndmask_b32_e32 v7, v11, v9, vcc
	v_cvt_f16_f32_e32 v9, v7
	v_cmp_nlt_f32_e32 vcc, s6, v1
	v_cndmask_b32_e32 v1, v11, v10, vcc
	v_fmac_f32_e32 v1, v8, v7
	v_mov_b32_e32 v8, v1
	v_mul_u32_u24_e32 v1, 0x10001, v9
	v_pk_mul_f16 v2, v2, v1
	v_pk_mul_f16 v3, v3, v1
	;; [unrolled: 1-line block ×4, first 2 shown]
	v_mov_b32_e32 v7, v6
.LBB55_38:
	v_cmp_gt_i32_e32 vcc, s30, v34
	s_and_b64 exec, exec, vcc
	s_cbranch_execz .LBB55_31
; %bb.39:
	v_div_scale_f32 v1, s[6:7], v8, v8, 1.0
	v_div_scale_f32 v6, vcc, 1.0, v8, 1.0
	s_load_dword s6, s[4:5], 0xd4
	v_cmp_eq_u32_e64 s[4:5], 0, v0
	s_mul_i32 s33, s33, s30
	v_cvt_f32_f16_sdwa v10, v2 dst_sel:DWORD dst_unused:UNUSED_PAD src0_sel:WORD_1
	v_cvt_f32_f16_e32 v13, v2
	v_add_u32_e32 v2, s33, v34
	v_mul_lo_u32 v2, v2, s31
	v_cvt_f32_f16_sdwa v9, v3 dst_sel:DWORD dst_unused:UNUSED_PAD src0_sel:WORD_1
	v_cvt_f32_f16_e32 v3, v3
	v_cvt_f32_f16_sdwa v14, v5 dst_sel:DWORD dst_unused:UNUSED_PAD src0_sel:WORD_1
	v_cvt_f32_f16_e32 v15, v5
	s_waitcnt lgkmcnt(0)
	s_cmp_lg_u32 s6, 1
	v_rcp_f32_e32 v0, v1
	v_cvt_f32_f16_sdwa v16, v4 dst_sel:DWORD dst_unused:UNUSED_PAD src0_sel:WORD_1
	v_fma_f32 v11, -v1, v0, 1.0
	v_fmac_f32_e32 v0, v11, v0
	v_mul_f32_e32 v11, v6, v0
	v_fma_f32 v12, -v1, v11, v6
	v_fmac_f32_e32 v11, v12, v0
	v_fma_f32 v1, -v1, v11, v6
	v_div_fmas_f32 v11, v1, v0, v11
	v_add_u32_e32 v0, s34, v2
	v_mul_lo_u32 v0, s6, v0
	v_mov_b32_e32 v6, 0
	s_cselect_b64 s[6:7], -1, 0
	v_mov_b32_e32 v12, s25
	v_add_u32_e32 v0, s9, v0
	v_lshl_add_u32 v5, v0, 8, v33
	v_lshlrev_b64 v[1:2], 2, v[5:6]
	v_add_u32_e32 v5, 0x80, v5
	v_add_co_u32_e32 v1, vcc, s24, v1
	v_addc_co_u32_e32 v2, vcc, v12, v2, vcc
	v_lshlrev_b64 v[5:6], 2, v[5:6]
	s_and_b64 s[4:5], s[4:5], s[6:7]
	v_div_fixup_f32 v11, v11, v8, 1.0
	v_cndmask_b32_e64 v17, v11, 1.0, s[6:7]
	v_mul_f32_e32 v12, v17, v9
	v_mul_f32_e32 v11, v17, v3
	;; [unrolled: 1-line block ×4, first 2 shown]
	global_store_dwordx4 v[1:2], v[9:12], off
	v_cvt_f32_f16_e32 v1, v4
	v_mov_b32_e32 v9, s25
	v_add_co_u32_e32 v5, vcc, s24, v5
	v_mul_f32_e32 v4, v17, v14
	v_mul_f32_e32 v3, v17, v15
	;; [unrolled: 1-line block ×4, first 2 shown]
	v_addc_co_u32_e32 v6, vcc, v9, v6, vcc
	global_store_dwordx4 v[5:6], v[1:4], off
	s_and_b64 exec, exec, s[4:5]
	s_cbranch_execz .LBB55_31
; %bb.40:
	v_ashrrev_i32_e32 v1, 31, v0
	v_lshlrev_b64 v[0:1], 3, v[0:1]
	v_mov_b32_e32 v2, s27
	v_add_co_u32_e32 v0, vcc, s26, v0
	v_addc_co_u32_e32 v1, vcc, v2, v1, vcc
	global_store_dwordx2 v[0:1], v[7:8], off
	s_endpgm
	.section	.rodata,"a",@progbits
	.p2align	6, 0x0
	.amdhsa_kernel _ZL15flash_attn_tileILi256ELi256ELi2ELi1ELb0EEvPKcS1_S1_S1_S1_PKiPfP15HIP_vector_typeIfLj2EEffffjfiS5_IjLj3EEiiiiiiiiiiiliiliiiiil
		.amdhsa_group_segment_fixed_size 20032
		.amdhsa_private_segment_fixed_size 32
		.amdhsa_kernarg_size 464
		.amdhsa_user_sgpr_count 8
		.amdhsa_user_sgpr_private_segment_buffer 1
		.amdhsa_user_sgpr_dispatch_ptr 0
		.amdhsa_user_sgpr_queue_ptr 0
		.amdhsa_user_sgpr_kernarg_segment_ptr 1
		.amdhsa_user_sgpr_dispatch_id 0
		.amdhsa_user_sgpr_flat_scratch_init 1
		.amdhsa_user_sgpr_private_segment_size 0
		.amdhsa_uses_dynamic_stack 0
		.amdhsa_system_sgpr_private_segment_wavefront_offset 1
		.amdhsa_system_sgpr_workgroup_id_x 1
		.amdhsa_system_sgpr_workgroup_id_y 1
		.amdhsa_system_sgpr_workgroup_id_z 1
		.amdhsa_system_sgpr_workgroup_info 0
		.amdhsa_system_vgpr_workitem_id 1
		.amdhsa_next_free_vgpr 82
		.amdhsa_next_free_sgpr 96
		.amdhsa_reserve_vcc 1
		.amdhsa_reserve_flat_scratch 1
		.amdhsa_float_round_mode_32 0
		.amdhsa_float_round_mode_16_64 0
		.amdhsa_float_denorm_mode_32 3
		.amdhsa_float_denorm_mode_16_64 3
		.amdhsa_dx10_clamp 1
		.amdhsa_ieee_mode 1
		.amdhsa_fp16_overflow 0
		.amdhsa_exception_fp_ieee_invalid_op 0
		.amdhsa_exception_fp_denorm_src 0
		.amdhsa_exception_fp_ieee_div_zero 0
		.amdhsa_exception_fp_ieee_overflow 0
		.amdhsa_exception_fp_ieee_underflow 0
		.amdhsa_exception_fp_ieee_inexact 0
		.amdhsa_exception_int_div_zero 0
	.end_amdhsa_kernel
	.section	.text._ZL15flash_attn_tileILi256ELi256ELi2ELi1ELb0EEvPKcS1_S1_S1_S1_PKiPfP15HIP_vector_typeIfLj2EEffffjfiS5_IjLj3EEiiiiiiiiiiiliiliiiiil,"axG",@progbits,_ZL15flash_attn_tileILi256ELi256ELi2ELi1ELb0EEvPKcS1_S1_S1_S1_PKiPfP15HIP_vector_typeIfLj2EEffffjfiS5_IjLj3EEiiiiiiiiiiiliiliiiiil,comdat
.Lfunc_end55:
	.size	_ZL15flash_attn_tileILi256ELi256ELi2ELi1ELb0EEvPKcS1_S1_S1_S1_PKiPfP15HIP_vector_typeIfLj2EEffffjfiS5_IjLj3EEiiiiiiiiiiiliiliiiiil, .Lfunc_end55-_ZL15flash_attn_tileILi256ELi256ELi2ELi1ELb0EEvPKcS1_S1_S1_S1_PKiPfP15HIP_vector_typeIfLj2EEffffjfiS5_IjLj3EEiiiiiiiiiiiliiliiiiil
                                        ; -- End function
	.set _ZL15flash_attn_tileILi256ELi256ELi2ELi1ELb0EEvPKcS1_S1_S1_S1_PKiPfP15HIP_vector_typeIfLj2EEffffjfiS5_IjLj3EEiiiiiiiiiiiliiliiiiil.num_vgpr, 82
	.set _ZL15flash_attn_tileILi256ELi256ELi2ELi1ELb0EEvPKcS1_S1_S1_S1_PKiPfP15HIP_vector_typeIfLj2EEffffjfiS5_IjLj3EEiiiiiiiiiiiliiliiiiil.num_agpr, 0
	.set _ZL15flash_attn_tileILi256ELi256ELi2ELi1ELb0EEvPKcS1_S1_S1_S1_PKiPfP15HIP_vector_typeIfLj2EEffffjfiS5_IjLj3EEiiiiiiiiiiiliiliiiiil.numbered_sgpr, 52
	.set _ZL15flash_attn_tileILi256ELi256ELi2ELi1ELb0EEvPKcS1_S1_S1_S1_PKiPfP15HIP_vector_typeIfLj2EEffffjfiS5_IjLj3EEiiiiiiiiiiiliiliiiiil.num_named_barrier, 0
	.set _ZL15flash_attn_tileILi256ELi256ELi2ELi1ELb0EEvPKcS1_S1_S1_S1_PKiPfP15HIP_vector_typeIfLj2EEffffjfiS5_IjLj3EEiiiiiiiiiiiliiliiiiil.private_seg_size, 32
	.set _ZL15flash_attn_tileILi256ELi256ELi2ELi1ELb0EEvPKcS1_S1_S1_S1_PKiPfP15HIP_vector_typeIfLj2EEffffjfiS5_IjLj3EEiiiiiiiiiiiliiliiiiil.uses_vcc, 1
	.set _ZL15flash_attn_tileILi256ELi256ELi2ELi1ELb0EEvPKcS1_S1_S1_S1_PKiPfP15HIP_vector_typeIfLj2EEffffjfiS5_IjLj3EEiiiiiiiiiiiliiliiiiil.uses_flat_scratch, 1
	.set _ZL15flash_attn_tileILi256ELi256ELi2ELi1ELb0EEvPKcS1_S1_S1_S1_PKiPfP15HIP_vector_typeIfLj2EEffffjfiS5_IjLj3EEiiiiiiiiiiiliiliiiiil.has_dyn_sized_stack, 0
	.set _ZL15flash_attn_tileILi256ELi256ELi2ELi1ELb0EEvPKcS1_S1_S1_S1_PKiPfP15HIP_vector_typeIfLj2EEffffjfiS5_IjLj3EEiiiiiiiiiiiliiliiiiil.has_recursion, 0
	.set _ZL15flash_attn_tileILi256ELi256ELi2ELi1ELb0EEvPKcS1_S1_S1_S1_PKiPfP15HIP_vector_typeIfLj2EEffffjfiS5_IjLj3EEiiiiiiiiiiiliiliiiiil.has_indirect_call, 0
	.section	.AMDGPU.csdata,"",@progbits
; Kernel info:
; codeLenInByte = 17276
; TotalNumSgprs: 58
; NumVgprs: 82
; ScratchSize: 32
; MemoryBound: 0
; FloatMode: 240
; IeeeMode: 1
; LDSByteSize: 20032 bytes/workgroup (compile time only)
; SGPRBlocks: 12
; VGPRBlocks: 20
; NumSGPRsForWavesPerEU: 102
; NumVGPRsForWavesPerEU: 82
; Occupancy: 3
; WaveLimiterHint : 1
; COMPUTE_PGM_RSRC2:SCRATCH_EN: 1
; COMPUTE_PGM_RSRC2:USER_SGPR: 8
; COMPUTE_PGM_RSRC2:TRAP_HANDLER: 0
; COMPUTE_PGM_RSRC2:TGID_X_EN: 1
; COMPUTE_PGM_RSRC2:TGID_Y_EN: 1
; COMPUTE_PGM_RSRC2:TGID_Z_EN: 1
; COMPUTE_PGM_RSRC2:TIDIG_COMP_CNT: 1
	.section	.text._ZL33flash_attn_stream_k_fixup_uniformILi256ELi2ELi1EEvPfPK15HIP_vector_typeIfLj2EEiiiiiiS1_IjLj3EES5_S5_,"axG",@progbits,_ZL33flash_attn_stream_k_fixup_uniformILi256ELi2ELi1EEvPfPK15HIP_vector_typeIfLj2EEiiiiiiS1_IjLj3EES5_S5_,comdat
	.globl	_ZL33flash_attn_stream_k_fixup_uniformILi256ELi2ELi1EEvPfPK15HIP_vector_typeIfLj2EEiiiiiiS1_IjLj3EES5_S5_ ; -- Begin function _ZL33flash_attn_stream_k_fixup_uniformILi256ELi2ELi1EEvPfPK15HIP_vector_typeIfLj2EEiiiiiiS1_IjLj3EES5_S5_
	.p2align	8
	.type	_ZL33flash_attn_stream_k_fixup_uniformILi256ELi2ELi1EEvPfPK15HIP_vector_typeIfLj2EEiiiiiiS1_IjLj3EES5_S5_,@function
_ZL33flash_attn_stream_k_fixup_uniformILi256ELi2ELi1EEvPfPK15HIP_vector_typeIfLj2EEiiiiiiS1_IjLj3EES5_S5_: ; @_ZL33flash_attn_stream_k_fixup_uniformILi256ELi2ELi1EEvPfPK15HIP_vector_typeIfLj2EEiiiiiiS1_IjLj3EES5_S5_
; %bb.0:
	s_load_dwordx8 s[12:19], s[4:5], 0x1c
	s_load_dwordx2 s[10:11], s[4:5], 0x10
	s_load_dwordx4 s[0:3], s[4:5], 0x3c
	s_waitcnt lgkmcnt(0)
	s_mul_hi_u32 s9, s15, s6
	s_add_i32 s9, s6, s9
	s_lshr_b32 s9, s9, s16
	s_mul_i32 s15, s9, s17
	s_sub_i32 s15, s6, s15
	s_mul_hi_u32 s16, s15, s18
	s_add_i32 s16, s15, s16
	s_lshr_b32 s16, s16, s19
	s_mul_i32 s0, s16, s0
	s_sub_i32 s0, s15, s0
	;; [unrolled: 5-line block ×3, first 2 shown]
	s_lshl_b32 s0, s17, 1
	s_add_i32 s0, s0, s7
	s_cmp_lt_i32 s0, s10
	s_cselect_b64 s[0:1], -1, 0
	s_add_i32 s2, s15, s8
	s_cmp_lt_i32 s2, s13
	s_cselect_b64 s[2:3], -1, 0
	s_and_b64 s[0:1], s[0:1], s[2:3]
	s_andn2_b64 vcc, exec, s[0:1]
	s_cbranch_vccnz .LBB56_6
; %bb.1:
	s_load_dwordx4 s[0:3], s[4:5], 0x0
	s_mul_i32 s4, s9, s10
	s_add_i32 s4, s4, s7
	s_mul_i32 s4, s4, s11
	s_mul_i32 s16, s16, s13
	s_add_i32 s4, s4, s8
	s_add_i32 s4, s4, s16
	s_mul_i32 s5, s11, s17
	s_add_i32 s4, s4, s15
	s_lshl_b32 s5, s5, 9
	s_lshl_b32 s4, s4, 8
	s_add_i32 s5, s5, s4
	v_or_b32_e32 v1, s5, v0
	v_ashrrev_i32_e32 v2, 31, v1
	v_lshlrev_b64 v[1:2], 2, v[1:2]
	s_waitcnt lgkmcnt(0)
	v_mov_b32_e32 v3, s1
	v_add_co_u32_e32 v1, vcc, s0, v1
	v_addc_co_u32_e32 v2, vcc, v3, v2, vcc
	global_load_dword v8, v[1:2], off
	s_add_i32 s4, s7, s8
	s_mul_i32 s7, s14, s6
	s_add_i32 s5, s7, s14
	s_lshl_b32 s0, s5, 1
	s_add_i32 s0, s4, s0
	s_add_i32 s0, s0, -2
	s_ashr_i32 s1, s0, 31
	s_lshl_b64 s[0:1], s[0:1], 3
	s_add_u32 s0, s2, s0
	s_addc_u32 s1, s3, s1
	s_load_dword s10, s[0:1], 0x4
	s_add_i32 s8, s5, -2
	s_cmp_lt_i32 s8, s7
	s_cbranch_scc1 .LBB56_4
; %bb.2:
	s_lshl_b32 s8, s12, 3
	s_ashr_i32 s9, s8, 31
	s_lshl_b64 s[8:9], s[8:9], 2
	s_add_u32 s8, s2, s8
	s_addc_u32 s11, s3, s9
	s_add_i32 s6, s6, 1
	s_add_i32 s9, s5, -1
	s_mul_i32 s5, s14, s6
	s_load_dword s0, s[0:1], 0x0
	s_lshl_b32 s1, s4, 8
	s_lshl_b32 s6, s5, 9
	s_add_i32 s1, s1, s6
	v_or_b32_e32 v0, s1, v0
	s_lshl_b32 s1, s5, 1
	s_add_i32 s1, s4, s1
	s_lshl_b32 s4, s12, 1
	s_add_i32 s1, s1, s4
	v_add_u32_e32 v3, 0xfffffc00, v0
	s_add_i32 s4, s1, -4
	s_waitcnt lgkmcnt(0)
	v_mov_b32_e32 v7, s10
	v_mov_b32_e32 v6, s0
	;; [unrolled: 1-line block ×3, first 2 shown]
	s_mov_b32 s6, 0x3fb8aa3b
	s_mov_b32 s10, 0xc2ce8ed0
	;; [unrolled: 1-line block ×3, first 2 shown]
	v_mov_b32_e32 v5, 0x7f800000
	s_mov_b32 s12, 0xc1a00000
.LBB56_3:                               ; =>This Inner Loop Header: Depth=1
	v_ashrrev_i32_e32 v4, 31, v3
	v_lshlrev_b64 v[9:10], 2, v[3:4]
	s_ashr_i32 s5, s4, 31
	v_add_co_u32_e32 v9, vcc, s8, v9
	v_addc_co_u32_e32 v10, vcc, v0, v10, vcc
	global_load_dword v4, v[9:10], off
	s_lshl_b64 s[0:1], s[4:5], 3
	s_add_u32 s0, s2, s0
	s_addc_u32 s1, s3, s1
	s_load_dwordx2 s[14:15], s[0:1], 0x0
	s_waitcnt vmcnt(1)
	v_mov_b32_e32 v9, v8
	v_max_f32_e32 v8, v6, v6
	v_mov_b32_e32 v10, v7
	s_add_i32 s9, s9, -1
	s_waitcnt lgkmcnt(0)
	v_max_f32_e64 v7, s14, s14
	v_max_f32_e32 v7, v8, v7
	v_sub_f32_e32 v11, s14, v7
	v_sub_f32_e32 v8, v6, v7
	v_mul_f32_e32 v12, 0x3fb8aa3b, v11
	v_mov_b32_e32 v6, v7
	v_mul_f32_e32 v7, 0x3fb8aa3b, v8
	v_fma_f32 v15, v11, s6, -v12
	v_rndne_f32_e32 v16, v12
	v_fma_f32 v13, v8, s6, -v7
	v_rndne_f32_e32 v14, v7
	v_fmac_f32_e32 v15, 0x32a5705f, v11
	v_sub_f32_e32 v12, v12, v16
	v_fmac_f32_e32 v13, 0x32a5705f, v8
	v_sub_f32_e32 v7, v7, v14
	v_add_f32_e32 v12, v12, v15
	v_cvt_i32_f32_e32 v16, v16
	v_add_f32_e32 v7, v7, v13
	v_exp_f32_e32 v12, v12
	v_cvt_i32_f32_e32 v14, v14
	v_exp_f32_e32 v7, v7
	v_cmp_ngt_f32_e32 vcc, s10, v11
	v_ldexp_f32 v12, v12, v16
	v_cmp_ngt_f32_e64 s[0:1], s10, v8
	v_ldexp_f32 v7, v7, v14
	v_cndmask_b32_e32 v12, 0, v12, vcc
	v_cmp_nlt_f32_e32 vcc, s11, v11
	v_cndmask_b32_e64 v7, 0, v7, s[0:1]
	v_cmp_nlt_f32_e64 s[0:1], s11, v8
	v_cndmask_b32_e32 v12, v5, v12, vcc
	v_cmp_le_f32_e32 vcc, s12, v11
	v_cndmask_b32_e64 v7, v5, v7, s[0:1]
	v_cmp_le_f32_e64 s[0:1], s12, v8
	v_cndmask_b32_e32 v8, 0, v12, vcc
	s_add_i32 s4, s4, -2
	v_cndmask_b32_e64 v11, 0, v7, s[0:1]
	v_mul_f32_e32 v7, s15, v8
	v_add_u32_e32 v3, 0xfffffe00, v3
	s_cmp_le_i32 s9, s7
	v_fmac_f32_e32 v7, v10, v11
	s_waitcnt vmcnt(0)
	v_mul_f32_e32 v8, v4, v8
	v_fmac_f32_e32 v8, v9, v11
	s_cbranch_scc0 .LBB56_3
	s_branch .LBB56_5
.LBB56_4:
	s_waitcnt lgkmcnt(0)
	v_mov_b32_e32 v7, s10
.LBB56_5:
	s_waitcnt vmcnt(0)
	v_div_scale_f32 v0, s[0:1], v7, v7, v8
	v_div_scale_f32 v3, vcc, v8, v7, v8
	v_rcp_f32_e32 v4, v0
	v_fma_f32 v5, -v0, v4, 1.0
	v_fmac_f32_e32 v4, v5, v4
	v_mul_f32_e32 v5, v3, v4
	v_fma_f32 v6, -v0, v5, v3
	v_fmac_f32_e32 v5, v6, v4
	v_fma_f32 v0, -v0, v5, v3
	v_div_fmas_f32 v0, v0, v4, v5
	v_div_fixup_f32 v0, v0, v7, v8
	global_store_dword v[1:2], v0, off
.LBB56_6:
	s_endpgm
	.section	.rodata,"a",@progbits
	.p2align	6, 0x0
	.amdhsa_kernel _ZL33flash_attn_stream_k_fixup_uniformILi256ELi2ELi1EEvPfPK15HIP_vector_typeIfLj2EEiiiiiiS1_IjLj3EES5_S5_
		.amdhsa_group_segment_fixed_size 0
		.amdhsa_private_segment_fixed_size 0
		.amdhsa_kernarg_size 76
		.amdhsa_user_sgpr_count 6
		.amdhsa_user_sgpr_private_segment_buffer 1
		.amdhsa_user_sgpr_dispatch_ptr 0
		.amdhsa_user_sgpr_queue_ptr 0
		.amdhsa_user_sgpr_kernarg_segment_ptr 1
		.amdhsa_user_sgpr_dispatch_id 0
		.amdhsa_user_sgpr_flat_scratch_init 0
		.amdhsa_user_sgpr_private_segment_size 0
		.amdhsa_uses_dynamic_stack 0
		.amdhsa_system_sgpr_private_segment_wavefront_offset 0
		.amdhsa_system_sgpr_workgroup_id_x 1
		.amdhsa_system_sgpr_workgroup_id_y 1
		.amdhsa_system_sgpr_workgroup_id_z 1
		.amdhsa_system_sgpr_workgroup_info 0
		.amdhsa_system_vgpr_workitem_id 0
		.amdhsa_next_free_vgpr 17
		.amdhsa_next_free_sgpr 20
		.amdhsa_reserve_vcc 1
		.amdhsa_reserve_flat_scratch 0
		.amdhsa_float_round_mode_32 0
		.amdhsa_float_round_mode_16_64 0
		.amdhsa_float_denorm_mode_32 3
		.amdhsa_float_denorm_mode_16_64 3
		.amdhsa_dx10_clamp 1
		.amdhsa_ieee_mode 1
		.amdhsa_fp16_overflow 0
		.amdhsa_exception_fp_ieee_invalid_op 0
		.amdhsa_exception_fp_denorm_src 0
		.amdhsa_exception_fp_ieee_div_zero 0
		.amdhsa_exception_fp_ieee_overflow 0
		.amdhsa_exception_fp_ieee_underflow 0
		.amdhsa_exception_fp_ieee_inexact 0
		.amdhsa_exception_int_div_zero 0
	.end_amdhsa_kernel
	.section	.text._ZL33flash_attn_stream_k_fixup_uniformILi256ELi2ELi1EEvPfPK15HIP_vector_typeIfLj2EEiiiiiiS1_IjLj3EES5_S5_,"axG",@progbits,_ZL33flash_attn_stream_k_fixup_uniformILi256ELi2ELi1EEvPfPK15HIP_vector_typeIfLj2EEiiiiiiS1_IjLj3EES5_S5_,comdat
.Lfunc_end56:
	.size	_ZL33flash_attn_stream_k_fixup_uniformILi256ELi2ELi1EEvPfPK15HIP_vector_typeIfLj2EEiiiiiiS1_IjLj3EES5_S5_, .Lfunc_end56-_ZL33flash_attn_stream_k_fixup_uniformILi256ELi2ELi1EEvPfPK15HIP_vector_typeIfLj2EEiiiiiiS1_IjLj3EES5_S5_
                                        ; -- End function
	.set _ZL33flash_attn_stream_k_fixup_uniformILi256ELi2ELi1EEvPfPK15HIP_vector_typeIfLj2EEiiiiiiS1_IjLj3EES5_S5_.num_vgpr, 17
	.set _ZL33flash_attn_stream_k_fixup_uniformILi256ELi2ELi1EEvPfPK15HIP_vector_typeIfLj2EEiiiiiiS1_IjLj3EES5_S5_.num_agpr, 0
	.set _ZL33flash_attn_stream_k_fixup_uniformILi256ELi2ELi1EEvPfPK15HIP_vector_typeIfLj2EEiiiiiiS1_IjLj3EES5_S5_.numbered_sgpr, 20
	.set _ZL33flash_attn_stream_k_fixup_uniformILi256ELi2ELi1EEvPfPK15HIP_vector_typeIfLj2EEiiiiiiS1_IjLj3EES5_S5_.num_named_barrier, 0
	.set _ZL33flash_attn_stream_k_fixup_uniformILi256ELi2ELi1EEvPfPK15HIP_vector_typeIfLj2EEiiiiiiS1_IjLj3EES5_S5_.private_seg_size, 0
	.set _ZL33flash_attn_stream_k_fixup_uniformILi256ELi2ELi1EEvPfPK15HIP_vector_typeIfLj2EEiiiiiiS1_IjLj3EES5_S5_.uses_vcc, 1
	.set _ZL33flash_attn_stream_k_fixup_uniformILi256ELi2ELi1EEvPfPK15HIP_vector_typeIfLj2EEiiiiiiS1_IjLj3EES5_S5_.uses_flat_scratch, 0
	.set _ZL33flash_attn_stream_k_fixup_uniformILi256ELi2ELi1EEvPfPK15HIP_vector_typeIfLj2EEiiiiiiS1_IjLj3EES5_S5_.has_dyn_sized_stack, 0
	.set _ZL33flash_attn_stream_k_fixup_uniformILi256ELi2ELi1EEvPfPK15HIP_vector_typeIfLj2EEiiiiiiS1_IjLj3EES5_S5_.has_recursion, 0
	.set _ZL33flash_attn_stream_k_fixup_uniformILi256ELi2ELi1EEvPfPK15HIP_vector_typeIfLj2EEiiiiiiS1_IjLj3EES5_S5_.has_indirect_call, 0
	.section	.AMDGPU.csdata,"",@progbits
; Kernel info:
; codeLenInByte = 836
; TotalNumSgprs: 24
; NumVgprs: 17
; ScratchSize: 0
; MemoryBound: 0
; FloatMode: 240
; IeeeMode: 1
; LDSByteSize: 0 bytes/workgroup (compile time only)
; SGPRBlocks: 2
; VGPRBlocks: 4
; NumSGPRsForWavesPerEU: 24
; NumVGPRsForWavesPerEU: 17
; Occupancy: 10
; WaveLimiterHint : 0
; COMPUTE_PGM_RSRC2:SCRATCH_EN: 0
; COMPUTE_PGM_RSRC2:USER_SGPR: 6
; COMPUTE_PGM_RSRC2:TRAP_HANDLER: 0
; COMPUTE_PGM_RSRC2:TGID_X_EN: 1
; COMPUTE_PGM_RSRC2:TGID_Y_EN: 1
; COMPUTE_PGM_RSRC2:TGID_Z_EN: 1
; COMPUTE_PGM_RSRC2:TIDIG_COMP_CNT: 0
	.section	.text._ZL33flash_attn_stream_k_fixup_generalILi256ELi2ELi1EEvPfPK15HIP_vector_typeIfLj2EEiiiiS1_IjLj3EES5_S5_S5_,"axG",@progbits,_ZL33flash_attn_stream_k_fixup_generalILi256ELi2ELi1EEvPfPK15HIP_vector_typeIfLj2EEiiiiS1_IjLj3EES5_S5_S5_,comdat
	.globl	_ZL33flash_attn_stream_k_fixup_generalILi256ELi2ELi1EEvPfPK15HIP_vector_typeIfLj2EEiiiiS1_IjLj3EES5_S5_S5_ ; -- Begin function _ZL33flash_attn_stream_k_fixup_generalILi256ELi2ELi1EEvPfPK15HIP_vector_typeIfLj2EEiiiiS1_IjLj3EES5_S5_S5_
	.p2align	8
	.type	_ZL33flash_attn_stream_k_fixup_generalILi256ELi2ELi1EEvPfPK15HIP_vector_typeIfLj2EEiiiiS1_IjLj3EES5_S5_S5_,@function
_ZL33flash_attn_stream_k_fixup_generalILi256ELi2ELi1EEvPfPK15HIP_vector_typeIfLj2EEiiiiS1_IjLj3EES5_S5_S5_: ; @_ZL33flash_attn_stream_k_fixup_generalILi256ELi2ELi1EEvPfPK15HIP_vector_typeIfLj2EEiiiiS1_IjLj3EES5_S5_S5_
; %bb.0:
	s_load_dwordx4 s[0:3], s[4:5], 0x10
	s_load_dword s22, s[4:5], 0x50
	s_mov_b32 s12, 0
	s_waitcnt lgkmcnt(0)
	s_mul_hi_i32 s13, s3, s6
	s_cmp_lg_u64 s[12:13], 0
	s_mul_i32 s9, s3, s6
	s_cbranch_scc0 .LBB57_20
; %bb.1:
	s_add_u32 s10, s22, 0
	s_addc_u32 s11, 0, 0
	s_xor_b64 s[10:11], s[10:11], 0
	v_cvt_f32_u32_e32 v1, s10
	v_cvt_f32_u32_e32 v2, s11
	s_sub_u32 s12, 0, s10
	s_subb_u32 s18, 0, s11
	v_madmk_f32 v1, v2, 0x4f800000, v1
	v_rcp_f32_e32 v1, v1
	v_mul_f32_e32 v1, 0x5f7ffffc, v1
	v_mul_f32_e32 v2, 0x2f800000, v1
	v_trunc_f32_e32 v2, v2
	v_madmk_f32 v1, v2, 0xcf800000, v1
	v_cvt_u32_f32_e32 v2, v2
	v_cvt_u32_f32_e32 v1, v1
	v_readfirstlane_b32 s19, v2
	v_readfirstlane_b32 s14, v1
	s_mul_i32 s15, s12, s19
	s_mul_hi_u32 s21, s12, s14
	s_mul_i32 s20, s18, s14
	s_add_i32 s15, s21, s15
	s_add_i32 s15, s15, s20
	s_mul_i32 s23, s12, s14
	s_mul_i32 s21, s14, s15
	s_mul_hi_u32 s24, s14, s23
	s_mul_hi_u32 s20, s14, s15
	s_add_u32 s21, s24, s21
	s_addc_u32 s20, 0, s20
	s_mul_hi_u32 s25, s19, s23
	s_mul_i32 s23, s19, s23
	s_add_u32 s21, s21, s23
	s_mul_hi_u32 s24, s19, s15
	s_addc_u32 s20, s20, s25
	s_addc_u32 s21, s24, 0
	s_mul_i32 s15, s19, s15
	s_add_u32 s15, s20, s15
	s_addc_u32 s20, 0, s21
	s_add_u32 s21, s14, s15
	s_cselect_b64 s[14:15], -1, 0
	s_cmp_lg_u64 s[14:15], 0
	s_addc_u32 s19, s19, s20
	s_mul_i32 s14, s12, s19
	s_mul_hi_u32 s15, s12, s21
	s_add_i32 s14, s15, s14
	s_mul_i32 s18, s18, s21
	s_add_i32 s14, s14, s18
	s_mul_i32 s12, s12, s21
	s_mul_hi_u32 s18, s19, s12
	s_mul_i32 s20, s19, s12
	s_mul_i32 s24, s21, s14
	s_mul_hi_u32 s12, s21, s12
	s_mul_hi_u32 s23, s21, s14
	s_add_u32 s12, s12, s24
	s_addc_u32 s23, 0, s23
	s_add_u32 s12, s12, s20
	s_mul_hi_u32 s15, s19, s14
	s_addc_u32 s12, s23, s18
	s_addc_u32 s15, s15, 0
	s_mul_i32 s14, s19, s14
	s_add_u32 s12, s12, s14
	s_addc_u32 s18, 0, s15
	s_add_u32 s20, s21, s12
	s_cselect_b64 s[14:15], -1, 0
	s_cmp_lg_u64 s[14:15], 0
	s_addc_u32 s18, s19, s18
	s_ashr_i32 s14, s13, 31
	s_add_u32 s12, s9, s14
	s_mov_b32 s15, s14
	s_addc_u32 s13, s13, s14
	s_xor_b64 s[12:13], s[12:13], s[14:15]
	s_mul_i32 s21, s12, s18
	s_mul_hi_u32 s23, s12, s20
	s_mul_hi_u32 s19, s12, s18
	s_add_u32 s21, s23, s21
	s_addc_u32 s19, 0, s19
	s_mul_hi_u32 s24, s13, s20
	s_mul_i32 s20, s13, s20
	s_add_u32 s20, s21, s20
	s_mul_hi_u32 s23, s13, s18
	s_addc_u32 s19, s19, s24
	s_addc_u32 s20, s23, 0
	s_mul_i32 s18, s13, s18
	s_add_u32 s23, s19, s18
	s_addc_u32 s24, 0, s20
	s_mul_i32 s18, s10, s24
	s_mul_hi_u32 s19, s10, s23
	s_add_i32 s18, s19, s18
	s_mul_i32 s19, s11, s23
	s_add_i32 s25, s18, s19
	s_sub_i32 s20, s13, s25
	s_mul_i32 s18, s10, s23
	s_sub_u32 s12, s12, s18
	s_cselect_b64 s[18:19], -1, 0
	s_cmp_lg_u64 s[18:19], 0
	s_subb_u32 s26, s20, s11
	s_sub_u32 s27, s12, s10
	s_cselect_b64 s[20:21], -1, 0
	s_cmp_lg_u64 s[20:21], 0
	s_subb_u32 s20, s26, 0
	s_cmp_ge_u32 s20, s11
	s_cselect_b32 s21, -1, 0
	s_cmp_ge_u32 s27, s10
	s_cselect_b32 s26, -1, 0
	s_cmp_eq_u32 s20, s11
	s_cselect_b32 s20, s26, s21
	s_add_u32 s21, s23, 1
	s_addc_u32 s26, s24, 0
	s_add_u32 s27, s23, 2
	s_addc_u32 s28, s24, 0
	s_cmp_lg_u32 s20, 0
	s_cselect_b32 s20, s27, s21
	s_cselect_b32 s21, s28, s26
	s_cmp_lg_u64 s[18:19], 0
	s_subb_u32 s13, s13, s25
	s_cmp_ge_u32 s13, s11
	s_cselect_b32 s18, -1, 0
	s_cmp_ge_u32 s12, s10
	s_cselect_b32 s10, -1, 0
	s_cmp_eq_u32 s13, s11
	s_cselect_b32 s10, s10, s18
	s_cmp_lg_u32 s10, 0
	s_cselect_b32 s11, s21, s24
	s_cselect_b32 s10, s20, s23
	s_xor_b64 s[12:13], s[14:15], 0
	s_xor_b64 s[10:11], s[10:11], s[12:13]
	s_sub_u32 s10, s10, s12
	s_load_dwordx4 s[12:15], s[4:5], 0x44
	s_cbranch_execnz .LBB57_3
.LBB57_2:
	v_cvt_f32_u32_e32 v1, s22
	s_sub_i32 s10, 0, s22
	v_rcp_iflag_f32_e32 v1, v1
	v_mul_f32_e32 v1, 0x4f7ffffe, v1
	v_cvt_u32_f32_e32 v1, v1
	v_readfirstlane_b32 s11, v1
	s_mul_i32 s10, s10, s11
	s_mul_hi_u32 s10, s11, s10
	s_add_i32 s11, s11, s10
	s_mul_hi_u32 s10, s9, s11
	s_waitcnt lgkmcnt(0)
	s_mul_i32 s15, s10, s22
	s_sub_i32 s9, s9, s15
	s_add_i32 s11, s10, 1
	s_sub_i32 s15, s9, s22
	s_cmp_ge_u32 s9, s22
	s_cselect_b32 s10, s11, s10
	s_cselect_b32 s9, s15, s9
	s_add_i32 s11, s10, 1
	s_cmp_ge_u32 s9, s22
	s_cselect_b32 s10, s11, s10
.LBB57_3:
	s_add_i32 s9, s6, 1
	s_mul_hi_i32 s21, s3, s9
	s_mov_b32 s20, 0
	s_cmp_lg_u64 s[20:21], 0
	s_mul_i32 s9, s3, s9
	s_cbranch_scc0 .LBB57_21
; %bb.4:
	s_add_u32 s16, s22, 0
	s_addc_u32 s17, 0, 0
	s_xor_b64 s[18:19], s[16:17], 0
	v_cvt_f32_u32_e32 v1, s18
	v_cvt_f32_u32_e32 v2, s19
	s_sub_u32 s11, 0, s18
	s_waitcnt lgkmcnt(0)
	s_subb_u32 s15, 0, s19
	v_madmk_f32 v1, v2, 0x4f800000, v1
	v_rcp_f32_e32 v1, v1
	v_mul_f32_e32 v1, 0x5f7ffffc, v1
	v_mul_f32_e32 v2, 0x2f800000, v1
	v_trunc_f32_e32 v2, v2
	v_madmk_f32 v1, v2, 0xcf800000, v1
	v_cvt_u32_f32_e32 v2, v2
	v_cvt_u32_f32_e32 v1, v1
	v_readfirstlane_b32 s20, v2
	v_readfirstlane_b32 s23, v1
	s_mul_i32 s24, s11, s20
	s_mul_hi_u32 s26, s11, s23
	s_mul_i32 s25, s15, s23
	s_add_i32 s24, s26, s24
	s_add_i32 s24, s24, s25
	s_mul_i32 s27, s11, s23
	s_mul_i32 s26, s23, s24
	s_mul_hi_u32 s28, s23, s27
	s_mul_hi_u32 s25, s23, s24
	s_add_u32 s26, s28, s26
	s_addc_u32 s25, 0, s25
	s_mul_hi_u32 s29, s20, s27
	s_mul_i32 s27, s20, s27
	s_add_u32 s26, s26, s27
	s_mul_hi_u32 s28, s20, s24
	s_addc_u32 s25, s25, s29
	s_addc_u32 s26, s28, 0
	s_mul_i32 s24, s20, s24
	s_add_u32 s24, s25, s24
	s_addc_u32 s26, 0, s26
	s_add_u32 s23, s23, s24
	s_cselect_b64 s[24:25], -1, 0
	s_cmp_lg_u64 s[24:25], 0
	s_addc_u32 s20, s20, s26
	s_mul_i32 s24, s11, s20
	s_mul_hi_u32 s25, s11, s23
	s_add_i32 s24, s25, s24
	s_mul_i32 s15, s15, s23
	s_add_i32 s24, s24, s15
	s_mul_i32 s11, s11, s23
	s_mul_hi_u32 s25, s20, s11
	s_mul_i32 s26, s20, s11
	s_mul_i32 s28, s23, s24
	s_mul_hi_u32 s11, s23, s11
	s_mul_hi_u32 s27, s23, s24
	s_add_u32 s11, s11, s28
	s_addc_u32 s27, 0, s27
	s_add_u32 s11, s11, s26
	s_mul_hi_u32 s15, s20, s24
	s_addc_u32 s11, s27, s25
	s_addc_u32 s15, s15, 0
	s_mul_i32 s24, s20, s24
	s_add_u32 s11, s11, s24
	s_addc_u32 s15, 0, s15
	s_add_u32 s11, s23, s11
	s_cselect_b64 s[24:25], -1, 0
	s_cmp_lg_u64 s[24:25], 0
	s_addc_u32 s15, s20, s15
	s_ashr_i32 s24, s21, 31
	s_add_u32 s20, s9, s24
	s_mov_b32 s25, s24
	s_addc_u32 s21, s21, s24
	s_xor_b64 s[20:21], s[20:21], s[24:25]
	s_mul_i32 s26, s20, s15
	s_mul_hi_u32 s27, s20, s11
	s_mul_hi_u32 s23, s20, s15
	s_add_u32 s26, s27, s26
	s_addc_u32 s23, 0, s23
	s_mul_hi_u32 s28, s21, s11
	s_mul_i32 s11, s21, s11
	s_add_u32 s11, s26, s11
	s_mul_hi_u32 s27, s21, s15
	s_addc_u32 s11, s23, s28
	s_addc_u32 s23, s27, 0
	s_mul_i32 s15, s21, s15
	s_add_u32 s11, s11, s15
	s_addc_u32 s15, 0, s23
	s_mul_i32 s23, s18, s15
	s_mul_hi_u32 s26, s18, s11
	s_add_i32 s23, s26, s23
	s_mul_i32 s26, s19, s11
	s_add_i32 s23, s23, s26
	s_sub_i32 s28, s21, s23
	s_mul_i32 s26, s18, s11
	s_sub_u32 s20, s20, s26
	s_cselect_b64 s[26:27], -1, 0
	s_cmp_lg_u64 s[26:27], 0
	s_subb_u32 s30, s28, s19
	s_sub_u32 s31, s20, s18
	s_cselect_b64 s[28:29], -1, 0
	s_cmp_lg_u64 s[28:29], 0
	s_subb_u32 s28, s30, 0
	s_cmp_ge_u32 s28, s19
	s_cselect_b32 s29, -1, 0
	s_cmp_ge_u32 s31, s18
	s_cselect_b32 s30, -1, 0
	s_cmp_eq_u32 s28, s19
	s_cselect_b32 s28, s30, s29
	s_add_u32 s29, s11, 1
	s_addc_u32 s30, s15, 0
	s_add_u32 s31, s11, 2
	s_addc_u32 s33, s15, 0
	s_cmp_lg_u32 s28, 0
	s_cselect_b32 s28, s31, s29
	s_cselect_b32 s29, s33, s30
	s_cmp_lg_u64 s[26:27], 0
	s_subb_u32 s21, s21, s23
	s_cmp_ge_u32 s21, s19
	s_cselect_b32 s23, -1, 0
	s_cmp_ge_u32 s20, s18
	s_cselect_b32 s18, -1, 0
	s_cmp_eq_u32 s21, s19
	s_cselect_b32 s18, s18, s23
	s_cmp_lg_u32 s18, 0
	s_cselect_b32 s19, s29, s15
	s_cselect_b32 s18, s28, s11
	s_xor_b64 s[20:21], s[24:25], 0
	s_xor_b64 s[18:19], s[18:19], s[20:21]
	s_sub_u32 s18, s18, s20
	s_cbranch_execnz .LBB57_6
.LBB57_5:
	v_cvt_f32_u32_e32 v1, s22
	s_sub_i32 s11, 0, s22
	v_rcp_iflag_f32_e32 v1, v1
	v_mul_f32_e32 v1, 0x4f7ffffe, v1
	v_cvt_u32_f32_e32 v1, v1
	s_waitcnt lgkmcnt(0)
	v_readfirstlane_b32 s15, v1
	s_mul_i32 s11, s11, s15
	s_mul_hi_u32 s11, s15, s11
	s_add_i32 s15, s15, s11
	s_mul_hi_u32 s11, s9, s15
	s_mul_i32 s16, s11, s22
	s_sub_i32 s9, s9, s16
	s_add_i32 s15, s11, 1
	s_sub_i32 s16, s9, s22
	s_cmp_ge_u32 s9, s22
	s_cselect_b32 s11, s15, s11
	s_cselect_b32 s9, s16, s9
	s_add_i32 s15, s11, 1
	s_cmp_ge_u32 s9, s22
	s_cselect_b32 s18, s15, s11
.LBB57_6:
	s_cmp_eq_u32 s10, s18
	s_waitcnt lgkmcnt(0)
	s_mul_hi_u32 s9, s10, s12
	s_cselect_b64 s[16:17], -1, 0
	s_add_i32 s9, s9, s10
	s_lshr_b32 s11, s9, s13
	s_mul_i32 s9, s11, s14
	s_cmp_eq_u32 s9, s10
	s_mul_hi_u32 s9, s18, s12
	s_cselect_b64 s[20:21], -1, 0
	s_add_i32 s9, s9, s18
	s_lshr_b32 s9, s9, s13
	s_cmp_eq_u32 s11, s9
	s_mul_i32 s9, s9, s14
	s_cselect_b64 s[24:25], -1, 0
	s_cmp_lg_u32 s9, s18
	s_cselect_b64 s[18:19], -1, 0
	s_and_b64 s[18:19], s[24:25], s[18:19]
	s_or_b64 s[16:17], s[16:17], s[20:21]
	s_or_b64 s[16:17], s[16:17], s[18:19]
	s_and_b64 vcc, exec, s[16:17]
	s_cbranch_vccnz .LBB57_23
; %bb.7:
	s_load_dwordx8 s[24:31], s[4:5], 0x20
	s_load_dword s15, s[4:5], 0x40
	s_waitcnt lgkmcnt(0)
	s_mul_hi_u32 s9, s10, s24
	s_add_i32 s9, s9, s10
	s_lshr_b32 s9, s9, s25
	s_mul_i32 s16, s9, s26
	s_sub_i32 s16, s10, s16
	s_mul_hi_u32 s17, s16, s27
	s_add_i32 s17, s16, s17
	s_lshr_b32 s24, s17, s28
	s_mul_i32 s17, s24, s29
	s_sub_i32 s16, s16, s17
	;; [unrolled: 5-line block ×3, first 2 shown]
	s_mul_hi_u32 s16, s15, s12
	s_add_i32 s15, s15, s16
	s_lshr_b32 s25, s15, s13
	s_lshl_b32 s15, s25, 1
	s_add_i32 s15, s15, s7
	s_cmp_lt_i32 s15, s0
	s_cselect_b64 s[16:17], -1, 0
	s_add_i32 s15, s23, s8
	s_cmp_lt_i32 s15, s2
	s_cselect_b64 s[18:19], -1, 0
	s_and_b64 s[16:17], s[16:17], s[18:19]
	s_andn2_b64 vcc, exec, s[16:17]
	s_cbranch_vccnz .LBB57_23
; %bb.8:
	s_load_dwordx4 s[16:19], s[4:5], 0x0
	s_mov_b32 s4, 0
	s_lshl_b32 s20, s22, 3
	s_mov_b32 s21, s4
	s_add_i32 s15, s7, s8
	s_lshl_b64 s[20:21], s[20:21], 2
	s_waitcnt lgkmcnt(0)
	s_add_u32 s20, s18, s20
	s_mul_i32 s0, s9, s0
	s_addc_u32 s21, s19, s21
	s_add_i32 s0, s0, s7
	s_mul_i32 s0, s0, s1
	s_mul_i32 s24, s24, s2
	s_add_i32 s0, s0, s8
	s_add_i32 s0, s0, s24
	s_mul_i32 s2, s1, s25
	s_add_i32 s0, s0, s23
	s_lshl_b32 s2, s2, 9
	s_lshl_b32 s0, s0, 8
	s_add_i32 s2, s2, s0
	v_or_b32_e32 v1, s2, v0
	v_ashrrev_i32_e32 v2, 31, v1
	v_lshlrev_b64 v[1:2], 2, v[1:2]
	v_mov_b32_e32 v3, s17
	v_add_co_u32_e32 v1, vcc, s16, v1
	v_addc_co_u32_e32 v2, vcc, v3, v2, vcc
	global_load_dword v3, v[1:2], off
	v_cvt_f32_u32_e32 v4, s22
	s_lshl_b32 s0, s6, 1
	s_add_i32 s0, s0, s15
	s_ashr_i32 s1, s0, 31
	s_lshl_b64 s[0:1], s[0:1], 3
	v_rcp_iflag_f32_e32 v4, v4
	s_add_u32 s0, s18, s0
	s_addc_u32 s1, s19, s1
	s_load_dwordx2 s[0:1], s[0:1], 0x0
	v_mul_f32_e32 v4, 0x4f7ffffe, v4
	v_cvt_u32_f32_e32 v4, v4
	s_add_i32 s24, s6, -1
	v_lshl_or_b32 v0, s15, 8, v0
	s_waitcnt lgkmcnt(0)
	v_mov_b32_e32 v6, s1
	v_mov_b32_e32 v7, s0
	s_mov_b32 s2, 0x3fb8aa3b
	s_mov_b32 s16, 0xc2ce8ed0
	;; [unrolled: 1-line block ×4, first 2 shown]
	v_mov_b32_e32 v5, 0x7f800000
	s_mul_hi_i32 s5, s24, s3
	s_cmp_lg_u64 s[4:5], 0
	s_mul_i32 s8, s24, s3
	s_cbranch_scc0 .LBB57_19
.LBB57_9:
	s_add_u32 s0, s22, 0
	s_addc_u32 s1, 0, 0
	s_xor_b64 s[0:1], s[0:1], 0
	v_cvt_f32_u32_e32 v8, s0
	v_cvt_f32_u32_e32 v9, s1
	s_sub_u32 s9, 0, s0
	s_subb_u32 s25, 0, s1
	v_mac_f32_e32 v8, 0x4f800000, v9
	v_rcp_f32_e32 v8, v8
	v_mul_f32_e32 v8, 0x5f7ffffc, v8
	v_mul_f32_e32 v9, 0x2f800000, v8
	v_trunc_f32_e32 v9, v9
	v_mac_f32_e32 v8, 0xcf800000, v9
	v_cvt_u32_f32_e32 v9, v9
	v_cvt_u32_f32_e32 v8, v8
	v_readfirstlane_b32 s26, v9
	v_readfirstlane_b32 s6, v8
	s_mul_i32 s7, s9, s26
	s_mul_hi_u32 s28, s9, s6
	s_mul_i32 s27, s25, s6
	s_add_i32 s7, s28, s7
	s_mul_i32 s29, s9, s6
	s_add_i32 s7, s7, s27
	s_mul_i32 s28, s6, s7
	s_mul_hi_u32 s30, s6, s29
	s_mul_hi_u32 s27, s6, s7
	s_add_u32 s28, s30, s28
	s_addc_u32 s27, 0, s27
	s_mul_hi_u32 s31, s26, s29
	s_mul_i32 s29, s26, s29
	s_add_u32 s28, s28, s29
	s_mul_hi_u32 s30, s26, s7
	s_addc_u32 s27, s27, s31
	s_addc_u32 s28, s30, 0
	s_mul_i32 s7, s26, s7
	s_add_u32 s7, s27, s7
	s_addc_u32 s27, 0, s28
	s_add_u32 s28, s6, s7
	s_cselect_b64 s[6:7], -1, 0
	s_cmp_lg_u64 s[6:7], 0
	s_addc_u32 s26, s26, s27
	s_mul_i32 s6, s9, s26
	s_mul_hi_u32 s7, s9, s28
	s_add_i32 s6, s7, s6
	s_mul_i32 s25, s25, s28
	s_add_i32 s6, s6, s25
	s_mul_i32 s9, s9, s28
	s_mul_hi_u32 s25, s26, s9
	s_mul_i32 s27, s26, s9
	s_mul_i32 s30, s28, s6
	s_mul_hi_u32 s9, s28, s9
	s_mul_hi_u32 s29, s28, s6
	s_add_u32 s9, s9, s30
	s_addc_u32 s29, 0, s29
	s_add_u32 s9, s9, s27
	s_mul_hi_u32 s7, s26, s6
	s_addc_u32 s9, s29, s25
	s_addc_u32 s7, s7, 0
	s_mul_i32 s6, s26, s6
	s_add_u32 s6, s9, s6
	s_addc_u32 s9, 0, s7
	s_add_u32 s25, s28, s6
	s_cselect_b64 s[6:7], -1, 0
	s_cmp_lg_u64 s[6:7], 0
	s_addc_u32 s9, s26, s9
	s_ashr_i32 s6, s5, 31
	s_add_u32 s26, s8, s6
	s_mov_b32 s7, s6
	s_addc_u32 s27, s5, s6
	s_xor_b64 s[26:27], s[26:27], s[6:7]
	s_mul_i32 s28, s26, s9
	s_mul_hi_u32 s29, s26, s25
	s_mul_hi_u32 s5, s26, s9
	s_add_u32 s28, s29, s28
	s_addc_u32 s5, 0, s5
	s_mul_hi_u32 s30, s27, s25
	s_mul_i32 s25, s27, s25
	s_add_u32 s25, s28, s25
	s_mul_hi_u32 s29, s27, s9
	s_addc_u32 s5, s5, s30
	s_addc_u32 s25, s29, 0
	s_mul_i32 s9, s27, s9
	s_add_u32 s5, s5, s9
	s_addc_u32 s9, 0, s25
	s_mul_i32 s25, s0, s9
	s_mul_hi_u32 s28, s0, s5
	s_add_i32 s25, s28, s25
	s_mul_i32 s28, s1, s5
	s_add_i32 s25, s25, s28
	s_sub_i32 s30, s27, s25
	s_mul_i32 s28, s0, s5
	s_sub_u32 s26, s26, s28
	s_cselect_b64 s[28:29], -1, 0
	s_cmp_lg_u64 s[28:29], 0
	s_subb_u32 s33, s30, s1
	s_sub_u32 s34, s26, s0
	s_cselect_b64 s[30:31], -1, 0
	s_cmp_lg_u64 s[30:31], 0
	s_subb_u32 s30, s33, 0
	s_cmp_ge_u32 s30, s1
	s_cselect_b32 s31, -1, 0
	s_cmp_ge_u32 s34, s0
	s_cselect_b32 s33, -1, 0
	s_cmp_eq_u32 s30, s1
	s_cselect_b32 s30, s33, s31
	s_add_u32 s31, s5, 1
	s_addc_u32 s33, s9, 0
	s_add_u32 s34, s5, 2
	s_addc_u32 s35, s9, 0
	s_cmp_lg_u32 s30, 0
	s_cselect_b32 s30, s34, s31
	s_cselect_b32 s31, s35, s33
	s_cmp_lg_u64 s[28:29], 0
	s_subb_u32 s25, s27, s25
	s_cmp_ge_u32 s25, s1
	s_cselect_b32 s27, -1, 0
	s_cmp_ge_u32 s26, s0
	s_cselect_b32 s0, -1, 0
	s_cmp_eq_u32 s25, s1
	s_cselect_b32 s0, s0, s27
	s_cmp_lg_u32 s0, 0
	s_cselect_b32 s1, s31, s9
	s_cselect_b32 s0, s30, s5
	s_xor_b64 s[6:7], s[6:7], 0
	s_xor_b64 s[0:1], s[0:1], s[6:7]
	s_sub_u32 s6, s0, s6
	s_cbranch_execnz .LBB57_11
.LBB57_10:
	s_sub_i32 s0, 0, s22
	v_readfirstlane_b32 s1, v4
	s_mul_i32 s0, s0, s1
	s_mul_hi_u32 s0, s1, s0
	s_add_i32 s1, s1, s0
	s_mul_hi_u32 s0, s8, s1
	s_mul_i32 s5, s0, s22
	s_sub_i32 s5, s8, s5
	s_add_i32 s1, s0, 1
	s_sub_i32 s6, s5, s22
	s_cmp_ge_u32 s5, s22
	s_cselect_b32 s0, s1, s0
	s_cselect_b32 s5, s6, s5
	s_add_i32 s1, s0, 1
	s_cmp_ge_u32 s5, s22
	s_cselect_b32 s6, s1, s0
.LBB57_11:
	s_cmp_lg_u32 s10, s6
	s_mov_b64 s[8:9], -1
                                        ; implicit-def: $sgpr0_sgpr1
                                        ; implicit-def: $vgpr10
                                        ; implicit-def: $vgpr8
                                        ; implicit-def: $vgpr9
                                        ; implicit-def: $sgpr5
                                        ; implicit-def: $sgpr7
	s_cbranch_scc1 .LBB57_14
; %bb.12:
	s_andn2_b64 vcc, exec, s[8:9]
	s_cbranch_vccz .LBB57_17
.LBB57_13:
	s_andn2_b64 vcc, exec, s[0:1]
	s_cbranch_vccnz .LBB57_18
	s_branch .LBB57_22
.LBB57_14:
	s_add_i32 s0, s24, s22
	s_lshl_b32 s0, s0, 1
	s_add_i32 s0, s0, s15
	s_mov_b32 s1, s4
	s_lshl_b64 s[0:1], s[0:1], 3
	s_add_u32 s8, s18, s0
	s_mul_hi_u32 s0, s6, s12
	s_addc_u32 s9, s19, s1
	s_add_i32 s0, s0, s6
	s_lshr_b32 s5, s0, s13
	s_mul_i32 s0, s5, s14
	s_cmp_eq_u32 s0, s6
	s_cselect_b64 s[0:1], -1, 0
	s_cmp_lt_u32 s5, s11
	s_cselect_b64 s[26:27], -1, 0
	s_or_b64 s[26:27], s[26:27], s[0:1]
	s_mov_b64 s[0:1], -1
	s_and_b64 vcc, exec, s[26:27]
	s_mov_b32 s5, s24
	s_mov_b32 s7, s10
	s_cbranch_vccnz .LBB57_16
; %bb.15:
	s_add_i32 s5, s24, -1
	s_mov_b64 s[0:1], 0
	s_mov_b32 s7, s6
.LBB57_16:
	v_lshl_add_u32 v8, s24, 9, v0
	v_ashrrev_i32_e32 v9, 31, v8
	v_lshlrev_b64 v[8:9], 2, v[8:9]
	v_mov_b32_e32 v10, s21
	v_add_co_u32_e32 v8, vcc, s20, v8
	v_addc_co_u32_e32 v9, vcc, v10, v9, vcc
	global_load_dword v10, v[8:9], off
	s_load_dwordx2 s[8:9], s[8:9], 0x0
	v_max_f32_e32 v8, v7, v7
	s_waitcnt lgkmcnt(0)
	v_max_f32_e64 v9, s8, s8
	v_max_f32_e32 v8, v8, v9
	v_sub_f32_e32 v9, v7, v8
	v_sub_f32_e32 v11, s8, v8
	v_mul_f32_e32 v12, 0x3fb8aa3b, v9
	v_mul_f32_e32 v13, 0x3fb8aa3b, v11
	v_fma_f32 v14, v9, s2, -v12
	v_rndne_f32_e32 v15, v12
	v_fma_f32 v16, v11, s2, -v13
	v_rndne_f32_e32 v17, v13
	v_fmac_f32_e32 v14, 0x32a5705f, v9
	v_sub_f32_e32 v12, v12, v15
	v_fmac_f32_e32 v16, 0x32a5705f, v11
	v_sub_f32_e32 v13, v13, v17
	v_add_f32_e32 v12, v12, v14
	v_cvt_i32_f32_e32 v15, v15
	v_add_f32_e32 v13, v13, v16
	v_exp_f32_e32 v12, v12
	v_cvt_i32_f32_e32 v17, v17
	v_exp_f32_e32 v13, v13
	v_cmp_ngt_f32_e32 vcc, s16, v9
	v_ldexp_f32 v12, v12, v15
	v_cndmask_b32_e32 v12, 0, v12, vcc
	v_ldexp_f32 v13, v13, v17
	v_cmp_ngt_f32_e32 vcc, s16, v11
	v_cndmask_b32_e32 v13, 0, v13, vcc
	v_cmp_nlt_f32_e32 vcc, s17, v9
	v_cndmask_b32_e32 v12, v5, v12, vcc
	v_cmp_nlt_f32_e32 vcc, s17, v11
	v_cndmask_b32_e32 v13, v5, v13, vcc
	v_cmp_le_f32_e32 vcc, s23, v9
	v_cndmask_b32_e32 v12, 0, v12, vcc
	v_cmp_le_f32_e32 vcc, s23, v11
	v_cndmask_b32_e32 v11, 0, v13, vcc
	v_mul_f32_e32 v9, s9, v11
	v_fmac_f32_e32 v9, v6, v12
	s_waitcnt vmcnt(0)
	v_mul_f32_e32 v10, v10, v11
	v_fmac_f32_e32 v10, v3, v12
	s_cbranch_execnz .LBB57_13
.LBB57_17:
	s_add_i32 s5, s24, -1
	s_mov_b32 s7, s10
	v_mov_b32_e32 v9, v6
	v_mov_b32_e32 v8, v7
	s_waitcnt vmcnt(0)
	v_mov_b32_e32 v10, v3
	s_cbranch_execz .LBB57_22
.LBB57_18:
	s_mov_b32 s10, s7
	s_mov_b32 s24, s5
	v_mov_b32_e32 v6, v9
	v_mov_b32_e32 v7, v8
	s_waitcnt vmcnt(0)
	v_mov_b32_e32 v3, v10
	s_mul_hi_i32 s5, s24, s3
	s_cmp_lg_u64 s[4:5], 0
	s_mul_i32 s8, s24, s3
	s_cbranch_scc1 .LBB57_9
.LBB57_19:
                                        ; implicit-def: $sgpr6_sgpr7
	s_branch .LBB57_10
.LBB57_20:
                                        ; implicit-def: $sgpr10_sgpr11
	s_load_dwordx4 s[12:15], s[4:5], 0x44
	s_branch .LBB57_2
.LBB57_21:
                                        ; implicit-def: $sgpr18_sgpr19
	s_branch .LBB57_5
.LBB57_22:
	v_div_scale_f32 v0, s[0:1], v9, v9, v10
	s_waitcnt vmcnt(0)
	v_div_scale_f32 v3, vcc, v10, v9, v10
	v_rcp_f32_e32 v4, v0
	v_fma_f32 v5, -v0, v4, 1.0
	v_fmac_f32_e32 v4, v5, v4
	v_mul_f32_e32 v5, v3, v4
	v_fma_f32 v6, -v0, v5, v3
	v_fmac_f32_e32 v5, v6, v4
	v_fma_f32 v0, -v0, v5, v3
	v_div_fmas_f32 v0, v0, v4, v5
	v_div_fixup_f32 v0, v0, v9, v10
	global_store_dword v[1:2], v0, off
.LBB57_23:
	s_endpgm
	.section	.rodata,"a",@progbits
	.p2align	6, 0x0
	.amdhsa_kernel _ZL33flash_attn_stream_k_fixup_generalILi256ELi2ELi1EEvPfPK15HIP_vector_typeIfLj2EEiiiiS1_IjLj3EES5_S5_S5_
		.amdhsa_group_segment_fixed_size 0
		.amdhsa_private_segment_fixed_size 0
		.amdhsa_kernarg_size 336
		.amdhsa_user_sgpr_count 6
		.amdhsa_user_sgpr_private_segment_buffer 1
		.amdhsa_user_sgpr_dispatch_ptr 0
		.amdhsa_user_sgpr_queue_ptr 0
		.amdhsa_user_sgpr_kernarg_segment_ptr 1
		.amdhsa_user_sgpr_dispatch_id 0
		.amdhsa_user_sgpr_flat_scratch_init 0
		.amdhsa_user_sgpr_private_segment_size 0
		.amdhsa_uses_dynamic_stack 0
		.amdhsa_system_sgpr_private_segment_wavefront_offset 0
		.amdhsa_system_sgpr_workgroup_id_x 1
		.amdhsa_system_sgpr_workgroup_id_y 1
		.amdhsa_system_sgpr_workgroup_id_z 1
		.amdhsa_system_sgpr_workgroup_info 0
		.amdhsa_system_vgpr_workitem_id 0
		.amdhsa_next_free_vgpr 18
		.amdhsa_next_free_sgpr 36
		.amdhsa_reserve_vcc 1
		.amdhsa_reserve_flat_scratch 0
		.amdhsa_float_round_mode_32 0
		.amdhsa_float_round_mode_16_64 0
		.amdhsa_float_denorm_mode_32 3
		.amdhsa_float_denorm_mode_16_64 3
		.amdhsa_dx10_clamp 1
		.amdhsa_ieee_mode 1
		.amdhsa_fp16_overflow 0
		.amdhsa_exception_fp_ieee_invalid_op 0
		.amdhsa_exception_fp_denorm_src 0
		.amdhsa_exception_fp_ieee_div_zero 0
		.amdhsa_exception_fp_ieee_overflow 0
		.amdhsa_exception_fp_ieee_underflow 0
		.amdhsa_exception_fp_ieee_inexact 0
		.amdhsa_exception_int_div_zero 0
	.end_amdhsa_kernel
	.section	.text._ZL33flash_attn_stream_k_fixup_generalILi256ELi2ELi1EEvPfPK15HIP_vector_typeIfLj2EEiiiiS1_IjLj3EES5_S5_S5_,"axG",@progbits,_ZL33flash_attn_stream_k_fixup_generalILi256ELi2ELi1EEvPfPK15HIP_vector_typeIfLj2EEiiiiS1_IjLj3EES5_S5_S5_,comdat
.Lfunc_end57:
	.size	_ZL33flash_attn_stream_k_fixup_generalILi256ELi2ELi1EEvPfPK15HIP_vector_typeIfLj2EEiiiiS1_IjLj3EES5_S5_S5_, .Lfunc_end57-_ZL33flash_attn_stream_k_fixup_generalILi256ELi2ELi1EEvPfPK15HIP_vector_typeIfLj2EEiiiiS1_IjLj3EES5_S5_S5_
                                        ; -- End function
	.set _ZL33flash_attn_stream_k_fixup_generalILi256ELi2ELi1EEvPfPK15HIP_vector_typeIfLj2EEiiiiS1_IjLj3EES5_S5_S5_.num_vgpr, 18
	.set _ZL33flash_attn_stream_k_fixup_generalILi256ELi2ELi1EEvPfPK15HIP_vector_typeIfLj2EEiiiiS1_IjLj3EES5_S5_S5_.num_agpr, 0
	.set _ZL33flash_attn_stream_k_fixup_generalILi256ELi2ELi1EEvPfPK15HIP_vector_typeIfLj2EEiiiiS1_IjLj3EES5_S5_S5_.numbered_sgpr, 36
	.set _ZL33flash_attn_stream_k_fixup_generalILi256ELi2ELi1EEvPfPK15HIP_vector_typeIfLj2EEiiiiS1_IjLj3EES5_S5_S5_.num_named_barrier, 0
	.set _ZL33flash_attn_stream_k_fixup_generalILi256ELi2ELi1EEvPfPK15HIP_vector_typeIfLj2EEiiiiS1_IjLj3EES5_S5_S5_.private_seg_size, 0
	.set _ZL33flash_attn_stream_k_fixup_generalILi256ELi2ELi1EEvPfPK15HIP_vector_typeIfLj2EEiiiiS1_IjLj3EES5_S5_S5_.uses_vcc, 1
	.set _ZL33flash_attn_stream_k_fixup_generalILi256ELi2ELi1EEvPfPK15HIP_vector_typeIfLj2EEiiiiS1_IjLj3EES5_S5_S5_.uses_flat_scratch, 0
	.set _ZL33flash_attn_stream_k_fixup_generalILi256ELi2ELi1EEvPfPK15HIP_vector_typeIfLj2EEiiiiS1_IjLj3EES5_S5_S5_.has_dyn_sized_stack, 0
	.set _ZL33flash_attn_stream_k_fixup_generalILi256ELi2ELi1EEvPfPK15HIP_vector_typeIfLj2EEiiiiS1_IjLj3EES5_S5_S5_.has_recursion, 0
	.set _ZL33flash_attn_stream_k_fixup_generalILi256ELi2ELi1EEvPfPK15HIP_vector_typeIfLj2EEiiiiS1_IjLj3EES5_S5_S5_.has_indirect_call, 0
	.section	.AMDGPU.csdata,"",@progbits
; Kernel info:
; codeLenInByte = 2932
; TotalNumSgprs: 40
; NumVgprs: 18
; ScratchSize: 0
; MemoryBound: 0
; FloatMode: 240
; IeeeMode: 1
; LDSByteSize: 0 bytes/workgroup (compile time only)
; SGPRBlocks: 4
; VGPRBlocks: 4
; NumSGPRsForWavesPerEU: 40
; NumVGPRsForWavesPerEU: 18
; Occupancy: 10
; WaveLimiterHint : 0
; COMPUTE_PGM_RSRC2:SCRATCH_EN: 0
; COMPUTE_PGM_RSRC2:USER_SGPR: 6
; COMPUTE_PGM_RSRC2:TRAP_HANDLER: 0
; COMPUTE_PGM_RSRC2:TGID_X_EN: 1
; COMPUTE_PGM_RSRC2:TGID_Y_EN: 1
; COMPUTE_PGM_RSRC2:TGID_Z_EN: 1
; COMPUTE_PGM_RSRC2:TIDIG_COMP_CNT: 0
	.section	.text._ZL15flash_attn_tileILi256ELi256ELi4ELi8ELb1EEvPKcS1_S1_S1_S1_PKiPfP15HIP_vector_typeIfLj2EEffffjfiS5_IjLj3EEiiiiiiiiiiiliiliiiiil,"axG",@progbits,_ZL15flash_attn_tileILi256ELi256ELi4ELi8ELb1EEvPKcS1_S1_S1_S1_PKiPfP15HIP_vector_typeIfLj2EEffffjfiS5_IjLj3EEiiiiiiiiiiiliiliiiiil,comdat
	.globl	_ZL15flash_attn_tileILi256ELi256ELi4ELi8ELb1EEvPKcS1_S1_S1_S1_PKiPfP15HIP_vector_typeIfLj2EEffffjfiS5_IjLj3EEiiiiiiiiiiiliiliiiiil ; -- Begin function _ZL15flash_attn_tileILi256ELi256ELi4ELi8ELb1EEvPKcS1_S1_S1_S1_PKiPfP15HIP_vector_typeIfLj2EEffffjfiS5_IjLj3EEiiiiiiiiiiiliiliiiiil
	.p2align	8
	.type	_ZL15flash_attn_tileILi256ELi256ELi4ELi8ELb1EEvPKcS1_S1_S1_S1_PKiPfP15HIP_vector_typeIfLj2EEffffjfiS5_IjLj3EEiiiiiiiiiiiliiliiiiil,@function
_ZL15flash_attn_tileILi256ELi256ELi4ELi8ELb1EEvPKcS1_S1_S1_S1_PKiPfP15HIP_vector_typeIfLj2EEffffjfiS5_IjLj3EEiiiiiiiiiiiliiliiiiil: ; @_ZL15flash_attn_tileILi256ELi256ELi4ELi8ELb1EEvPKcS1_S1_S1_S1_PKiPfP15HIP_vector_typeIfLj2EEffffjfiS5_IjLj3EEiiiiiiiiiiiliiliiiiil
; %bb.0:
	s_load_dwordx4 s[0:3], s[4:5], 0x5c
	s_load_dwordx2 s[28:29], s[4:5], 0x80
	s_load_dwordx2 s[34:35], s[4:5], 0xb8
	s_mov_b64 s[30:31], 0
	s_waitcnt lgkmcnt(0)
	s_ashr_i32 s9, s3, 31
	s_lshr_b32 s9, s9, 29
	s_add_i32 s9, s3, s9
	s_ashr_i32 s9, s9, 3
	v_cvt_f32_u32_e32 v2, s9
	s_sub_i32 s10, 0, s9
	v_rcp_iflag_f32_e32 v2, v2
	v_mul_f32_e32 v2, 0x4f7ffffe, v2
	v_cvt_u32_f32_e32 v2, v2
	v_readfirstlane_b32 s11, v2
	s_mul_i32 s10, s10, s11
	s_mul_hi_u32 s10, s11, s10
	s_add_i32 s11, s11, s10
	s_mul_hi_u32 s10, s8, s11
	s_mul_i32 s11, s10, s9
	s_sub_i32 s11, s8, s11
	s_add_i32 s12, s10, 1
	s_sub_i32 s13, s11, s9
	s_cmp_ge_u32 s11, s9
	s_cselect_b32 s10, s12, s10
	s_cselect_b32 s11, s13, s11
	s_add_i32 s12, s10, 1
	s_cmp_ge_u32 s11, s9
	s_cselect_b32 s33, s12, s10
	s_abs_i32 s9, s29
	v_cvt_f32_u32_e32 v2, s9
	s_lshl_b32 s8, s8, 3
	s_mul_i32 s12, s33, s3
	s_xor_b32 s10, s3, s29
	v_rcp_iflag_f32_e32 v2, v2
	s_sub_i32 s13, 0, s9
	s_sub_i32 s29, s8, s12
	s_abs_i32 s11, s3
	v_mul_f32_e32 v2, 0x4f7ffffe, v2
	v_cvt_u32_f32_e32 v2, v2
	s_ashr_i32 s10, s10, 31
	v_readfirstlane_b32 s8, v2
	s_mul_i32 s13, s13, s8
	s_mul_hi_u32 s12, s8, s13
	s_add_i32 s8, s8, s12
	s_mul_hi_u32 s8, s11, s8
	s_mul_i32 s12, s8, s9
	s_sub_i32 s11, s11, s12
	s_add_i32 s13, s8, 1
	s_sub_i32 s12, s11, s9
	s_cmp_ge_u32 s11, s9
	s_cselect_b32 s8, s13, s8
	s_cselect_b32 s11, s12, s11
	s_add_i32 s12, s8, 1
	s_cmp_ge_u32 s11, s9
	s_cselect_b32 s8, s12, s8
	s_xor_b32 s8, s8, s10
	s_sub_i32 s37, s8, s10
	s_abs_i32 s36, s37
	v_cvt_f32_u32_e32 v2, s36
	s_load_dwordx16 s[8:23], s[4:5], 0x0
	v_rcp_iflag_f32_e32 v2, v2
	s_waitcnt lgkmcnt(0)
	s_cmp_eq_u64 s[14:15], 0
	v_mul_f32_e32 v2, 0x4f7ffffe, v2
	v_cvt_u32_f32_e32 v2, v2
	v_readfirstlane_b32 s24, v2
	s_cbranch_scc1 .LBB58_2
; %bb.1:
	s_abs_i32 s25, s34
	v_cvt_f32_u32_e32 v2, s25
	s_sub_i32 s34, 0, s25
	s_abs_i32 s31, s33
	s_ashr_i32 s30, s33, 31
	v_rcp_iflag_f32_e32 v2, v2
	s_load_dwordx2 s[26:27], s[4:5], 0xc8
	v_mul_f32_e32 v2, 0x4f7ffffe, v2
	v_cvt_u32_f32_e32 v2, v2
	v_readfirstlane_b32 s38, v2
	s_mul_i32 s34, s34, s38
	s_mul_hi_u32 s34, s38, s34
	s_add_i32 s38, s38, s34
	s_mul_hi_u32 s34, s31, s38
	s_mul_i32 s34, s34, s25
	s_sub_i32 s31, s31, s34
	s_sub_i32 s34, s31, s25
	s_cmp_ge_u32 s31, s25
	s_cselect_b32 s31, s34, s31
	s_sub_i32 s34, s31, s25
	s_cmp_ge_u32 s31, s25
	s_cselect_b32 s25, s34, s31
	s_xor_b32 s25, s25, s30
	s_sub_i32 s25, s25, s30
	s_ashr_i32 s30, s25, 31
	s_waitcnt lgkmcnt(0)
	s_mul_hi_u32 s31, s26, s25
	s_mul_i32 s30, s26, s30
	s_mul_i32 s27, s27, s25
	s_add_i32 s30, s31, s30
	s_add_i32 s27, s30, s27
	s_mul_i32 s25, s26, s25
	s_add_u32 s30, s14, s25
	s_addc_u32 s31, s15, s27
.LBB58_2:
	v_lshrrev_b32_e32 v2, 1, v1
	s_load_dwordx4 s[40:43], s[4:5], 0x70
	v_lshl_add_u32 v14, s6, 2, v2
	v_mul_hi_u32 v2, s0, v14
	v_lshlrev_b32_e32 v15, 2, v1
	v_or_b32_e32 v43, 1, v15
	s_waitcnt lgkmcnt(0)
	s_mul_i32 s0, s33, s42
	v_add_u32_e32 v2, v14, v2
	s_ashr_i32 s15, s0, 31
	v_lshrrev_b32_e32 v2, s1, v2
	s_mul_i32 s14, s29, s41
	s_add_u32 s0, s8, s0
	v_mul_lo_u32 v2, v2, s2
	s_addc_u32 s8, s9, s15
	s_ashr_i32 s9, s14, 31
	s_add_u32 s14, s0, s14
	s_addc_u32 s15, s8, s9
	s_ashr_i32 s9, s41, 31
	s_mov_b32 s8, s41
	s_ashr_i32 s41, s40, 31
	v_sub_u32_e32 v2, v14, v2
	s_lshr_b64 s[0:1], s[40:41], 2
	v_mad_u64_u32 v[3:4], s[0:1], s0, v2, 0
	s_lshr_b32 s0, s41, 2
	v_and_b32_e32 v13, 5, v43
	v_mad_u64_u32 v[4:5], s[0:1], s0, v2, v[4:5]
	s_lshr_b64 s[0:1], s[8:9], 2
	v_mov_b32_e32 v5, s15
	v_lshlrev_b64 v[3:4], 2, v[3:4]
	v_and_b32_e32 v16, 4, v15
	v_add_co_u32_e32 v6, vcc, s14, v3
	s_lshr_b32 s14, s9, 2
	v_mad_u64_u32 v[11:12], s[8:9], s0, v13, 0
	v_addc_co_u32_e32 v5, vcc, v5, v4, vcc
	v_mul_lo_u32 v8, s14, v16
	v_mad_u64_u32 v[3:4], s[8:9], s0, v16, 0
	v_mad_u64_u32 v[12:13], s[8:9], s14, v13, v[12:13]
	v_lshlrev_b32_e32 v7, 4, v0
	v_or_b32_e32 v4, v4, v8
	v_add_co_u32_e32 v35, vcc, v6, v7
	v_lshlrev_b64 v[3:4], 2, v[3:4]
	v_addc_co_u32_e32 v36, vcc, 0, v5, vcc
	v_add_co_u32_e32 v7, vcc, v35, v3
	v_lshlrev_b64 v[11:12], 2, v[11:12]
	v_addc_co_u32_e32 v8, vcc, v36, v4, vcc
	v_or_b32_e32 v13, 2, v15
	global_load_dwordx4 v[3:6], v[7:8], off
	v_add_co_u32_e32 v11, vcc, v35, v11
	v_and_b32_e32 v27, 6, v13
	v_addc_co_u32_e32 v12, vcc, v36, v12, vcc
	v_mad_u64_u32 v[17:18], s[8:9], s0, v27, 0
	global_load_dwordx4 v[19:22], v[11:12], off
	global_load_dwordx4 v[23:26], v[11:12], off offset:512
	v_mov_b32_e32 v11, v18
	global_load_dwordx4 v[7:10], v[7:8], off offset:512
	v_mad_u64_u32 v[11:12], s[8:9], s14, v27, v[11:12]
	v_or_b32_e32 v15, 3, v15
	v_and_b32_e32 v37, 7, v15
	v_mov_b32_e32 v18, v11
	v_lshlrev_b64 v[11:12], 2, v[17:18]
	v_mad_u64_u32 v[17:18], s[0:1], s0, v37, 0
	v_add_co_u32_e32 v11, vcc, v35, v11
	v_addc_co_u32_e32 v12, vcc, v36, v12, vcc
	global_load_dwordx4 v[27:30], v[11:12], off
	global_load_dwordx4 v[31:34], v[11:12], off offset:512
	v_mov_b32_e32 v11, v18
	v_mad_u64_u32 v[11:12], s[0:1], s14, v37, v[11:12]
	s_load_dword s0, s[4:5], 0x40
	s_cmp_eq_u64 s[18:19], 0
	v_mov_b32_e32 v18, v11
	v_lshlrev_b64 v[11:12], 2, v[17:18]
	v_lshlrev_b32_e32 v17, 3, v0
	v_add_co_u32_e32 v11, vcc, v35, v11
	v_addc_co_u32_e32 v12, vcc, v36, v12, vcc
	global_load_dwordx4 v[35:38], v[11:12], off
	global_load_dwordx4 v[39:42], v[11:12], off offset:512
	v_lshlrev_b32_e32 v18, 11, v1
	v_or_b32_e32 v44, v17, v18
	s_waitcnt vmcnt(7) lgkmcnt(0)
	v_fma_mixlo_f16 v3, s0, v3, 0
	v_fma_mixlo_f16 v4, s0, v4, 0
	;; [unrolled: 1-line block ×4, first 2 shown]
	v_lshlrev_b32_e32 v4, 16, v4
	v_and_b32_e32 v3, 0xffff, v3
	v_lshlrev_b32_e32 v6, 16, v6
	v_and_b32_e32 v5, 0xffff, v5
	v_or_b32_e32 v3, v4, v3
	v_or3_b32 v4, v6, v5, 0
	v_or3_b32 v3, 0, 0, v3
	s_waitcnt vmcnt(4)
	v_fma_mixlo_f16 v5, s0, v7, 0
	v_fma_mixlo_f16 v6, s0, v8, 0
	v_lshlrev_b32_e32 v6, 16, v6
	v_and_b32_e32 v5, 0xffff, v5
	v_or_b32_e32 v5, v6, v5
	v_fma_mixlo_f16 v6, s0, v9, 0
	v_fma_mixlo_f16 v7, s0, v10, 0
	v_lshlrev_b32_e32 v7, 16, v7
	v_and_b32_e32 v6, 0xffff, v6
	v_or3_b32 v6, v7, v6, 0
	v_or3_b32 v5, 0, 0, v5
	ds_write2_b64 v44, v[3:4], v[5:6] offset1:32
	v_fma_mixlo_f16 v3, s0, v19, 0
	v_fma_mixlo_f16 v4, s0, v20, 0
	v_lshlrev_b32_e32 v4, 16, v4
	v_and_b32_e32 v3, 0xffff, v3
	v_or_b32_e32 v3, v4, v3
	v_fma_mixlo_f16 v4, s0, v21, 0
	v_fma_mixlo_f16 v5, s0, v22, 0
	v_lshlrev_b32_e32 v5, 16, v5
	v_and_b32_e32 v4, 0xffff, v4
	v_or3_b32 v4, v5, v4, 0
	v_fma_mixlo_f16 v5, s0, v23, 0
	v_fma_mixlo_f16 v6, s0, v24, 0
	v_lshlrev_b32_e32 v6, 16, v6
	v_and_b32_e32 v5, 0xffff, v5
	v_or_b32_e32 v5, v6, v5
	v_fma_mixlo_f16 v6, s0, v25, 0
	v_fma_mixlo_f16 v8, s0, v26, 0
	v_lshlrev_b32_e32 v8, 16, v8
	v_and_b32_e32 v6, 0xffff, v6
	v_lshl_add_u32 v7, v43, 9, v17
	v_or3_b32 v3, 0, 0, v3
	v_or3_b32 v6, v8, v6, 0
	;; [unrolled: 1-line block ×3, first 2 shown]
	ds_write2_b64 v7, v[3:4], v[5:6] offset1:32
	s_waitcnt vmcnt(3)
	v_fma_mixlo_f16 v3, s0, v27, 0
	v_fma_mixlo_f16 v4, s0, v28, 0
	v_lshlrev_b32_e32 v4, 16, v4
	v_and_b32_e32 v3, 0xffff, v3
	v_or_b32_e32 v3, v4, v3
	v_fma_mixlo_f16 v4, s0, v29, 0
	v_fma_mixlo_f16 v5, s0, v30, 0
	v_lshlrev_b32_e32 v5, 16, v5
	v_and_b32_e32 v4, 0xffff, v4
	v_or3_b32 v4, v5, v4, 0
	s_waitcnt vmcnt(2)
	v_fma_mixlo_f16 v5, s0, v31, 0
	v_fma_mixlo_f16 v6, s0, v32, 0
	v_lshlrev_b32_e32 v6, 16, v6
	v_and_b32_e32 v5, 0xffff, v5
	v_or_b32_e32 v5, v6, v5
	v_fma_mixlo_f16 v6, s0, v33, 0
	v_fma_mixlo_f16 v8, s0, v34, 0
	v_lshlrev_b32_e32 v8, 16, v8
	v_and_b32_e32 v6, 0xffff, v6
	v_lshl_add_u32 v7, v13, 9, v17
	v_or3_b32 v3, 0, 0, v3
	v_or3_b32 v6, v8, v6, 0
	;; [unrolled: 1-line block ×3, first 2 shown]
	ds_write2_b64 v7, v[3:4], v[5:6] offset1:32
	s_waitcnt vmcnt(1)
	v_fma_mixlo_f16 v3, s0, v35, 0
	v_fma_mixlo_f16 v4, s0, v36, 0
	v_lshlrev_b32_e32 v4, 16, v4
	v_and_b32_e32 v3, 0xffff, v3
	v_or_b32_e32 v3, v4, v3
	v_fma_mixlo_f16 v4, s0, v37, 0
	v_fma_mixlo_f16 v5, s0, v38, 0
	v_lshlrev_b32_e32 v5, 16, v5
	v_and_b32_e32 v4, 0xffff, v4
	v_or3_b32 v4, v5, v4, 0
	s_waitcnt vmcnt(0)
	v_fma_mixlo_f16 v5, s0, v39, 0
	v_fma_mixlo_f16 v6, s0, v40, 0
	v_lshlrev_b32_e32 v6, 16, v6
	v_and_b32_e32 v5, 0xffff, v5
	v_or_b32_e32 v5, v6, v5
	v_fma_mixlo_f16 v6, s0, v41, 0
	v_fma_mixlo_f16 v8, s0, v42, 0
	v_lshlrev_b32_e32 v8, 16, v8
	v_and_b32_e32 v6, 0xffff, v6
	v_lshl_add_u32 v7, v15, 9, v17
	v_or3_b32 v3, 0, 0, v3
	v_or3_b32 v6, v8, v6, 0
	;; [unrolled: 1-line block ×3, first 2 shown]
	ds_write2_b64 v7, v[3:4], v[5:6] offset1:32
	s_waitcnt lgkmcnt(0)
	s_barrier
	s_cbranch_scc1 .LBB58_4
; %bb.3:
	s_load_dword s0, s[4:5], 0xd0
	s_mov_b32 s1, 0
	s_waitcnt lgkmcnt(0)
	s_mul_i32 s0, s0, s33
	s_add_i32 s0, s0, s6
	s_lshl_b64 s[0:1], s[0:1], 2
	s_add_u32 s0, s18, s0
	s_addc_u32 s1, s19, s1
	s_load_dword s28, s[0:1], 0x0
.LBB58_4:
	s_lshl_b32 s6, s7, 5
	v_lshlrev_b32_e32 v15, 2, v0
	s_waitcnt lgkmcnt(0)
	s_cmp_lt_i32 s6, s28
	v_mbcnt_lo_u32_b32 v3, -1, 0
	s_cbranch_scc1 .LBB58_10
; %bb.5:
	v_mbcnt_hi_u32_b32 v19, -1, v3
	v_and_b32_e32 v4, 0x60, v19
	v_add_u32_e32 v61, 32, v4
	v_xor_b32_e32 v62, 16, v19
	v_xor_b32_e32 v60, 8, v19
	;; [unrolled: 1-line block ×5, first 2 shown]
	s_cbranch_execz .LBB58_11
; %bb.6:
	v_mov_b32_e32 v44, 0
	v_mov_b32_e32 v66, 0
	;; [unrolled: 1-line block ×24, first 2 shown]
.LBB58_7:
	v_cmp_lt_i32_e32 vcc, v62, v61
	v_cndmask_b32_e32 v5, v19, v62, vcc
	v_lshlrev_b32_e32 v5, 2, v5
	ds_bpermute_b32 v6, v5, v57
	ds_bpermute_b32 v12, v5, v58
	ds_bpermute_b32 v13, v5, v59
	ds_bpermute_b32 v5, v5, v66
	v_cmp_lt_i32_e32 vcc, v60, v61
	v_cndmask_b32_e32 v7, v19, v60, vcc
	v_lshlrev_b32_e32 v7, 2, v7
	s_waitcnt lgkmcnt(3)
	v_add_f32_e32 v6, v57, v6
	s_waitcnt lgkmcnt(2)
	v_add_f32_e32 v12, v58, v12
	s_waitcnt lgkmcnt(1)
	v_add_f32_e32 v13, v59, v13
	s_waitcnt lgkmcnt(0)
	v_add_f32_e32 v5, v66, v5
	ds_bpermute_b32 v8, v7, v6
	ds_bpermute_b32 v17, v7, v12
	ds_bpermute_b32 v18, v7, v13
	ds_bpermute_b32 v7, v7, v5
	v_cmp_lt_i32_e32 vcc, v63, v61
	v_cndmask_b32_e32 v9, v19, v63, vcc
	v_lshlrev_b32_e32 v9, 2, v9
	s_waitcnt lgkmcnt(3)
	v_add_f32_e32 v6, v6, v8
	s_waitcnt lgkmcnt(2)
	v_add_f32_e32 v12, v12, v17
	s_waitcnt lgkmcnt(1)
	v_add_f32_e32 v13, v13, v18
	s_waitcnt lgkmcnt(0)
	v_add_f32_e32 v5, v5, v7
	;; [unrolled: 15-line block ×4, first 2 shown]
	ds_bpermute_b32 v8, v11, v6
	ds_bpermute_b32 v10, v11, v9
	;; [unrolled: 1-line block ×4, first 2 shown]
	s_cmp_lg_u64 s[16:17], 0
	s_cselect_b64 s[0:1], -1, 0
	s_cmp_eq_u32 s7, 0
	s_cselect_b64 s[8:9], -1, 0
	s_and_b64 s[0:1], s[8:9], s[0:1]
	s_waitcnt lgkmcnt(3)
	v_add_f32_e32 v5, v6, v8
	s_waitcnt lgkmcnt(2)
	v_add_f32_e32 v6, v9, v10
	;; [unrolled: 2-line block ×4, first 2 shown]
	s_and_b64 vcc, exec, s[0:1]
	s_cbranch_vccz .LBB58_30
; %bb.8:
	v_add_u32_e32 v9, s29, v16
	v_ashrrev_i32_e32 v10, 31, v9
	v_lshlrev_b64 v[9:10], 2, v[9:10]
	v_mov_b32_e32 v11, s17
	v_add_co_u32_e32 v9, vcc, s16, v9
	v_addc_co_u32_e32 v10, vcc, v11, v10, vcc
	global_load_dwordx4 v[9:12], v[9:10], off
	v_max_f32_e32 v13, v1, v1
	v_max_f32_e32 v18, v2, v2
	s_mov_b32 s6, 0x3fb8aa3b
	v_max_f32_e32 v19, v3, v3
	s_mov_b32 s1, 0xc2ce8ed0
	s_mov_b32 s0, 0x42b17218
	v_mov_b32_e32 v21, 0x7f800000
	s_waitcnt vmcnt(0)
	v_max_f32_e32 v17, v9, v9
	v_max_f32_e32 v17, v13, v17
	v_max_f32_e32 v20, v10, v10
	v_sub_f32_e32 v1, v1, v17
	v_max_f32_e32 v18, v18, v20
	v_sub_f32_e32 v9, v9, v17
	v_mul_f32_e32 v13, 0x3fb8aa3b, v1
	v_max_f32_e32 v22, v11, v11
	v_sub_f32_e32 v2, v2, v18
	v_mul_f32_e32 v20, 0x3fb8aa3b, v9
	v_fma_f32 v26, v1, s6, -v13
	v_rndne_f32_e32 v27, v13
	v_max_f32_e32 v19, v19, v22
	v_sub_f32_e32 v10, v10, v18
	v_mul_f32_e32 v22, 0x3fb8aa3b, v2
	v_fma_f32 v28, v9, s6, -v20
	v_rndne_f32_e32 v29, v20
	v_fmac_f32_e32 v26, 0x32a5705f, v1
	v_sub_f32_e32 v13, v13, v27
	v_mul_f32_e32 v23, 0x3fb8aa3b, v10
	v_fma_f32 v30, v2, s6, -v22
	v_rndne_f32_e32 v31, v22
	v_fmac_f32_e32 v28, 0x32a5705f, v9
	v_sub_f32_e32 v20, v20, v29
	v_add_f32_e32 v13, v13, v26
	v_fma_f32 v32, v10, s6, -v23
	v_rndne_f32_e32 v49, v23
	v_cvt_i32_f32_e32 v27, v27
	v_fmac_f32_e32 v30, 0x32a5705f, v2
	v_sub_f32_e32 v22, v22, v31
	v_add_f32_e32 v20, v20, v28
	v_exp_f32_e32 v13, v13
	v_cvt_i32_f32_e32 v29, v29
	v_fmac_f32_e32 v32, 0x32a5705f, v10
	v_sub_f32_e32 v23, v23, v49
	v_add_f32_e32 v22, v22, v30
	v_exp_f32_e32 v20, v20
	v_cvt_i32_f32_e32 v31, v31
	v_add_f32_e32 v23, v23, v32
	v_exp_f32_e32 v22, v22
	v_cvt_i32_f32_e32 v49, v49
	v_exp_f32_e32 v23, v23
	v_ldexp_f32 v13, v13, v27
	v_cmp_ngt_f32_e32 vcc, s1, v1
	v_ldexp_f32 v20, v20, v29
	v_cndmask_b32_e32 v13, 0, v13, vcc
	v_cmp_ngt_f32_e32 vcc, s1, v9
	v_ldexp_f32 v22, v22, v31
	v_cndmask_b32_e32 v20, 0, v20, vcc
	v_cmp_ngt_f32_e32 vcc, s1, v2
	v_ldexp_f32 v23, v23, v49
	v_cndmask_b32_e32 v22, 0, v22, vcc
	v_cmp_ngt_f32_e32 vcc, s1, v10
	v_cndmask_b32_e32 v23, 0, v23, vcc
	v_cmp_nlt_f32_e32 vcc, s0, v1
	v_cndmask_b32_e32 v1, v21, v13, vcc
	v_cmp_nlt_f32_e32 vcc, s0, v9
	v_cndmask_b32_e32 v9, v21, v20, vcc
	v_cmp_nlt_f32_e32 vcc, s0, v2
	v_sub_f32_e32 v3, v3, v19
	v_cndmask_b32_e32 v2, v21, v22, vcc
	v_cvt_f16_f32_e32 v13, v1
	v_mul_f32_e32 v24, 0x3fb8aa3b, v3
	v_cvt_f16_f32_e32 v20, v2
	v_fma_f32 v50, v3, s6, -v24
	v_rndne_f32_e32 v51, v24
	v_sub_f32_e32 v11, v11, v19
	v_fmac_f32_e32 v50, 0x32a5705f, v3
	v_sub_f32_e32 v24, v24, v51
	v_cmp_nlt_f32_e32 vcc, s0, v10
	v_mul_f32_e32 v25, 0x3fb8aa3b, v11
	v_add_f32_e32 v24, v24, v50
	v_cndmask_b32_e32 v10, v21, v23, vcc
	v_fmac_f32_e32 v9, v5, v1
	v_mul_u32_u24_e32 v1, 0x10001, v13
	v_fma_f32 v52, v11, s6, -v25
	v_cvt_i32_f32_e32 v51, v51
	v_exp_f32_e32 v24, v24
	v_fmac_f32_e32 v10, v6, v2
	v_mul_u32_u24_e32 v2, 0x10001, v20
	v_pk_mul_f16 v44, v44, v1
	v_pk_mul_f16 v48, v48, v1
	;; [unrolled: 1-line block ×4, first 2 shown]
	v_rndne_f32_e32 v1, v25
	v_pk_mul_f16 v41, v41, v2
	v_pk_mul_f16 v45, v45, v2
	;; [unrolled: 1-line block ×4, first 2 shown]
	v_fmac_f32_e32 v52, 0x32a5705f, v11
	v_sub_f32_e32 v2, v25, v1
	v_add_f32_e32 v2, v2, v52
	v_exp_f32_e32 v2, v2
	v_cvt_i32_f32_e32 v1, v1
	v_ldexp_f32 v24, v24, v51
	v_cmp_ngt_f32_e32 vcc, s1, v3
	v_cndmask_b32_e32 v5, 0, v24, vcc
	v_cmp_nlt_f32_e32 vcc, s0, v3
	v_cndmask_b32_e32 v3, v21, v5, vcc
	v_ldexp_f32 v1, v2, v1
	v_cvt_f16_f32_e32 v2, v3
	v_cmp_ngt_f32_e32 vcc, s1, v11
	v_cndmask_b32_e32 v1, 0, v1, vcc
	v_cmp_nlt_f32_e32 vcc, s0, v11
	v_cndmask_b32_e32 v11, v21, v1, vcc
	v_fmac_f32_e32 v11, v7, v3
	v_mul_u32_u24_e32 v1, 0x10001, v2
	v_max_f32_e32 v2, v12, v12
	v_max_f32_e32 v3, v4, v4
	;; [unrolled: 1-line block ×3, first 2 shown]
	v_sub_f32_e32 v2, v4, v20
	v_mul_f32_e32 v3, 0x3fb8aa3b, v2
	v_fma_f32 v4, v2, s6, -v3
	v_rndne_f32_e32 v5, v3
	v_fmac_f32_e32 v4, 0x32a5705f, v2
	v_sub_f32_e32 v3, v3, v5
	v_add_f32_e32 v3, v3, v4
	v_exp_f32_e32 v3, v3
	v_cvt_i32_f32_e32 v4, v5
	v_pk_mul_f16 v37, v37, v1
	v_pk_mul_f16 v40, v40, v1
	;; [unrolled: 1-line block ×4, first 2 shown]
	v_ldexp_f32 v1, v3, v4
	v_sub_f32_e32 v3, v12, v20
	v_mul_f32_e32 v4, 0x3fb8aa3b, v3
	v_fma_f32 v5, v3, s6, -v4
	v_rndne_f32_e32 v6, v4
	v_fmac_f32_e32 v5, 0x32a5705f, v3
	v_sub_f32_e32 v4, v4, v6
	v_add_f32_e32 v4, v4, v5
	v_exp_f32_e32 v4, v4
	v_cvt_i32_f32_e32 v5, v6
	v_cmp_ngt_f32_e32 vcc, s1, v2
	v_cndmask_b32_e32 v1, 0, v1, vcc
	v_cmp_nlt_f32_e32 vcc, s0, v2
	v_cndmask_b32_e32 v1, v21, v1, vcc
	v_ldexp_f32 v2, v4, v5
	v_cvt_f16_f32_e32 v4, v1
	v_cmp_ngt_f32_e32 vcc, s1, v3
	v_cndmask_b32_e32 v2, 0, v2, vcc
	v_cmp_nlt_f32_e32 vcc, s0, v3
	v_cndmask_b32_e32 v12, v21, v2, vcc
	v_fmac_f32_e32 v12, v8, v1
	v_mul_u32_u24_e32 v1, 0x10001, v4
	v_pk_mul_f16 v35, v35, v1
	v_pk_mul_f16 v36, v36, v1
	;; [unrolled: 1-line block ×4, first 2 shown]
	v_mov_b32_e32 v1, v17
	v_mov_b32_e32 v2, v18
	;; [unrolled: 1-line block ×8, first 2 shown]
	v_cmp_gt_i32_e32 vcc, s2, v14
	s_and_saveexec_b64 s[0:1], vcc
	s_cbranch_execnz .LBB58_31
.LBB58_9:
	s_endpgm
.LBB58_10:
                                        ; implicit-def: $vgpr19
                                        ; implicit-def: $vgpr61
                                        ; implicit-def: $vgpr62
                                        ; implicit-def: $vgpr60
                                        ; implicit-def: $vgpr63
                                        ; implicit-def: $vgpr64
                                        ; implicit-def: $vgpr65
.LBB58_11:
	s_sub_i32 s0, 0, s36
	s_mul_i32 s0, s0, s24
	s_mul_hi_u32 s0, s24, s0
	s_abs_i32 s19, s29
	s_add_i32 s24, s24, s0
	s_mul_hi_u32 s34, s19, s24
	s_load_dwordx4 s[24:27], s[4:5], 0x98
	s_load_dword s14, s[4:5], 0x54
	s_load_dwordx2 s[0:1], s[4:5], 0x8c
	s_ashr_i32 s38, s29, 31
	s_ashr_i32 s37, s37, 31
	s_waitcnt lgkmcnt(0)
	s_ashr_i32 s15, s26, 2
	s_ashr_i32 s26, s35, 1
	;; [unrolled: 1-line block ×4, first 2 shown]
	s_mul_hi_u32 s35, s24, s33
	s_mul_i32 s39, s24, s0
	s_add_i32 s35, s35, s39
	s_mul_i32 s25, s25, s33
	s_add_i32 s35, s35, s25
	s_mul_i32 s24, s24, s33
	s_add_u32 s10, s10, s24
	s_mul_i32 s25, s34, s36
	s_addc_u32 s11, s11, s35
	s_sub_i32 s19, s19, s25
	s_xor_b32 s24, s38, s37
	s_add_i32 s25, s34, 1
	s_sub_i32 s35, s19, s36
	s_cmp_ge_u32 s19, s36
	s_cselect_b32 s25, s25, s34
	s_cselect_b32 s19, s35, s19
	s_add_i32 s34, s25, 1
	s_cmp_ge_u32 s19, s36
	s_load_dwordx2 s[8:9], s[4:5], 0xa8
	s_cselect_b32 s19, s34, s25
	s_xor_b32 s19, s19, s24
	s_sub_i32 s19, s19, s24
	s_mul_i32 s1, s19, s1
	s_ashr_i32 s24, s1, 31
	s_add_u32 s10, s10, s1
	s_waitcnt lgkmcnt(0)
	s_mul_hi_u32 s1, s8, s33
	s_mul_i32 s0, s8, s0
	s_addc_u32 s11, s11, s24
	s_add_i32 s0, s1, s0
	s_mul_i32 s1, s9, s33
	s_add_i32 s0, s0, s1
	s_mul_i32 s1, s8, s33
	s_add_u32 s1, s12, s1
	s_mul_i32 s19, s19, s27
	s_addc_u32 s0, s13, s0
	s_ashr_i32 s8, s19, 31
	s_add_u32 s12, s1, s19
	v_lshrrev_b32_e32 v4, 4, v0
	v_and_b32_e32 v13, 60, v15
	s_addc_u32 s13, s0, s8
	v_lshl_add_u32 v4, v1, 1, v4
	v_lshlrev_b32_e32 v5, 2, v13
	s_movk_i32 s0, 0x110
	v_mul_lo_u32 v7, s18, v4
	v_mad_u32_u24 v4, v4, s0, v5
	v_mul_lo_u32 v11, s15, v1
	v_add_u32_e32 v20, 0x4000, v4
	v_add_u32_e32 v21, 0x5100, v4
	v_mov_b32_e32 v4, 0x4000
	v_mad_u32_u24 v22, v0, s0, v4
	v_mad_u64_u32 v[5:6], s[0:1], v2, s26, v[0:1]
	v_mov_b32_e32 v2, 0x6200
	v_lshlrev_b32_e32 v24, 2, v15
	v_lshl_add_u32 v23, v1, 8, v2
	v_lshl_add_u32 v1, v1, 9, v24
	;; [unrolled: 1-line block ×3, first 2 shown]
	v_add_u32_e32 v25, 0x4000, v1
	v_add_u32_e32 v26, 0x5000, v1
	v_lshl_add_u32 v1, s15, 3, v11
	v_ashrrev_i32_e32 v8, 31, v7
	v_ashrrev_i32_e32 v10, 31, v9
	;; [unrolled: 1-line block ×4, first 2 shown]
	s_add_u32 s0, s4, 0xd0
	v_lshlrev_b64 v[6:7], 2, v[7:8]
	v_lshlrev_b32_e32 v27, 2, v13
	v_lshlrev_b64 v[8:9], 2, v[9:10]
	v_lshlrev_b64 v[10:11], 2, v[11:12]
	;; [unrolled: 1-line block ×3, first 2 shown]
	v_mov_b32_e32 v33, 0
	s_addc_u32 s1, s5, 0
	v_mov_b32_e32 v56, 0xfeffffff
	v_mov_b32_e32 v28, s31
	s_mov_b32 s19, 0x3f200000
	s_mov_b32 s24, 0x3fb8aa3b
	;; [unrolled: 1-line block ×4, first 2 shown]
	v_mov_b32_e32 v29, 0xbd5c1c4e
	v_mov_b32_e32 v30, 0x3e088382
	;; [unrolled: 1-line block ×3, first 2 shown]
	s_brev_b32 s27, -2
	s_mov_b32 s31, 0x10001
	v_mov_b32_e32 v32, 0x7f800000
	v_mbcnt_hi_u32_b32 v19, -1, v3
	v_mov_b32_e32 v34, 0
	v_mov_b32_e32 v36, 0
	;; [unrolled: 1-line block ×22, first 2 shown]
.LBB58_12:                              ; =>This Inner Loop Header: Depth=1
	s_mul_hi_i32 s9, s6, s18
	s_mul_i32 s8, s6, s18
	s_lshl_b64 s[8:9], s[8:9], 2
	s_add_u32 s8, s10, s8
	s_addc_u32 s9, s11, s9
	v_mov_b32_e32 v1, s9
	v_add_co_u32_e32 v2, vcc, s8, v6
	v_addc_co_u32_e32 v3, vcc, v1, v7, vcc
	v_add_co_u32_e32 v1, vcc, v2, v27
	v_addc_co_u32_e32 v2, vcc, 0, v3, vcc
	v_mov_b32_e32 v3, s9
	v_add_co_u32_e32 v4, vcc, s8, v8
	v_addc_co_u32_e32 v57, vcc, v3, v9, vcc
	v_add_co_u32_e32 v3, vcc, v4, v27
	v_addc_co_u32_e32 v4, vcc, 0, v57, vcc
	global_load_dwordx4 v[61:64], v[1:2], off
	global_load_dwordx4 v[65:68], v[3:4], off
	v_mov_b32_e32 v60, 0
	v_mov_b32_e32 v59, 0
	;; [unrolled: 1-line block ×4, first 2 shown]
	s_waitcnt vmcnt(1)
	ds_write_b128 v20, v[61:64]
	s_waitcnt vmcnt(0)
	ds_write_b128 v21, v[65:68]
	s_waitcnt lgkmcnt(0)
	s_barrier
	ds_read_b128 v[61:64], v22
	ds_read_b128 v[65:68], v18
	ds_read_b128 v[69:72], v18 offset:512
	ds_read_b128 v[73:76], v18 offset:1024
	ds_read_b128 v[77:80], v18 offset:1536
	s_waitcnt lgkmcnt(3)
	;;#ASMSTART
	v_dot2_f32_f16 v60, v61, v65, v60
	;;#ASMEND
	;;#ASMSTART
	v_dot2_f32_f16 v60, v62, v66, v60
	;;#ASMEND
	;;#ASMSTART
	v_dot2_f32_f16 v60, v63, v67, v60
	;;#ASMEND
	;;#ASMSTART
	v_dot2_f32_f16 v60, v64, v68, v60
	;;#ASMEND
	s_waitcnt lgkmcnt(2)
	;;#ASMSTART
	v_dot2_f32_f16 v59, v61, v69, v59
	;;#ASMEND
	;;#ASMSTART
	v_dot2_f32_f16 v59, v62, v70, v59
	;;#ASMEND
	;;#ASMSTART
	v_dot2_f32_f16 v59, v63, v71, v59
	;;#ASMEND
	;;#ASMSTART
	v_dot2_f32_f16 v59, v64, v72, v59
	;;#ASMEND
	s_waitcnt lgkmcnt(1)
	;;#ASMSTART
	v_dot2_f32_f16 v58, v61, v73, v58
	;;#ASMEND
	;;#ASMSTART
	v_dot2_f32_f16 v58, v62, v74, v58
	;;#ASMEND
	;;#ASMSTART
	v_dot2_f32_f16 v58, v63, v75, v58
	;;#ASMEND
	;;#ASMSTART
	v_dot2_f32_f16 v58, v64, v76, v58
	;;#ASMEND
	s_waitcnt lgkmcnt(0)
	;;#ASMSTART
	v_dot2_f32_f16 v57, v61, v77, v57
	;;#ASMEND
	;;#ASMSTART
	v_dot2_f32_f16 v57, v62, v78, v57
	;;#ASMEND
	;;#ASMSTART
	v_dot2_f32_f16 v57, v63, v79, v57
	;;#ASMEND
	;;#ASMSTART
	v_dot2_f32_f16 v57, v64, v80, v57
	;;#ASMEND
	ds_read_b128 v[61:64], v22 offset:16
	ds_read_b128 v[65:68], v18 offset:16
	ds_read_b128 v[69:72], v18 offset:528
	ds_read_b128 v[73:76], v18 offset:1040
	ds_read_b128 v[77:80], v18 offset:1552
	s_waitcnt lgkmcnt(3)
	;;#ASMSTART
	v_dot2_f32_f16 v60, v61, v65, v60
	;;#ASMEND
	;;#ASMSTART
	v_dot2_f32_f16 v60, v62, v66, v60
	;;#ASMEND
	;;#ASMSTART
	v_dot2_f32_f16 v60, v63, v67, v60
	;;#ASMEND
	;;#ASMSTART
	v_dot2_f32_f16 v60, v64, v68, v60
	;;#ASMEND
	s_waitcnt lgkmcnt(2)
	;;#ASMSTART
	v_dot2_f32_f16 v59, v61, v69, v59
	;;#ASMEND
	;;#ASMSTART
	v_dot2_f32_f16 v59, v62, v70, v59
	;;#ASMEND
	;;#ASMSTART
	v_dot2_f32_f16 v59, v63, v71, v59
	;;#ASMEND
	;;#ASMSTART
	v_dot2_f32_f16 v59, v64, v72, v59
	;;#ASMEND
	s_waitcnt lgkmcnt(1)
	;;#ASMSTART
	v_dot2_f32_f16 v58, v61, v73, v58
	;;#ASMEND
	;;#ASMSTART
	v_dot2_f32_f16 v58, v62, v74, v58
	;;#ASMEND
	;;#ASMSTART
	v_dot2_f32_f16 v58, v63, v75, v58
	;;#ASMEND
	;;#ASMSTART
	v_dot2_f32_f16 v58, v64, v76, v58
	;;#ASMEND
	s_waitcnt lgkmcnt(0)
	;;#ASMSTART
	v_dot2_f32_f16 v57, v61, v77, v57
	;;#ASMEND
	;;#ASMSTART
	v_dot2_f32_f16 v57, v62, v78, v57
	;;#ASMEND
	;;#ASMSTART
	v_dot2_f32_f16 v57, v63, v79, v57
	;;#ASMEND
	;;#ASMSTART
	v_dot2_f32_f16 v57, v64, v80, v57
	;;#ASMEND
	ds_read_b128 v[61:64], v22 offset:32
	ds_read_b128 v[65:68], v18 offset:32
	ds_read_b128 v[69:72], v18 offset:544
	ds_read_b128 v[73:76], v18 offset:1056
	ds_read_b128 v[77:80], v18 offset:1568
	s_waitcnt lgkmcnt(3)
	;;#ASMSTART
	v_dot2_f32_f16 v60, v61, v65, v60
	;;#ASMEND
	;;#ASMSTART
	v_dot2_f32_f16 v60, v62, v66, v60
	;;#ASMEND
	;;#ASMSTART
	v_dot2_f32_f16 v60, v63, v67, v60
	;;#ASMEND
	;;#ASMSTART
	v_dot2_f32_f16 v60, v64, v68, v60
	;;#ASMEND
	s_waitcnt lgkmcnt(2)
	;;#ASMSTART
	v_dot2_f32_f16 v59, v61, v69, v59
	;;#ASMEND
	;;#ASMSTART
	v_dot2_f32_f16 v59, v62, v70, v59
	;;#ASMEND
	;;#ASMSTART
	v_dot2_f32_f16 v59, v63, v71, v59
	;;#ASMEND
	;;#ASMSTART
	v_dot2_f32_f16 v59, v64, v72, v59
	;;#ASMEND
	s_waitcnt lgkmcnt(1)
	;;#ASMSTART
	v_dot2_f32_f16 v58, v61, v73, v58
	;;#ASMEND
	;;#ASMSTART
	v_dot2_f32_f16 v58, v62, v74, v58
	;;#ASMEND
	;;#ASMSTART
	v_dot2_f32_f16 v58, v63, v75, v58
	;;#ASMEND
	;;#ASMSTART
	v_dot2_f32_f16 v58, v64, v76, v58
	;;#ASMEND
	s_waitcnt lgkmcnt(0)
	;;#ASMSTART
	v_dot2_f32_f16 v57, v61, v77, v57
	;;#ASMEND
	;;#ASMSTART
	v_dot2_f32_f16 v57, v62, v78, v57
	;;#ASMEND
	;;#ASMSTART
	v_dot2_f32_f16 v57, v63, v79, v57
	;;#ASMEND
	;;#ASMSTART
	v_dot2_f32_f16 v57, v64, v80, v57
	;;#ASMEND
	ds_read_b128 v[61:64], v22 offset:48
	ds_read_b128 v[65:68], v18 offset:48
	ds_read_b128 v[69:72], v18 offset:560
	ds_read_b128 v[73:76], v18 offset:1072
	ds_read_b128 v[77:80], v18 offset:1584
	s_waitcnt lgkmcnt(3)
	;;#ASMSTART
	v_dot2_f32_f16 v60, v61, v65, v60
	;;#ASMEND
	;;#ASMSTART
	v_dot2_f32_f16 v60, v62, v66, v60
	;;#ASMEND
	;;#ASMSTART
	v_dot2_f32_f16 v60, v63, v67, v60
	;;#ASMEND
	;;#ASMSTART
	v_dot2_f32_f16 v60, v64, v68, v60
	;;#ASMEND
	s_waitcnt lgkmcnt(2)
	;;#ASMSTART
	v_dot2_f32_f16 v59, v61, v69, v59
	;;#ASMEND
	;;#ASMSTART
	v_dot2_f32_f16 v59, v62, v70, v59
	;;#ASMEND
	;;#ASMSTART
	v_dot2_f32_f16 v59, v63, v71, v59
	;;#ASMEND
	;;#ASMSTART
	v_dot2_f32_f16 v59, v64, v72, v59
	;;#ASMEND
	s_waitcnt lgkmcnt(1)
	;;#ASMSTART
	v_dot2_f32_f16 v58, v61, v73, v58
	;;#ASMEND
	;;#ASMSTART
	v_dot2_f32_f16 v58, v62, v74, v58
	;;#ASMEND
	;;#ASMSTART
	v_dot2_f32_f16 v58, v63, v75, v58
	;;#ASMEND
	;;#ASMSTART
	v_dot2_f32_f16 v58, v64, v76, v58
	;;#ASMEND
	s_waitcnt lgkmcnt(0)
	;;#ASMSTART
	v_dot2_f32_f16 v57, v61, v77, v57
	;;#ASMEND
	;;#ASMSTART
	v_dot2_f32_f16 v57, v62, v78, v57
	;;#ASMEND
	;;#ASMSTART
	v_dot2_f32_f16 v57, v63, v79, v57
	;;#ASMEND
	;;#ASMSTART
	v_dot2_f32_f16 v57, v64, v80, v57
	;;#ASMEND
	ds_read_b128 v[61:64], v22 offset:64
	ds_read_b128 v[65:68], v18 offset:64
	ds_read_b128 v[69:72], v18 offset:576
	ds_read_b128 v[73:76], v18 offset:1088
	ds_read_b128 v[77:80], v18 offset:1600
	s_waitcnt lgkmcnt(3)
	;;#ASMSTART
	v_dot2_f32_f16 v60, v61, v65, v60
	;;#ASMEND
	;;#ASMSTART
	v_dot2_f32_f16 v60, v62, v66, v60
	;;#ASMEND
	;;#ASMSTART
	v_dot2_f32_f16 v60, v63, v67, v60
	;;#ASMEND
	;;#ASMSTART
	v_dot2_f32_f16 v60, v64, v68, v60
	;;#ASMEND
	s_waitcnt lgkmcnt(2)
	;;#ASMSTART
	v_dot2_f32_f16 v59, v61, v69, v59
	;;#ASMEND
	;;#ASMSTART
	v_dot2_f32_f16 v59, v62, v70, v59
	;;#ASMEND
	;;#ASMSTART
	v_dot2_f32_f16 v59, v63, v71, v59
	;;#ASMEND
	;;#ASMSTART
	v_dot2_f32_f16 v59, v64, v72, v59
	;;#ASMEND
	s_waitcnt lgkmcnt(1)
	;;#ASMSTART
	v_dot2_f32_f16 v58, v61, v73, v58
	;;#ASMEND
	;;#ASMSTART
	v_dot2_f32_f16 v58, v62, v74, v58
	;;#ASMEND
	;;#ASMSTART
	v_dot2_f32_f16 v58, v63, v75, v58
	;;#ASMEND
	;;#ASMSTART
	v_dot2_f32_f16 v58, v64, v76, v58
	;;#ASMEND
	s_waitcnt lgkmcnt(0)
	;;#ASMSTART
	v_dot2_f32_f16 v57, v61, v77, v57
	;;#ASMEND
	;;#ASMSTART
	v_dot2_f32_f16 v57, v62, v78, v57
	;;#ASMEND
	;;#ASMSTART
	v_dot2_f32_f16 v57, v63, v79, v57
	;;#ASMEND
	;;#ASMSTART
	v_dot2_f32_f16 v57, v64, v80, v57
	;;#ASMEND
	ds_read_b128 v[61:64], v22 offset:80
	ds_read_b128 v[65:68], v18 offset:80
	ds_read_b128 v[69:72], v18 offset:592
	ds_read_b128 v[73:76], v18 offset:1104
	ds_read_b128 v[77:80], v18 offset:1616
	s_waitcnt lgkmcnt(3)
	;;#ASMSTART
	v_dot2_f32_f16 v60, v61, v65, v60
	;;#ASMEND
	;;#ASMSTART
	v_dot2_f32_f16 v60, v62, v66, v60
	;;#ASMEND
	;;#ASMSTART
	v_dot2_f32_f16 v60, v63, v67, v60
	;;#ASMEND
	;;#ASMSTART
	v_dot2_f32_f16 v60, v64, v68, v60
	;;#ASMEND
	s_waitcnt lgkmcnt(2)
	;;#ASMSTART
	v_dot2_f32_f16 v59, v61, v69, v59
	;;#ASMEND
	;;#ASMSTART
	v_dot2_f32_f16 v59, v62, v70, v59
	;;#ASMEND
	;;#ASMSTART
	v_dot2_f32_f16 v59, v63, v71, v59
	;;#ASMEND
	;;#ASMSTART
	v_dot2_f32_f16 v59, v64, v72, v59
	;;#ASMEND
	s_waitcnt lgkmcnt(1)
	;;#ASMSTART
	v_dot2_f32_f16 v58, v61, v73, v58
	;;#ASMEND
	;;#ASMSTART
	v_dot2_f32_f16 v58, v62, v74, v58
	;;#ASMEND
	;;#ASMSTART
	v_dot2_f32_f16 v58, v63, v75, v58
	;;#ASMEND
	;;#ASMSTART
	v_dot2_f32_f16 v58, v64, v76, v58
	;;#ASMEND
	s_waitcnt lgkmcnt(0)
	;;#ASMSTART
	v_dot2_f32_f16 v57, v61, v77, v57
	;;#ASMEND
	;;#ASMSTART
	v_dot2_f32_f16 v57, v62, v78, v57
	;;#ASMEND
	;;#ASMSTART
	v_dot2_f32_f16 v57, v63, v79, v57
	;;#ASMEND
	;;#ASMSTART
	v_dot2_f32_f16 v57, v64, v80, v57
	;;#ASMEND
	ds_read_b128 v[61:64], v22 offset:96
	ds_read_b128 v[65:68], v18 offset:96
	ds_read_b128 v[69:72], v18 offset:608
	ds_read_b128 v[73:76], v18 offset:1120
	ds_read_b128 v[77:80], v18 offset:1632
	s_waitcnt lgkmcnt(3)
	;;#ASMSTART
	v_dot2_f32_f16 v60, v61, v65, v60
	;;#ASMEND
	;;#ASMSTART
	v_dot2_f32_f16 v60, v62, v66, v60
	;;#ASMEND
	;;#ASMSTART
	v_dot2_f32_f16 v60, v63, v67, v60
	;;#ASMEND
	;;#ASMSTART
	v_dot2_f32_f16 v60, v64, v68, v60
	;;#ASMEND
	s_waitcnt lgkmcnt(2)
	;;#ASMSTART
	v_dot2_f32_f16 v59, v61, v69, v59
	;;#ASMEND
	;;#ASMSTART
	v_dot2_f32_f16 v59, v62, v70, v59
	;;#ASMEND
	;;#ASMSTART
	v_dot2_f32_f16 v59, v63, v71, v59
	;;#ASMEND
	;;#ASMSTART
	v_dot2_f32_f16 v59, v64, v72, v59
	;;#ASMEND
	s_waitcnt lgkmcnt(1)
	;;#ASMSTART
	v_dot2_f32_f16 v58, v61, v73, v58
	;;#ASMEND
	;;#ASMSTART
	v_dot2_f32_f16 v58, v62, v74, v58
	;;#ASMEND
	;;#ASMSTART
	v_dot2_f32_f16 v58, v63, v75, v58
	;;#ASMEND
	;;#ASMSTART
	v_dot2_f32_f16 v58, v64, v76, v58
	;;#ASMEND
	s_waitcnt lgkmcnt(0)
	;;#ASMSTART
	v_dot2_f32_f16 v57, v61, v77, v57
	;;#ASMEND
	;;#ASMSTART
	v_dot2_f32_f16 v57, v62, v78, v57
	;;#ASMEND
	;;#ASMSTART
	v_dot2_f32_f16 v57, v63, v79, v57
	;;#ASMEND
	;;#ASMSTART
	v_dot2_f32_f16 v57, v64, v80, v57
	;;#ASMEND
	ds_read_b128 v[61:64], v22 offset:112
	ds_read_b128 v[65:68], v18 offset:112
	ds_read_b128 v[69:72], v18 offset:624
	ds_read_b128 v[73:76], v18 offset:1136
	ds_read_b128 v[77:80], v18 offset:1648
	s_waitcnt lgkmcnt(3)
	;;#ASMSTART
	v_dot2_f32_f16 v60, v61, v65, v60
	;;#ASMEND
	;;#ASMSTART
	v_dot2_f32_f16 v60, v62, v66, v60
	;;#ASMEND
	;;#ASMSTART
	v_dot2_f32_f16 v60, v63, v67, v60
	;;#ASMEND
	;;#ASMSTART
	v_dot2_f32_f16 v60, v64, v68, v60
	;;#ASMEND
	s_waitcnt lgkmcnt(2)
	;;#ASMSTART
	v_dot2_f32_f16 v59, v61, v69, v59
	;;#ASMEND
	;;#ASMSTART
	v_dot2_f32_f16 v59, v62, v70, v59
	;;#ASMEND
	;;#ASMSTART
	v_dot2_f32_f16 v59, v63, v71, v59
	;;#ASMEND
	;;#ASMSTART
	v_dot2_f32_f16 v59, v64, v72, v59
	;;#ASMEND
	s_waitcnt lgkmcnt(1)
	;;#ASMSTART
	v_dot2_f32_f16 v58, v61, v73, v58
	;;#ASMEND
	;;#ASMSTART
	v_dot2_f32_f16 v58, v62, v74, v58
	;;#ASMEND
	;;#ASMSTART
	v_dot2_f32_f16 v58, v63, v75, v58
	;;#ASMEND
	;;#ASMSTART
	v_dot2_f32_f16 v58, v64, v76, v58
	;;#ASMEND
	s_waitcnt lgkmcnt(0)
	;;#ASMSTART
	v_dot2_f32_f16 v57, v61, v77, v57
	;;#ASMEND
	;;#ASMSTART
	v_dot2_f32_f16 v57, v62, v78, v57
	;;#ASMEND
	;;#ASMSTART
	v_dot2_f32_f16 v57, v63, v79, v57
	;;#ASMEND
	;;#ASMSTART
	v_dot2_f32_f16 v57, v64, v80, v57
	;;#ASMEND
	ds_read_b128 v[61:64], v22 offset:128
	ds_read_b128 v[65:68], v18 offset:128
	ds_read_b128 v[69:72], v18 offset:640
	ds_read_b128 v[73:76], v18 offset:1152
	ds_read_b128 v[77:80], v18 offset:1664
	s_waitcnt lgkmcnt(3)
	;;#ASMSTART
	v_dot2_f32_f16 v60, v61, v65, v60
	;;#ASMEND
	;;#ASMSTART
	v_dot2_f32_f16 v60, v62, v66, v60
	;;#ASMEND
	;;#ASMSTART
	v_dot2_f32_f16 v60, v63, v67, v60
	;;#ASMEND
	;;#ASMSTART
	v_dot2_f32_f16 v60, v64, v68, v60
	;;#ASMEND
	s_waitcnt lgkmcnt(2)
	;;#ASMSTART
	v_dot2_f32_f16 v59, v61, v69, v59
	;;#ASMEND
	;;#ASMSTART
	v_dot2_f32_f16 v59, v62, v70, v59
	;;#ASMEND
	;;#ASMSTART
	v_dot2_f32_f16 v59, v63, v71, v59
	;;#ASMEND
	;;#ASMSTART
	v_dot2_f32_f16 v59, v64, v72, v59
	;;#ASMEND
	s_waitcnt lgkmcnt(1)
	;;#ASMSTART
	v_dot2_f32_f16 v58, v61, v73, v58
	;;#ASMEND
	;;#ASMSTART
	v_dot2_f32_f16 v58, v62, v74, v58
	;;#ASMEND
	;;#ASMSTART
	v_dot2_f32_f16 v58, v63, v75, v58
	;;#ASMEND
	;;#ASMSTART
	v_dot2_f32_f16 v58, v64, v76, v58
	;;#ASMEND
	s_waitcnt lgkmcnt(0)
	;;#ASMSTART
	v_dot2_f32_f16 v57, v61, v77, v57
	;;#ASMEND
	;;#ASMSTART
	v_dot2_f32_f16 v57, v62, v78, v57
	;;#ASMEND
	;;#ASMSTART
	v_dot2_f32_f16 v57, v63, v79, v57
	;;#ASMEND
	;;#ASMSTART
	v_dot2_f32_f16 v57, v64, v80, v57
	;;#ASMEND
	ds_read_b128 v[61:64], v22 offset:144
	ds_read_b128 v[65:68], v18 offset:144
	ds_read_b128 v[69:72], v18 offset:656
	ds_read_b128 v[73:76], v18 offset:1168
	ds_read_b128 v[77:80], v18 offset:1680
	s_waitcnt lgkmcnt(3)
	;;#ASMSTART
	v_dot2_f32_f16 v60, v61, v65, v60
	;;#ASMEND
	;;#ASMSTART
	v_dot2_f32_f16 v60, v62, v66, v60
	;;#ASMEND
	;;#ASMSTART
	v_dot2_f32_f16 v60, v63, v67, v60
	;;#ASMEND
	;;#ASMSTART
	v_dot2_f32_f16 v60, v64, v68, v60
	;;#ASMEND
	s_waitcnt lgkmcnt(2)
	;;#ASMSTART
	v_dot2_f32_f16 v59, v61, v69, v59
	;;#ASMEND
	;;#ASMSTART
	v_dot2_f32_f16 v59, v62, v70, v59
	;;#ASMEND
	;;#ASMSTART
	v_dot2_f32_f16 v59, v63, v71, v59
	;;#ASMEND
	;;#ASMSTART
	v_dot2_f32_f16 v59, v64, v72, v59
	;;#ASMEND
	s_waitcnt lgkmcnt(1)
	;;#ASMSTART
	v_dot2_f32_f16 v58, v61, v73, v58
	;;#ASMEND
	;;#ASMSTART
	v_dot2_f32_f16 v58, v62, v74, v58
	;;#ASMEND
	;;#ASMSTART
	v_dot2_f32_f16 v58, v63, v75, v58
	;;#ASMEND
	;;#ASMSTART
	v_dot2_f32_f16 v58, v64, v76, v58
	;;#ASMEND
	s_waitcnt lgkmcnt(0)
	;;#ASMSTART
	v_dot2_f32_f16 v57, v61, v77, v57
	;;#ASMEND
	;;#ASMSTART
	v_dot2_f32_f16 v57, v62, v78, v57
	;;#ASMEND
	;;#ASMSTART
	v_dot2_f32_f16 v57, v63, v79, v57
	;;#ASMEND
	;;#ASMSTART
	v_dot2_f32_f16 v57, v64, v80, v57
	;;#ASMEND
	ds_read_b128 v[61:64], v22 offset:160
	ds_read_b128 v[65:68], v18 offset:160
	ds_read_b128 v[69:72], v18 offset:672
	ds_read_b128 v[73:76], v18 offset:1184
	ds_read_b128 v[77:80], v18 offset:1696
	s_waitcnt lgkmcnt(3)
	;;#ASMSTART
	v_dot2_f32_f16 v60, v61, v65, v60
	;;#ASMEND
	;;#ASMSTART
	v_dot2_f32_f16 v60, v62, v66, v60
	;;#ASMEND
	;;#ASMSTART
	v_dot2_f32_f16 v60, v63, v67, v60
	;;#ASMEND
	;;#ASMSTART
	v_dot2_f32_f16 v60, v64, v68, v60
	;;#ASMEND
	s_waitcnt lgkmcnt(2)
	;;#ASMSTART
	v_dot2_f32_f16 v59, v61, v69, v59
	;;#ASMEND
	;;#ASMSTART
	v_dot2_f32_f16 v59, v62, v70, v59
	;;#ASMEND
	;;#ASMSTART
	v_dot2_f32_f16 v59, v63, v71, v59
	;;#ASMEND
	;;#ASMSTART
	v_dot2_f32_f16 v59, v64, v72, v59
	;;#ASMEND
	s_waitcnt lgkmcnt(1)
	;;#ASMSTART
	v_dot2_f32_f16 v58, v61, v73, v58
	;;#ASMEND
	;;#ASMSTART
	v_dot2_f32_f16 v58, v62, v74, v58
	;;#ASMEND
	;;#ASMSTART
	v_dot2_f32_f16 v58, v63, v75, v58
	;;#ASMEND
	;;#ASMSTART
	v_dot2_f32_f16 v58, v64, v76, v58
	;;#ASMEND
	s_waitcnt lgkmcnt(0)
	;;#ASMSTART
	v_dot2_f32_f16 v57, v61, v77, v57
	;;#ASMEND
	;;#ASMSTART
	v_dot2_f32_f16 v57, v62, v78, v57
	;;#ASMEND
	;;#ASMSTART
	v_dot2_f32_f16 v57, v63, v79, v57
	;;#ASMEND
	;;#ASMSTART
	v_dot2_f32_f16 v57, v64, v80, v57
	;;#ASMEND
	ds_read_b128 v[61:64], v22 offset:176
	ds_read_b128 v[65:68], v18 offset:176
	ds_read_b128 v[69:72], v18 offset:688
	ds_read_b128 v[73:76], v18 offset:1200
	ds_read_b128 v[77:80], v18 offset:1712
	s_waitcnt lgkmcnt(3)
	;;#ASMSTART
	v_dot2_f32_f16 v60, v61, v65, v60
	;;#ASMEND
	;;#ASMSTART
	v_dot2_f32_f16 v60, v62, v66, v60
	;;#ASMEND
	;;#ASMSTART
	v_dot2_f32_f16 v60, v63, v67, v60
	;;#ASMEND
	;;#ASMSTART
	v_dot2_f32_f16 v60, v64, v68, v60
	;;#ASMEND
	s_waitcnt lgkmcnt(2)
	;;#ASMSTART
	v_dot2_f32_f16 v59, v61, v69, v59
	;;#ASMEND
	;;#ASMSTART
	v_dot2_f32_f16 v59, v62, v70, v59
	;;#ASMEND
	;;#ASMSTART
	v_dot2_f32_f16 v59, v63, v71, v59
	;;#ASMEND
	;;#ASMSTART
	v_dot2_f32_f16 v59, v64, v72, v59
	;;#ASMEND
	s_waitcnt lgkmcnt(1)
	;;#ASMSTART
	v_dot2_f32_f16 v58, v61, v73, v58
	;;#ASMEND
	;;#ASMSTART
	v_dot2_f32_f16 v58, v62, v74, v58
	;;#ASMEND
	;;#ASMSTART
	v_dot2_f32_f16 v58, v63, v75, v58
	;;#ASMEND
	;;#ASMSTART
	v_dot2_f32_f16 v58, v64, v76, v58
	;;#ASMEND
	s_waitcnt lgkmcnt(0)
	;;#ASMSTART
	v_dot2_f32_f16 v57, v61, v77, v57
	;;#ASMEND
	;;#ASMSTART
	v_dot2_f32_f16 v57, v62, v78, v57
	;;#ASMEND
	;;#ASMSTART
	v_dot2_f32_f16 v57, v63, v79, v57
	;;#ASMEND
	;;#ASMSTART
	v_dot2_f32_f16 v57, v64, v80, v57
	;;#ASMEND
	ds_read_b128 v[61:64], v22 offset:192
	ds_read_b128 v[65:68], v18 offset:192
	ds_read_b128 v[69:72], v18 offset:704
	ds_read_b128 v[73:76], v18 offset:1216
	ds_read_b128 v[77:80], v18 offset:1728
	s_waitcnt lgkmcnt(3)
	;;#ASMSTART
	v_dot2_f32_f16 v60, v61, v65, v60
	;;#ASMEND
	;;#ASMSTART
	v_dot2_f32_f16 v60, v62, v66, v60
	;;#ASMEND
	;;#ASMSTART
	v_dot2_f32_f16 v60, v63, v67, v60
	;;#ASMEND
	;;#ASMSTART
	v_dot2_f32_f16 v60, v64, v68, v60
	;;#ASMEND
	s_waitcnt lgkmcnt(2)
	;;#ASMSTART
	v_dot2_f32_f16 v59, v61, v69, v59
	;;#ASMEND
	;;#ASMSTART
	v_dot2_f32_f16 v59, v62, v70, v59
	;;#ASMEND
	;;#ASMSTART
	v_dot2_f32_f16 v59, v63, v71, v59
	;;#ASMEND
	;;#ASMSTART
	v_dot2_f32_f16 v59, v64, v72, v59
	;;#ASMEND
	s_waitcnt lgkmcnt(1)
	;;#ASMSTART
	v_dot2_f32_f16 v58, v61, v73, v58
	;;#ASMEND
	;;#ASMSTART
	v_dot2_f32_f16 v58, v62, v74, v58
	;;#ASMEND
	;;#ASMSTART
	v_dot2_f32_f16 v58, v63, v75, v58
	;;#ASMEND
	;;#ASMSTART
	v_dot2_f32_f16 v58, v64, v76, v58
	;;#ASMEND
	s_waitcnt lgkmcnt(0)
	;;#ASMSTART
	v_dot2_f32_f16 v57, v61, v77, v57
	;;#ASMEND
	;;#ASMSTART
	v_dot2_f32_f16 v57, v62, v78, v57
	;;#ASMEND
	;;#ASMSTART
	v_dot2_f32_f16 v57, v63, v79, v57
	;;#ASMEND
	;;#ASMSTART
	v_dot2_f32_f16 v57, v64, v80, v57
	;;#ASMEND
	ds_read_b128 v[61:64], v22 offset:208
	ds_read_b128 v[65:68], v18 offset:208
	ds_read_b128 v[69:72], v18 offset:720
	ds_read_b128 v[73:76], v18 offset:1232
	ds_read_b128 v[77:80], v18 offset:1744
	s_waitcnt lgkmcnt(3)
	;;#ASMSTART
	v_dot2_f32_f16 v60, v61, v65, v60
	;;#ASMEND
	;;#ASMSTART
	v_dot2_f32_f16 v60, v62, v66, v60
	;;#ASMEND
	;;#ASMSTART
	v_dot2_f32_f16 v60, v63, v67, v60
	;;#ASMEND
	;;#ASMSTART
	v_dot2_f32_f16 v60, v64, v68, v60
	;;#ASMEND
	s_waitcnt lgkmcnt(2)
	;;#ASMSTART
	v_dot2_f32_f16 v59, v61, v69, v59
	;;#ASMEND
	;;#ASMSTART
	v_dot2_f32_f16 v59, v62, v70, v59
	;;#ASMEND
	;;#ASMSTART
	v_dot2_f32_f16 v59, v63, v71, v59
	;;#ASMEND
	;;#ASMSTART
	v_dot2_f32_f16 v59, v64, v72, v59
	;;#ASMEND
	s_waitcnt lgkmcnt(1)
	;;#ASMSTART
	v_dot2_f32_f16 v58, v61, v73, v58
	;;#ASMEND
	;;#ASMSTART
	v_dot2_f32_f16 v58, v62, v74, v58
	;;#ASMEND
	;;#ASMSTART
	v_dot2_f32_f16 v58, v63, v75, v58
	;;#ASMEND
	;;#ASMSTART
	v_dot2_f32_f16 v58, v64, v76, v58
	;;#ASMEND
	s_waitcnt lgkmcnt(0)
	;;#ASMSTART
	v_dot2_f32_f16 v57, v61, v77, v57
	;;#ASMEND
	;;#ASMSTART
	v_dot2_f32_f16 v57, v62, v78, v57
	;;#ASMEND
	;;#ASMSTART
	v_dot2_f32_f16 v57, v63, v79, v57
	;;#ASMEND
	;;#ASMSTART
	v_dot2_f32_f16 v57, v64, v80, v57
	;;#ASMEND
	ds_read_b128 v[61:64], v22 offset:224
	ds_read_b128 v[65:68], v18 offset:224
	ds_read_b128 v[69:72], v18 offset:736
	ds_read_b128 v[73:76], v18 offset:1248
	ds_read_b128 v[77:80], v18 offset:1760
	s_waitcnt lgkmcnt(3)
	;;#ASMSTART
	v_dot2_f32_f16 v60, v61, v65, v60
	;;#ASMEND
	;;#ASMSTART
	v_dot2_f32_f16 v60, v62, v66, v60
	;;#ASMEND
	;;#ASMSTART
	v_dot2_f32_f16 v60, v63, v67, v60
	;;#ASMEND
	;;#ASMSTART
	v_dot2_f32_f16 v60, v64, v68, v60
	;;#ASMEND
	s_waitcnt lgkmcnt(2)
	;;#ASMSTART
	v_dot2_f32_f16 v59, v61, v69, v59
	;;#ASMEND
	;;#ASMSTART
	v_dot2_f32_f16 v59, v62, v70, v59
	;;#ASMEND
	;;#ASMSTART
	v_dot2_f32_f16 v59, v63, v71, v59
	;;#ASMEND
	;;#ASMSTART
	v_dot2_f32_f16 v59, v64, v72, v59
	;;#ASMEND
	s_waitcnt lgkmcnt(1)
	;;#ASMSTART
	v_dot2_f32_f16 v58, v61, v73, v58
	;;#ASMEND
	;;#ASMSTART
	v_dot2_f32_f16 v58, v62, v74, v58
	;;#ASMEND
	;;#ASMSTART
	v_dot2_f32_f16 v58, v63, v75, v58
	;;#ASMEND
	;;#ASMSTART
	v_dot2_f32_f16 v58, v64, v76, v58
	;;#ASMEND
	s_waitcnt lgkmcnt(0)
	;;#ASMSTART
	v_dot2_f32_f16 v57, v61, v77, v57
	;;#ASMEND
	;;#ASMSTART
	v_dot2_f32_f16 v57, v62, v78, v57
	;;#ASMEND
	;;#ASMSTART
	v_dot2_f32_f16 v57, v63, v79, v57
	;;#ASMEND
	;;#ASMSTART
	v_dot2_f32_f16 v57, v64, v80, v57
	;;#ASMEND
	ds_read_b128 v[61:64], v22 offset:240
	ds_read_b128 v[65:68], v18 offset:240
	ds_read_b128 v[69:72], v18 offset:752
	ds_read_b128 v[73:76], v18 offset:1264
	;; [unrolled: 1-line block ×3, first 2 shown]
	s_waitcnt lgkmcnt(3)
	;;#ASMSTART
	v_dot2_f32_f16 v60, v61, v65, v60
	;;#ASMEND
	;;#ASMSTART
	v_dot2_f32_f16 v60, v62, v66, v60
	;;#ASMEND
	;;#ASMSTART
	v_dot2_f32_f16 v60, v63, v67, v60
	;;#ASMEND
	;;#ASMSTART
	v_dot2_f32_f16 v60, v64, v68, v60
	;;#ASMEND
	s_waitcnt lgkmcnt(2)
	;;#ASMSTART
	v_dot2_f32_f16 v59, v61, v69, v59
	;;#ASMEND
	;;#ASMSTART
	v_dot2_f32_f16 v59, v62, v70, v59
	;;#ASMEND
	;;#ASMSTART
	v_dot2_f32_f16 v59, v63, v71, v59
	;;#ASMEND
	;;#ASMSTART
	v_dot2_f32_f16 v59, v64, v72, v59
	;;#ASMEND
	;; [unrolled: 13-line block ×4, first 2 shown]
	s_barrier
	global_load_dwordx4 v[61:64], v[1:2], off offset:256
	s_nop 0
	global_load_dwordx4 v[1:4], v[3:4], off offset:256
	s_waitcnt vmcnt(1)
	ds_write_b128 v20, v[61:64]
	s_waitcnt vmcnt(0)
	ds_write_b128 v21, v[1:4]
	s_waitcnt lgkmcnt(0)
	s_barrier
	ds_read_b128 v[1:4], v22
	ds_read_b128 v[61:64], v18 offset:256
	ds_read_b128 v[65:68], v18 offset:768
	ds_read_b128 v[69:72], v18 offset:1280
	ds_read_b128 v[73:76], v18 offset:1792
	s_waitcnt lgkmcnt(3)
	;;#ASMSTART
	v_dot2_f32_f16 v60, v1, v61, v60
	;;#ASMEND
	;;#ASMSTART
	v_dot2_f32_f16 v60, v2, v62, v60
	;;#ASMEND
	;;#ASMSTART
	v_dot2_f32_f16 v60, v3, v63, v60
	;;#ASMEND
	;;#ASMSTART
	v_dot2_f32_f16 v60, v4, v64, v60
	;;#ASMEND
	s_waitcnt lgkmcnt(2)
	;;#ASMSTART
	v_dot2_f32_f16 v59, v1, v65, v59
	;;#ASMEND
	;;#ASMSTART
	v_dot2_f32_f16 v59, v2, v66, v59
	;;#ASMEND
	;;#ASMSTART
	v_dot2_f32_f16 v59, v3, v67, v59
	;;#ASMEND
	;;#ASMSTART
	v_dot2_f32_f16 v59, v4, v68, v59
	;;#ASMEND
	s_waitcnt lgkmcnt(1)
	;;#ASMSTART
	v_dot2_f32_f16 v58, v1, v69, v58
	;;#ASMEND
	;;#ASMSTART
	v_dot2_f32_f16 v58, v2, v70, v58
	;;#ASMEND
	;;#ASMSTART
	v_dot2_f32_f16 v58, v3, v71, v58
	;;#ASMEND
	;;#ASMSTART
	v_dot2_f32_f16 v58, v4, v72, v58
	;;#ASMEND
	s_waitcnt lgkmcnt(0)
	;;#ASMSTART
	v_dot2_f32_f16 v57, v1, v73, v57
	;;#ASMEND
	;;#ASMSTART
	v_dot2_f32_f16 v57, v2, v74, v57
	;;#ASMEND
	;;#ASMSTART
	v_dot2_f32_f16 v57, v3, v75, v57
	;;#ASMEND
	;;#ASMSTART
	v_dot2_f32_f16 v57, v4, v76, v57
	;;#ASMEND
	ds_read_b128 v[1:4], v22 offset:16
	ds_read_b128 v[61:64], v18 offset:272
	ds_read_b128 v[65:68], v18 offset:784
	ds_read_b128 v[69:72], v18 offset:1296
	ds_read_b128 v[73:76], v18 offset:1808
	s_waitcnt lgkmcnt(3)
	;;#ASMSTART
	v_dot2_f32_f16 v60, v1, v61, v60
	;;#ASMEND
	;;#ASMSTART
	v_dot2_f32_f16 v60, v2, v62, v60
	;;#ASMEND
	;;#ASMSTART
	v_dot2_f32_f16 v60, v3, v63, v60
	;;#ASMEND
	;;#ASMSTART
	v_dot2_f32_f16 v60, v4, v64, v60
	;;#ASMEND
	s_waitcnt lgkmcnt(2)
	;;#ASMSTART
	v_dot2_f32_f16 v59, v1, v65, v59
	;;#ASMEND
	;;#ASMSTART
	v_dot2_f32_f16 v59, v2, v66, v59
	;;#ASMEND
	;;#ASMSTART
	v_dot2_f32_f16 v59, v3, v67, v59
	;;#ASMEND
	;;#ASMSTART
	v_dot2_f32_f16 v59, v4, v68, v59
	;;#ASMEND
	s_waitcnt lgkmcnt(1)
	;;#ASMSTART
	v_dot2_f32_f16 v58, v1, v69, v58
	;;#ASMEND
	;;#ASMSTART
	v_dot2_f32_f16 v58, v2, v70, v58
	;;#ASMEND
	;;#ASMSTART
	v_dot2_f32_f16 v58, v3, v71, v58
	;;#ASMEND
	;;#ASMSTART
	v_dot2_f32_f16 v58, v4, v72, v58
	;;#ASMEND
	s_waitcnt lgkmcnt(0)
	;;#ASMSTART
	v_dot2_f32_f16 v57, v1, v73, v57
	;;#ASMEND
	;;#ASMSTART
	v_dot2_f32_f16 v57, v2, v74, v57
	;;#ASMEND
	;;#ASMSTART
	v_dot2_f32_f16 v57, v3, v75, v57
	;;#ASMEND
	;;#ASMSTART
	v_dot2_f32_f16 v57, v4, v76, v57
	;;#ASMEND
	ds_read_b128 v[1:4], v22 offset:32
	;; [unrolled: 57-line block ×15, first 2 shown]
	ds_read_b128 v[61:64], v18 offset:496
	ds_read_b128 v[65:68], v18 offset:1008
	;; [unrolled: 1-line block ×4, first 2 shown]
	s_waitcnt lgkmcnt(3)
	;;#ASMSTART
	v_dot2_f32_f16 v60, v1, v61, v60
	;;#ASMEND
	;;#ASMSTART
	v_dot2_f32_f16 v60, v2, v62, v60
	;;#ASMEND
	;;#ASMSTART
	v_dot2_f32_f16 v60, v3, v63, v60
	;;#ASMEND
	;;#ASMSTART
	v_dot2_f32_f16 v60, v4, v64, v60
	;;#ASMEND
	s_waitcnt lgkmcnt(2)
	;;#ASMSTART
	v_dot2_f32_f16 v59, v1, v65, v59
	;;#ASMEND
	;;#ASMSTART
	v_dot2_f32_f16 v59, v2, v66, v59
	;;#ASMEND
	;;#ASMSTART
	v_dot2_f32_f16 v59, v3, v67, v59
	;;#ASMEND
	;;#ASMSTART
	v_dot2_f32_f16 v59, v4, v68, v59
	;;#ASMEND
	;; [unrolled: 13-line block ×3, first 2 shown]
	s_waitcnt lgkmcnt(0)
	;;#ASMSTART
	v_dot2_f32_f16 v57, v1, v73, v57
	;;#ASMEND
	v_add_u32_e32 v1, s6, v5
	;;#ASMSTART
	v_dot2_f32_f16 v57, v2, v74, v57
	;;#ASMEND
	v_ashrrev_i32_e32 v2, 31, v1
	v_lshlrev_b64 v[1:2], 1, v[1:2]
	;;#ASMSTART
	v_dot2_f32_f16 v57, v3, v75, v57
	;;#ASMEND
	v_add_co_u32_e32 v1, vcc, s30, v1
	v_addc_co_u32_e32 v2, vcc, v28, v2, vcc
	;;#ASMSTART
	v_dot2_f32_f16 v57, v4, v76, v57
	;;#ASMEND
	global_load_ushort v66, v[1:2], off
	v_cmp_nlt_f32_e64 s[8:9], |v60|, s19
                                        ; implicit-def: $vgpr2
	s_and_saveexec_b64 s[34:35], s[8:9]
	s_xor_b64 s[8:9], exec, s[34:35]
	s_cbranch_execz .LBB58_14
; %bb.13:                               ;   in Loop: Header=BB58_12 Depth=1
	v_add_f32_e64 v1, |v60|, |v60|
	v_mul_f32_e32 v2, 0x3fb8aa3b, v1
	v_rndne_f32_e32 v3, v2
	v_sub_f32_e32 v4, v2, v3
	v_fma_f32 v2, v1, s24, -v2
	v_fmac_f32_e32 v2, 0x32a5705f, v1
	v_add_f32_e32 v2, v4, v2
	v_cvt_i32_f32_e32 v3, v3
	v_exp_f32_e32 v2, v2
	v_cmp_ngt_f32_e32 vcc, s25, v1
	v_ldexp_f32 v2, v2, v3
	v_cndmask_b32_e32 v2, 0, v2, vcc
	v_cmp_nlt_f32_e32 vcc, s26, v1
	v_cndmask_b32_e32 v1, v32, v2, vcc
	v_add_f32_e32 v1, 1.0, v1
	v_rcp_f32_e32 v1, v1
	v_fma_f32 v2, v1, -2.0, 1.0
.LBB58_14:                              ;   in Loop: Header=BB58_12 Depth=1
	s_andn2_saveexec_b64 s[8:9], s[8:9]
; %bb.15:                               ;   in Loop: Header=BB58_12 Depth=1
	v_mul_f32_e32 v1, v60, v60
	v_mov_b32_e32 v2, 0x3ca908c9
	v_fmac_f32_e32 v2, 0xbbbac73d, v1
	v_fma_f32 v2, v1, v2, v29
	v_fma_f32 v2, v1, v2, v30
	;; [unrolled: 1-line block ×3, first 2 shown]
	v_mul_f32_e64 v2, |v60|, v2
	v_fma_f32 v2, v1, v2, |v60|
; %bb.16:                               ;   in Loop: Header=BB58_12 Depth=1
	s_or_b64 exec, exec, s[8:9]
	v_and_b32_e32 v1, 0x60, v19
	v_add_u32_e32 v61, 32, v1
	v_xor_b32_e32 v62, 16, v19
	v_bfi_b32 v2, s27, v2, v60
	v_cmp_lt_i32_e32 vcc, v62, v61
	s_waitcnt vmcnt(0)
	v_fma_mix_f32 v67, s14, v2, v66 op_sel_hi:[0,0,1]
	v_cndmask_b32_e32 v1, v19, v62, vcc
	v_add_f32_e32 v2, 0x40051340, v67
	v_max_f32_e32 v3, v56, v56
	v_lshlrev_b32_e32 v1, 2, v1
	v_max_f32_e32 v2, v3, v2
	ds_bpermute_b32 v4, v1, v2
	v_xor_b32_e32 v60, 8, v19
	v_cmp_lt_i32_e32 vcc, v60, v61
	v_cndmask_b32_e32 v3, v19, v60, vcc
	v_lshlrev_b32_e32 v3, 2, v3
	s_waitcnt lgkmcnt(0)
	v_max_f32_e32 v4, v4, v4
	v_max_f32_e32 v4, v2, v4
	ds_bpermute_b32 v64, v3, v4
	v_xor_b32_e32 v63, 4, v19
	v_cmp_lt_i32_e32 vcc, v63, v61
	v_cndmask_b32_e32 v2, v19, v63, vcc
	v_lshlrev_b32_e32 v2, 2, v2
	s_waitcnt lgkmcnt(0)
	v_max_f32_e32 v64, v64, v64
	;; [unrolled: 8-line block ×4, first 2 shown]
	v_max_f32_e32 v70, v68, v70
	ds_bpermute_b32 v71, v4, v70
	v_cmp_nlt_f32_e64 s[8:9], |v59|, s19
                                        ; implicit-def: $vgpr68
	s_and_saveexec_b64 s[34:35], s[8:9]
	s_xor_b64 s[8:9], exec, s[34:35]
	s_cbranch_execz .LBB58_18
; %bb.17:                               ;   in Loop: Header=BB58_12 Depth=1
	v_add_f32_e64 v68, |v59|, |v59|
	v_mul_f32_e32 v72, 0x3fb8aa3b, v68
	v_rndne_f32_e32 v73, v72
	v_sub_f32_e32 v74, v72, v73
	v_fma_f32 v72, v68, s24, -v72
	v_fmac_f32_e32 v72, 0x32a5705f, v68
	v_add_f32_e32 v72, v74, v72
	v_cvt_i32_f32_e32 v73, v73
	v_exp_f32_e32 v72, v72
	v_cmp_ngt_f32_e32 vcc, s25, v68
	v_ldexp_f32 v72, v72, v73
	v_cndmask_b32_e32 v72, 0, v72, vcc
	v_cmp_nlt_f32_e32 vcc, s26, v68
	v_cndmask_b32_e32 v68, v32, v72, vcc
	v_add_f32_e32 v68, 1.0, v68
	v_rcp_f32_e32 v68, v68
	v_fma_f32 v68, v68, -2.0, 1.0
.LBB58_18:                              ;   in Loop: Header=BB58_12 Depth=1
	s_andn2_saveexec_b64 s[8:9], s[8:9]
; %bb.19:                               ;   in Loop: Header=BB58_12 Depth=1
	v_mul_f32_e32 v68, v59, v59
	v_mov_b32_e32 v72, 0x3ca908c9
	v_fmac_f32_e32 v72, 0xbbbac73d, v68
	v_fma_f32 v72, v68, v72, v29
	v_fma_f32 v72, v68, v72, v30
	;; [unrolled: 1-line block ×3, first 2 shown]
	v_mul_f32_e64 v72, |v59|, v72
	v_fma_f32 v68, v68, v72, |v59|
; %bb.20:                               ;   in Loop: Header=BB58_12 Depth=1
	s_or_b64 exec, exec, s[8:9]
	v_cvt_f32_f16_e32 v66, v66
	v_bfi_b32 v59, s27, v68, v59
	v_max_f32_e32 v72, v54, v54
	v_cmp_nlt_f32_e64 s[8:9], |v58|, s19
	v_fma_f32 v68, s14, v59, v66
	v_add_f32_e32 v59, 0x40051340, v68
	v_max_f32_e32 v59, v72, v59
	ds_bpermute_b32 v72, v1, v59
	s_waitcnt lgkmcnt(0)
	v_max_f32_e32 v72, v72, v72
	v_max_f32_e32 v59, v59, v72
	ds_bpermute_b32 v72, v3, v59
	s_waitcnt lgkmcnt(0)
	v_max_f32_e32 v72, v72, v72
	;; [unrolled: 4-line block ×4, first 2 shown]
	v_max_f32_e32 v72, v59, v72
	ds_bpermute_b32 v73, v4, v72
                                        ; implicit-def: $vgpr59
	s_and_saveexec_b64 s[34:35], s[8:9]
	s_xor_b64 s[8:9], exec, s[34:35]
	s_cbranch_execz .LBB58_22
; %bb.21:                               ;   in Loop: Header=BB58_12 Depth=1
	v_add_f32_e64 v59, |v58|, |v58|
	v_mul_f32_e32 v74, 0x3fb8aa3b, v59
	v_rndne_f32_e32 v75, v74
	v_sub_f32_e32 v76, v74, v75
	v_fma_f32 v74, v59, s24, -v74
	v_fmac_f32_e32 v74, 0x32a5705f, v59
	v_add_f32_e32 v74, v76, v74
	v_cvt_i32_f32_e32 v75, v75
	v_exp_f32_e32 v74, v74
	v_cmp_ngt_f32_e32 vcc, s25, v59
	v_ldexp_f32 v74, v74, v75
	v_cndmask_b32_e32 v74, 0, v74, vcc
	v_cmp_nlt_f32_e32 vcc, s26, v59
	v_cndmask_b32_e32 v59, v32, v74, vcc
	v_add_f32_e32 v59, 1.0, v59
	v_rcp_f32_e32 v59, v59
	v_fma_f32 v59, v59, -2.0, 1.0
.LBB58_22:                              ;   in Loop: Header=BB58_12 Depth=1
	s_andn2_saveexec_b64 s[8:9], s[8:9]
; %bb.23:                               ;   in Loop: Header=BB58_12 Depth=1
	v_mul_f32_e32 v59, v58, v58
	v_mov_b32_e32 v74, 0x3ca908c9
	v_fmac_f32_e32 v74, 0xbbbac73d, v59
	v_fma_f32 v74, v59, v74, v29
	v_fma_f32 v74, v59, v74, v30
	;; [unrolled: 1-line block ×3, first 2 shown]
	v_mul_f32_e64 v74, |v58|, v74
	v_fma_f32 v59, v59, v74, |v58|
; %bb.24:                               ;   in Loop: Header=BB58_12 Depth=1
	s_or_b64 exec, exec, s[8:9]
	v_bfi_b32 v58, s27, v59, v58
	v_fma_f32 v59, s14, v58, v66
	v_add_f32_e32 v58, 0x40051340, v59
	v_max_f32_e32 v74, v52, v52
	v_max_f32_e32 v58, v74, v58
	ds_bpermute_b32 v74, v1, v58
	v_cmp_nlt_f32_e64 s[8:9], |v57|, s19
                                        ; implicit-def: $vgpr75
	s_waitcnt lgkmcnt(0)
	v_max_f32_e32 v74, v74, v74
	v_max_f32_e32 v58, v58, v74
	ds_bpermute_b32 v74, v3, v58
	s_waitcnt lgkmcnt(0)
	v_max_f32_e32 v74, v74, v74
	v_max_f32_e32 v58, v58, v74
	ds_bpermute_b32 v74, v2, v58
	;; [unrolled: 4-line block ×4, first 2 shown]
	s_and_saveexec_b64 s[34:35], s[8:9]
	s_xor_b64 s[8:9], exec, s[34:35]
	s_cbranch_execz .LBB58_26
; %bb.25:                               ;   in Loop: Header=BB58_12 Depth=1
	v_add_f32_e64 v75, |v57|, |v57|
	v_mul_f32_e32 v76, 0x3fb8aa3b, v75
	v_rndne_f32_e32 v77, v76
	v_sub_f32_e32 v78, v76, v77
	v_fma_f32 v76, v75, s24, -v76
	v_fmac_f32_e32 v76, 0x32a5705f, v75
	v_add_f32_e32 v76, v78, v76
	v_cvt_i32_f32_e32 v77, v77
	v_exp_f32_e32 v76, v76
	v_cmp_ngt_f32_e32 vcc, s25, v75
	v_ldexp_f32 v76, v76, v77
	v_cndmask_b32_e32 v76, 0, v76, vcc
	v_cmp_nlt_f32_e32 vcc, s26, v75
	v_cndmask_b32_e32 v75, v32, v76, vcc
	v_add_f32_e32 v75, 1.0, v75
	v_rcp_f32_e32 v75, v75
	v_fma_f32 v75, v75, -2.0, 1.0
.LBB58_26:                              ;   in Loop: Header=BB58_12 Depth=1
	s_andn2_saveexec_b64 s[8:9], s[8:9]
; %bb.27:                               ;   in Loop: Header=BB58_12 Depth=1
	v_mul_f32_e32 v75, v57, v57
	v_mov_b32_e32 v76, 0x3ca908c9
	v_fmac_f32_e32 v76, 0xbbbac73d, v75
	v_fma_f32 v76, v75, v76, v29
	v_fma_f32 v76, v75, v76, v30
	;; [unrolled: 1-line block ×3, first 2 shown]
	v_mul_f32_e64 v76, |v57|, v76
	v_fma_f32 v75, v75, v76, |v57|
; %bb.28:                               ;   in Loop: Header=BB58_12 Depth=1
	s_or_b64 exec, exec, s[8:9]
	v_bfi_b32 v57, s27, v75, v57
	v_fmac_f32_e32 v66, s14, v57
	v_add_f32_e32 v57, 0x40051340, v66
	v_max_f32_e32 v75, v50, v50
	v_max_f32_e32 v57, v75, v57
	ds_bpermute_b32 v1, v1, v57
	v_max_f32_e32 v73, v73, v73
	s_waitcnt lgkmcnt(1)
	v_max_f32_e32 v74, v74, v74
	v_max_f32_e32 v58, v58, v58
	;; [unrolled: 1-line block ×3, first 2 shown]
	s_waitcnt lgkmcnt(0)
	v_max_f32_e32 v1, v1, v1
	v_max_f32_e32 v1, v57, v1
	ds_bpermute_b32 v3, v3, v1
	v_max_f32_e32 v57, v72, v72
	v_max_f32_e32 v70, v70, v70
	s_mul_hi_i32 s9, s6, s15
	s_mul_i32 s8, s6, s15
	s_waitcnt lgkmcnt(0)
	v_max_f32_e32 v3, v3, v3
	v_max_f32_e32 v72, v1, v3
	ds_bpermute_b32 v75, v2, v72
	v_max_f32_e32 v2, v57, v73
	v_max_f32_e32 v3, v58, v74
	;; [unrolled: 1-line block ×3, first 2 shown]
	v_sub_f32_e32 v56, v56, v1
	s_waitcnt lgkmcnt(0)
	v_max_f32_e32 v57, v75, v75
	v_max_f32_e32 v57, v72, v57
	ds_bpermute_b32 v58, v69, v57
	v_mul_f32_e32 v69, 0x3fb8aa3b, v56
	v_fma_f32 v70, v56, s24, -v69
	v_rndne_f32_e32 v71, v69
	v_fmac_f32_e32 v70, 0x32a5705f, v56
	s_waitcnt lgkmcnt(0)
	v_max_f32_e32 v58, v58, v58
	v_max_f32_e32 v57, v57, v58
	ds_bpermute_b32 v4, v4, v57
	v_sub_f32_e32 v58, v69, v71
	v_add_f32_e32 v58, v58, v70
	v_cvt_i32_f32_e32 v69, v71
	v_exp_f32_e32 v58, v58
	s_waitcnt lgkmcnt(0)
	v_max_f32_e32 v4, v4, v4
	v_max_f32_e32 v4, v57, v4
	v_cmp_ngt_f32_e32 vcc, s25, v56
	v_ldexp_f32 v57, v58, v69
	v_sub_f32_e32 v58, v67, v1
	v_mul_f32_e32 v67, 0x3fb8aa3b, v58
	v_fma_f32 v69, v58, s24, -v67
	v_rndne_f32_e32 v70, v67
	v_fmac_f32_e32 v69, 0x32a5705f, v58
	v_sub_f32_e32 v67, v67, v70
	v_add_f32_e32 v67, v67, v69
	v_exp_f32_e32 v67, v67
	v_cvt_i32_f32_e32 v69, v70
	v_cndmask_b32_e32 v57, 0, v57, vcc
	v_cmp_nlt_f32_e32 vcc, s26, v56
	v_cndmask_b32_e32 v56, v32, v57, vcc
	v_ldexp_f32 v57, v67, v69
	v_cmp_ngt_f32_e32 vcc, s25, v58
	v_cvt_f16_f32_e32 v67, v56
	v_cndmask_b32_e32 v57, 0, v57, vcc
	v_cmp_nlt_f32_e32 vcc, s26, v58
	v_cndmask_b32_e32 v57, v32, v57, vcc
	v_sub_f32_e32 v54, v54, v2
	v_cvt_f16_f32_e32 v75, v57
	v_fmac_f32_e32 v57, v55, v56
	v_mul_f32_e32 v56, 0x3fb8aa3b, v54
	v_mul_u32_u24_e32 v55, 0x10001, v67
	v_fma_f32 v58, v54, s24, -v56
	v_rndne_f32_e32 v67, v56
	v_fmac_f32_e32 v58, 0x32a5705f, v54
	v_sub_f32_e32 v56, v56, v67
	v_add_f32_e32 v56, v56, v58
	v_exp_f32_e32 v56, v56
	v_cvt_i32_f32_e32 v58, v67
	v_pk_mul_f16 v79, v48, v55
	v_sub_f32_e32 v48, v68, v2
	v_pk_mul_f16 v80, v46, v55
	v_pk_mul_f16 v46, v47, v55
	v_ldexp_f32 v47, v56, v58
	v_mul_f32_e32 v56, 0x3fb8aa3b, v48
	v_fma_f32 v58, v48, s24, -v56
	v_rndne_f32_e32 v67, v56
	v_fmac_f32_e32 v58, 0x32a5705f, v48
	v_sub_f32_e32 v56, v56, v67
	v_add_f32_e32 v56, v56, v58
	v_exp_f32_e32 v56, v56
	v_cvt_i32_f32_e32 v58, v67
	v_cmp_ngt_f32_e32 vcc, s25, v54
	v_cndmask_b32_e32 v47, 0, v47, vcc
	v_cmp_nlt_f32_e32 vcc, s26, v54
	v_cndmask_b32_e32 v47, v32, v47, vcc
	v_ldexp_f32 v54, v56, v58
	v_cmp_ngt_f32_e32 vcc, s25, v48
	s_lshl_b64 s[8:9], s[8:9], 2
	v_cndmask_b32_e32 v54, 0, v54, vcc
	v_cmp_nlt_f32_e32 vcc, s26, v48
	s_add_u32 s8, s12, s8
	v_cndmask_b32_e32 v58, v32, v54, vcc
	s_addc_u32 s9, s13, s9
	v_cvt_f16_f32_e32 v56, v47
	v_cvt_f16_f32_e32 v76, v58
	v_fmac_f32_e32 v58, v53, v47
	v_mov_b32_e32 v47, s9
	v_add_co_u32_e32 v48, vcc, s8, v10
	v_addc_co_u32_e32 v53, vcc, v47, v11, vcc
	v_add_co_u32_e32 v47, vcc, v48, v24
	v_addc_co_u32_e32 v48, vcc, 0, v53, vcc
	v_mov_b32_e32 v53, s9
	v_add_co_u32_e32 v54, vcc, s8, v12
	v_addc_co_u32_e32 v67, vcc, v53, v13, vcc
	v_add_co_u32_e32 v53, vcc, v54, v24
	s_barrier
	v_addc_co_u32_e32 v54, vcc, 0, v67, vcc
	global_load_dwordx4 v[67:70], v[47:48], off
	global_load_dwordx4 v[71:74], v[53:54], off
	v_sub_f32_e32 v47, v52, v3
	v_mul_f32_e32 v48, 0x3fb8aa3b, v47
	v_fma_f32 v52, v47, s24, -v48
	v_rndne_f32_e32 v53, v48
	v_fmac_f32_e32 v52, 0x32a5705f, v47
	v_sub_f32_e32 v48, v48, v53
	v_add_f32_e32 v48, v48, v52
	v_exp_f32_e32 v48, v48
	v_cvt_i32_f32_e32 v52, v53
	v_cmp_ngt_f32_e32 vcc, s25, v47
	v_mul_u32_u24_e32 v56, 0x10001, v56
	v_pk_mul_f16 v45, v45, v56
	v_ldexp_f32 v48, v48, v52
	v_sub_f32_e32 v52, v59, v3
	v_mul_f32_e32 v53, 0x3fb8aa3b, v52
	v_fma_f32 v54, v52, s24, -v53
	v_rndne_f32_e32 v59, v53
	v_fmac_f32_e32 v54, 0x32a5705f, v52
	v_sub_f32_e32 v53, v53, v59
	v_add_f32_e32 v53, v53, v54
	v_exp_f32_e32 v53, v53
	v_cvt_i32_f32_e32 v54, v59
	v_cndmask_b32_e32 v48, 0, v48, vcc
	v_cmp_nlt_f32_e32 vcc, s26, v47
	v_cndmask_b32_e32 v47, v32, v48, vcc
	v_ldexp_f32 v48, v53, v54
	v_cmp_ngt_f32_e32 vcc, s25, v52
	v_cndmask_b32_e32 v48, 0, v48, vcc
	v_cmp_nlt_f32_e32 vcc, s26, v52
	v_cndmask_b32_e32 v59, v32, v48, vcc
	v_cvt_f16_f32_e32 v53, v47
	v_cvt_f16_f32_e32 v48, v59
	v_fmac_f32_e32 v59, v51, v47
	v_sub_f32_e32 v47, v50, v4
	v_mul_f32_e32 v50, 0x3fb8aa3b, v47
	v_fma_f32 v51, v47, s24, -v50
	v_rndne_f32_e32 v52, v50
	v_fmac_f32_e32 v51, 0x32a5705f, v47
	v_sub_f32_e32 v50, v50, v52
	v_add_f32_e32 v50, v50, v51
	v_exp_f32_e32 v50, v50
	v_cvt_i32_f32_e32 v51, v52
	v_mul_u32_u24_e32 v81, 0x10001, v53
	v_cmp_ngt_f32_e32 vcc, s25, v47
	v_pk_mul_f16 v42, v42, v56
	v_ldexp_f32 v50, v50, v51
	v_sub_f32_e32 v51, v66, v4
	v_mul_f32_e32 v52, 0x3fb8aa3b, v51
	v_fma_f32 v53, v51, s24, -v52
	v_rndne_f32_e32 v54, v52
	v_fmac_f32_e32 v53, 0x32a5705f, v51
	v_sub_f32_e32 v52, v52, v54
	v_add_f32_e32 v52, v52, v53
	v_exp_f32_e32 v52, v52
	v_cvt_i32_f32_e32 v53, v54
	v_cndmask_b32_e32 v50, 0, v50, vcc
	v_cmp_nlt_f32_e32 vcc, s26, v47
	v_cndmask_b32_e32 v47, v32, v50, vcc
	v_ldexp_f32 v50, v52, v53
	v_cmp_ngt_f32_e32 vcc, s25, v51
	v_cndmask_b32_e32 v50, 0, v50, vcc
	v_cmp_nlt_f32_e32 vcc, s26, v51
	v_cvt_f16_f32_e32 v52, v47
	v_cndmask_b32_e32 v66, v32, v50, vcc
	v_cvt_f16_f32_e32 v50, v66
	v_fmac_f32_e32 v66, v49, v47
	v_mul_u32_u24_e32 v47, 0x10001, v52
	v_pk_mul_f16 v82, v35, v47
	v_pk_mul_f16 v83, v34, v47
	;; [unrolled: 1-line block ×3, first 2 shown]
	v_add_u32_e32 v35, v23, v17
	v_pack_b32_f16 v34, v48, v50
	v_pack_b32_f16 v33, v75, v76
	v_pk_mul_f16 v36, v36, v47
	ds_write_b64 v35, v[33:34]
	s_waitcnt vmcnt(1)
	ds_write_b128 v25, v[67:70]
	s_waitcnt vmcnt(0)
	ds_write_b128 v26, v[71:74]
	s_waitcnt lgkmcnt(0)
	s_barrier
	v_add_u32_e32 v35, 0x4000, v17
	ds_read_b128 v[47:50], v23
	ds_read2_b64 v[51:54], v35 offset1:32
	ds_read_b128 v[67:70], v23 offset:16
	ds_read_b128 v[71:74], v23 offset:32
	ds_read_b128 v[75:78], v23 offset:48
	s_waitcnt lgkmcnt(4)
	v_mul_u32_u24_sdwa v33, v47, s31 dst_sel:DWORD dst_unused:UNUSED_PAD src0_sel:WORD_0 src1_sel:DWORD
	v_mul_u32_u24_sdwa v34, v47, s31 dst_sel:DWORD dst_unused:UNUSED_PAD src0_sel:WORD_1 src1_sel:DWORD
	s_waitcnt lgkmcnt(3)
	v_pk_mul_f16 v85, v51, v33
	v_mul_u32_u24_sdwa v47, v48, s31 dst_sel:DWORD dst_unused:UNUSED_PAD src0_sel:WORD_0 src1_sel:DWORD
	v_pk_fma_f16 v44, v44, v55, v85
	v_pk_mul_f16 v55, v51, v34
	v_pk_mul_f16 v43, v43, v56
	;; [unrolled: 1-line block ×5, first 2 shown]
	v_mul_u32_u24_sdwa v48, v48, s31 dst_sel:DWORD dst_unused:UNUSED_PAD src0_sel:WORD_1 src1_sel:DWORD
	v_pk_fma_f16 v41, v41, v56, v55
	v_pk_mul_f16 v55, v51, v47
	v_pk_fma_f16 v55, v37, v81, v55
	v_pk_fma_f16 v56, v52, v33, v79
	;; [unrolled: 1-line block ×10, first 2 shown]
	ds_read2_b64 v[36:39], v35 offset0:64 offset1:96
	v_pk_fma_f16 v51, v51, v48, v82
	v_pk_fma_f16 v53, v53, v48, v83
	v_pk_fma_f16 v33, v54, v33, v46
	v_pk_fma_f16 v46, v54, v48, v84
	v_mul_u32_u24_sdwa v47, v49, s31 dst_sel:DWORD dst_unused:UNUSED_PAD src0_sel:WORD_0 src1_sel:DWORD
	v_mul_u32_u24_sdwa v48, v49, s31 dst_sel:DWORD dst_unused:UNUSED_PAD src0_sel:WORD_1 src1_sel:DWORD
	v_mul_u32_u24_sdwa v49, v50, s31 dst_sel:DWORD dst_unused:UNUSED_PAD src0_sel:WORD_0 src1_sel:DWORD
	v_mul_u32_u24_sdwa v50, v50, s31 dst_sel:DWORD dst_unused:UNUSED_PAD src0_sel:WORD_1 src1_sel:DWORD
	s_waitcnt lgkmcnt(0)
	v_pk_fma_f16 v44, v36, v47, v44
	v_pk_fma_f16 v41, v36, v48, v41
	;; [unrolled: 1-line block ×16, first 2 shown]
	ds_read2_b64 v[36:39], v35 offset0:128 offset1:160
	v_mul_u32_u24_sdwa v47, v67, s31 dst_sel:DWORD dst_unused:UNUSED_PAD src0_sel:WORD_0 src1_sel:DWORD
	v_mul_u32_u24_sdwa v48, v67, s31 dst_sel:DWORD dst_unused:UNUSED_PAD src0_sel:WORD_1 src1_sel:DWORD
	v_mul_u32_u24_sdwa v49, v68, s31 dst_sel:DWORD dst_unused:UNUSED_PAD src0_sel:WORD_0 src1_sel:DWORD
	v_mul_u32_u24_sdwa v50, v68, s31 dst_sel:DWORD dst_unused:UNUSED_PAD src0_sel:WORD_1 src1_sel:DWORD
	s_waitcnt lgkmcnt(0)
	v_pk_fma_f16 v44, v36, v47, v44
	v_pk_fma_f16 v41, v36, v48, v41
	;; [unrolled: 1-line block ×16, first 2 shown]
	ds_read2_b64 v[36:39], v35 offset0:192 offset1:224
	v_mul_u32_u24_sdwa v47, v69, s31 dst_sel:DWORD dst_unused:UNUSED_PAD src0_sel:WORD_0 src1_sel:DWORD
	v_mul_u32_u24_sdwa v48, v69, s31 dst_sel:DWORD dst_unused:UNUSED_PAD src0_sel:WORD_1 src1_sel:DWORD
	v_mul_u32_u24_sdwa v49, v70, s31 dst_sel:DWORD dst_unused:UNUSED_PAD src0_sel:WORD_0 src1_sel:DWORD
	v_mul_u32_u24_sdwa v50, v70, s31 dst_sel:DWORD dst_unused:UNUSED_PAD src0_sel:WORD_1 src1_sel:DWORD
	s_waitcnt lgkmcnt(0)
	v_pk_fma_f16 v44, v36, v47, v44
	v_pk_fma_f16 v41, v36, v48, v41
	;; [unrolled: 1-line block ×4, first 2 shown]
	v_add_u32_e32 v36, 0x4800, v17
	v_pk_fma_f16 v55, v37, v47, v55
	v_pk_fma_f16 v45, v37, v48, v45
	;; [unrolled: 1-line block ×12, first 2 shown]
	ds_read2_b64 v[37:40], v36 offset1:32
	v_mul_u32_u24_sdwa v47, v71, s31 dst_sel:DWORD dst_unused:UNUSED_PAD src0_sel:WORD_0 src1_sel:DWORD
	v_mul_u32_u24_sdwa v48, v71, s31 dst_sel:DWORD dst_unused:UNUSED_PAD src0_sel:WORD_1 src1_sel:DWORD
	v_mul_u32_u24_sdwa v49, v72, s31 dst_sel:DWORD dst_unused:UNUSED_PAD src0_sel:WORD_0 src1_sel:DWORD
	v_mul_u32_u24_sdwa v50, v72, s31 dst_sel:DWORD dst_unused:UNUSED_PAD src0_sel:WORD_1 src1_sel:DWORD
	s_waitcnt lgkmcnt(0)
	v_pk_fma_f16 v44, v37, v47, v44
	v_pk_fma_f16 v41, v37, v48, v41
	v_pk_fma_f16 v54, v37, v49, v54
	v_pk_fma_f16 v51, v37, v50, v51
	v_pk_fma_f16 v55, v38, v47, v55
	v_pk_fma_f16 v45, v38, v48, v45
	v_pk_fma_f16 v68, v38, v49, v68
	v_pk_fma_f16 v52, v38, v50, v52
	v_pk_fma_f16 v56, v39, v47, v56
	v_pk_fma_f16 v42, v39, v48, v42
	v_pk_fma_f16 v67, v39, v49, v67
	v_pk_fma_f16 v53, v39, v50, v53
	v_pk_fma_f16 v33, v40, v47, v33
	v_pk_fma_f16 v34, v40, v48, v34
	v_pk_fma_f16 v43, v40, v49, v43
	v_pk_fma_f16 v46, v40, v50, v46
	ds_read2_b64 v[37:40], v36 offset0:64 offset1:96
	v_mul_u32_u24_sdwa v47, v73, s31 dst_sel:DWORD dst_unused:UNUSED_PAD src0_sel:WORD_0 src1_sel:DWORD
	v_mul_u32_u24_sdwa v48, v73, s31 dst_sel:DWORD dst_unused:UNUSED_PAD src0_sel:WORD_1 src1_sel:DWORD
	v_mul_u32_u24_sdwa v49, v74, s31 dst_sel:DWORD dst_unused:UNUSED_PAD src0_sel:WORD_0 src1_sel:DWORD
	v_mul_u32_u24_sdwa v50, v74, s31 dst_sel:DWORD dst_unused:UNUSED_PAD src0_sel:WORD_1 src1_sel:DWORD
	s_waitcnt lgkmcnt(0)
	v_pk_fma_f16 v44, v37, v47, v44
	v_pk_fma_f16 v41, v37, v48, v41
	v_pk_fma_f16 v54, v37, v49, v54
	v_pk_fma_f16 v51, v37, v50, v51
	v_pk_fma_f16 v55, v38, v47, v55
	v_pk_fma_f16 v45, v38, v48, v45
	v_pk_fma_f16 v68, v38, v49, v68
	v_pk_fma_f16 v52, v38, v50, v52
	v_pk_fma_f16 v56, v39, v47, v56
	v_pk_fma_f16 v42, v39, v48, v42
	v_pk_fma_f16 v67, v39, v49, v67
	v_pk_fma_f16 v53, v39, v50, v53
	v_pk_fma_f16 v33, v40, v47, v33
	v_pk_fma_f16 v34, v40, v48, v34
	v_pk_fma_f16 v43, v40, v49, v43
	v_pk_fma_f16 v46, v40, v50, v46
	ds_read2_b64 v[37:40], v36 offset0:128 offset1:160
	;; [unrolled: 22-line block ×3, first 2 shown]
	v_mul_u32_u24_sdwa v47, v77, s31 dst_sel:DWORD dst_unused:UNUSED_PAD src0_sel:WORD_0 src1_sel:DWORD
	v_mul_u32_u24_sdwa v48, v77, s31 dst_sel:DWORD dst_unused:UNUSED_PAD src0_sel:WORD_1 src1_sel:DWORD
	v_mul_u32_u24_sdwa v49, v78, s31 dst_sel:DWORD dst_unused:UNUSED_PAD src0_sel:WORD_0 src1_sel:DWORD
	v_mul_u32_u24_sdwa v50, v78, s31 dst_sel:DWORD dst_unused:UNUSED_PAD src0_sel:WORD_1 src1_sel:DWORD
	s_waitcnt lgkmcnt(0)
	v_pk_fma_f16 v69, v37, v47, v44
	v_pk_fma_f16 v70, v37, v48, v41
	;; [unrolled: 1-line block ×7, first 2 shown]
	ds_read_b128 v[41:44], v23 offset:64
	v_pk_fma_f16 v73, v40, v47, v33
	v_add_u32_e32 v33, 0x5000, v17
	v_pk_fma_f16 v51, v37, v50, v51
	v_pk_fma_f16 v55, v38, v47, v55
	;; [unrolled: 1-line block ×8, first 2 shown]
	ds_read2_b64 v[37:40], v33 offset1:32
	ds_read_b128 v[45:48], v23 offset:80
	s_waitcnt lgkmcnt(2)
	v_mul_u32_u24_sdwa v74, v41, s31 dst_sel:DWORD dst_unused:UNUSED_PAD src0_sel:WORD_0 src1_sel:DWORD
	v_mul_u32_u24_sdwa v41, v41, s31 dst_sel:DWORD dst_unused:UNUSED_PAD src0_sel:WORD_1 src1_sel:DWORD
	v_mul_u32_u24_sdwa v75, v42, s31 dst_sel:DWORD dst_unused:UNUSED_PAD src0_sel:WORD_0 src1_sel:DWORD
	v_mul_u32_u24_sdwa v42, v42, s31 dst_sel:DWORD dst_unused:UNUSED_PAD src0_sel:WORD_1 src1_sel:DWORD
	s_waitcnt lgkmcnt(1)
	v_pk_fma_f16 v69, v37, v74, v69
	v_pk_fma_f16 v70, v37, v41, v70
	v_pk_fma_f16 v54, v37, v75, v54
	v_pk_fma_f16 v51, v37, v42, v51
	v_pk_fma_f16 v55, v38, v74, v55
	v_pk_fma_f16 v71, v38, v41, v71
	v_pk_fma_f16 v68, v38, v75, v68
	v_pk_fma_f16 v52, v38, v42, v52
	v_pk_fma_f16 v56, v39, v74, v56
	v_pk_fma_f16 v72, v39, v41, v72
	v_pk_fma_f16 v67, v39, v75, v67
	v_pk_fma_f16 v53, v39, v42, v53
	v_pk_fma_f16 v73, v40, v74, v73
	v_pk_fma_f16 v34, v40, v41, v34
	v_pk_fma_f16 v41, v40, v75, v49
	v_pk_fma_f16 v42, v40, v42, v50
	ds_read2_b64 v[37:40], v33 offset0:64 offset1:96
	v_mul_u32_u24_sdwa v49, v43, s31 dst_sel:DWORD dst_unused:UNUSED_PAD src0_sel:WORD_0 src1_sel:DWORD
	v_mul_u32_u24_sdwa v43, v43, s31 dst_sel:DWORD dst_unused:UNUSED_PAD src0_sel:WORD_1 src1_sel:DWORD
	v_mul_u32_u24_sdwa v50, v44, s31 dst_sel:DWORD dst_unused:UNUSED_PAD src0_sel:WORD_0 src1_sel:DWORD
	v_mul_u32_u24_sdwa v44, v44, s31 dst_sel:DWORD dst_unused:UNUSED_PAD src0_sel:WORD_1 src1_sel:DWORD
	s_waitcnt lgkmcnt(0)
	v_pk_fma_f16 v69, v37, v49, v69
	v_pk_fma_f16 v70, v37, v43, v70
	v_pk_fma_f16 v54, v37, v50, v54
	v_pk_fma_f16 v51, v37, v44, v51
	v_pk_fma_f16 v55, v38, v49, v55
	v_pk_fma_f16 v71, v38, v43, v71
	v_pk_fma_f16 v68, v38, v50, v68
	v_pk_fma_f16 v52, v38, v44, v52
	v_pk_fma_f16 v56, v39, v49, v56
	v_pk_fma_f16 v72, v39, v43, v72
	v_pk_fma_f16 v67, v39, v50, v67
	v_pk_fma_f16 v53, v39, v44, v53
	v_pk_fma_f16 v49, v40, v49, v73
	v_pk_fma_f16 v34, v40, v43, v34
	v_pk_fma_f16 v41, v40, v50, v41
	v_pk_fma_f16 v42, v40, v44, v42
	ds_read2_b64 v[37:40], v33 offset0:128 offset1:160
	;; [unrolled: 22-line block ×3, first 2 shown]
	s_or_b32 s8, s6, 16
	s_mul_hi_i32 s9, s8, s15
	s_mul_i32 s8, s8, s15
	s_lshl_b64 s[8:9], s[8:9], 2
	s_add_u32 s8, s12, s8
	v_mul_u32_u24_sdwa v44, v47, s31 dst_sel:DWORD dst_unused:UNUSED_PAD src0_sel:WORD_1 src1_sel:DWORD
	s_addc_u32 s9, s13, s9
	s_waitcnt lgkmcnt(0)
	v_pk_fma_f16 v88, v39, v44, v71
	v_mov_b32_e32 v71, s9
	v_add_co_u32_e32 v72, vcc, s8, v10
	v_addc_co_u32_e32 v73, vcc, v71, v11, vcc
	v_add_co_u32_e32 v71, vcc, v72, v24
	v_addc_co_u32_e32 v72, vcc, 0, v73, vcc
	v_mov_b32_e32 v73, s9
	v_add_co_u32_e32 v74, vcc, s8, v12
	v_addc_co_u32_e32 v73, vcc, v73, v13, vcc
	v_add_co_u32_e32 v75, vcc, v74, v24
	v_mul_u32_u24_sdwa v42, v47, s31 dst_sel:DWORD dst_unused:UNUSED_PAD src0_sel:WORD_0 src1_sel:DWORD
	v_mul_u32_u24_sdwa v46, v48, s31 dst_sel:DWORD dst_unused:UNUSED_PAD src0_sel:WORD_0 src1_sel:DWORD
	v_mul_u32_u24_sdwa v47, v48, s31 dst_sel:DWORD dst_unused:UNUSED_PAD src0_sel:WORD_1 src1_sel:DWORD
	v_pk_fma_f16 v92, v40, v44, v34
	v_add_u32_e32 v34, 0x5800, v17
	v_addc_co_u32_e32 v76, vcc, 0, v73, vcc
	v_pk_fma_f16 v79, v37, v42, v50
	v_pk_fma_f16 v80, v37, v44, v69
	;; [unrolled: 1-line block ×13, first 2 shown]
	ds_read_b128 v[41:44], v23 offset:96
	v_pk_fma_f16 v94, v40, v47, v45
	ds_read2_b64 v[37:40], v34 offset1:32
	ds_read_b128 v[45:48], v23 offset:112
	ds_read2_b64 v[49:52], v34 offset0:64 offset1:96
	ds_read2_b64 v[53:56], v34 offset0:128 offset1:160
	;; [unrolled: 1-line block ×3, first 2 shown]
	s_waitcnt lgkmcnt(0)
	s_barrier
	global_load_dwordx4 v[71:74], v[71:72], off
	s_nop 0
	global_load_dwordx4 v[75:78], v[75:76], off
	v_mul_u32_u24_sdwa v95, v41, s31 dst_sel:DWORD dst_unused:UNUSED_PAD src0_sel:WORD_0 src1_sel:DWORD
	v_mul_u32_u24_sdwa v41, v41, s31 dst_sel:DWORD dst_unused:UNUSED_PAD src0_sel:WORD_1 src1_sel:DWORD
	v_mul_u32_u24_sdwa v96, v42, s31 dst_sel:DWORD dst_unused:UNUSED_PAD src0_sel:WORD_0 src1_sel:DWORD
	v_mul_u32_u24_sdwa v42, v42, s31 dst_sel:DWORD dst_unused:UNUSED_PAD src0_sel:WORD_1 src1_sel:DWORD
	v_pk_fma_f16 v79, v37, v95, v79
	v_pk_fma_f16 v80, v37, v41, v80
	v_pk_fma_f16 v81, v37, v96, v81
	v_pk_fma_f16 v37, v37, v42, v82
	v_pk_fma_f16 v82, v38, v95, v83
	v_pk_fma_f16 v83, v38, v41, v84
	v_pk_fma_f16 v84, v38, v96, v85
	v_pk_fma_f16 v38, v38, v42, v86
	v_pk_fma_f16 v85, v39, v95, v87
	v_pk_fma_f16 v86, v39, v41, v88
	v_pk_fma_f16 v87, v39, v96, v89
	v_pk_fma_f16 v39, v39, v42, v90
	v_pk_fma_f16 v88, v40, v95, v91
	v_pk_fma_f16 v41, v40, v41, v92
	v_pk_fma_f16 v89, v40, v96, v93
	v_pk_fma_f16 v40, v40, v42, v94
	v_mul_u32_u24_sdwa v42, v43, s31 dst_sel:DWORD dst_unused:UNUSED_PAD src0_sel:WORD_0 src1_sel:DWORD
	v_mul_u32_u24_sdwa v43, v43, s31 dst_sel:DWORD dst_unused:UNUSED_PAD src0_sel:WORD_1 src1_sel:DWORD
	v_mul_u32_u24_sdwa v90, v44, s31 dst_sel:DWORD dst_unused:UNUSED_PAD src0_sel:WORD_0 src1_sel:DWORD
	v_mul_u32_u24_sdwa v44, v44, s31 dst_sel:DWORD dst_unused:UNUSED_PAD src0_sel:WORD_1 src1_sel:DWORD
	v_pk_fma_f16 v79, v49, v42, v79
	v_pk_fma_f16 v80, v49, v43, v80
	v_pk_fma_f16 v81, v49, v90, v81
	v_pk_fma_f16 v37, v49, v44, v37
	v_pk_fma_f16 v49, v50, v42, v82
	v_pk_fma_f16 v82, v50, v43, v83
	v_pk_fma_f16 v83, v50, v90, v84
	v_pk_fma_f16 v38, v50, v44, v38
	v_pk_fma_f16 v50, v51, v42, v85
	v_pk_fma_f16 v84, v51, v43, v86
	v_pk_fma_f16 v85, v51, v90, v87
	v_pk_fma_f16 v39, v51, v44, v39
	v_pk_fma_f16 v42, v52, v42, v88
	v_pk_fma_f16 v41, v52, v43, v41
	v_pk_fma_f16 v43, v52, v90, v89
	v_pk_fma_f16 v40, v52, v44, v40
	;; [unrolled: 20-line block ×4, first 2 shown]
	s_waitcnt vmcnt(1)
	ds_write_b128 v25, v[71:74]
	s_waitcnt vmcnt(0)
	ds_write_b128 v26, v[75:78]
	s_waitcnt lgkmcnt(0)
	s_barrier
	ds_read_b128 v[37:40], v23 offset:128
	ds_read2_b64 v[41:44], v35 offset1:32
	ds_read_b128 v[45:48], v23 offset:144
	ds_read_b128 v[49:52], v23 offset:160
	;; [unrolled: 1-line block ×3, first 2 shown]
	s_waitcnt lgkmcnt(4)
	v_mul_u32_u24_sdwa v71, v37, s31 dst_sel:DWORD dst_unused:UNUSED_PAD src0_sel:WORD_0 src1_sel:DWORD
	v_mul_u32_u24_sdwa v37, v37, s31 dst_sel:DWORD dst_unused:UNUSED_PAD src0_sel:WORD_1 src1_sel:DWORD
	v_mul_u32_u24_sdwa v72, v38, s31 dst_sel:DWORD dst_unused:UNUSED_PAD src0_sel:WORD_0 src1_sel:DWORD
	v_mul_u32_u24_sdwa v38, v38, s31 dst_sel:DWORD dst_unused:UNUSED_PAD src0_sel:WORD_1 src1_sel:DWORD
	s_waitcnt lgkmcnt(3)
	v_pk_fma_f16 v73, v41, v71, v83
	v_pk_fma_f16 v74, v41, v37, v79
	v_pk_fma_f16 v75, v41, v72, v80
	v_pk_fma_f16 v67, v41, v38, v67
	v_pk_fma_f16 v76, v42, v71, v84
	v_pk_fma_f16 v77, v42, v37, v85
	v_pk_fma_f16 v78, v42, v72, v81
	v_pk_fma_f16 v68, v42, v38, v68
	v_pk_fma_f16 v79, v43, v71, v86
	v_pk_fma_f16 v80, v43, v37, v87
	v_pk_fma_f16 v81, v43, v72, v82
	v_pk_fma_f16 v69, v43, v38, v69
	v_pk_fma_f16 v71, v44, v71, v88
	v_pk_fma_f16 v37, v44, v37, v89
	v_pk_fma_f16 v72, v44, v72, v90
	v_pk_fma_f16 v38, v44, v38, v70
	ds_read2_b64 v[41:44], v35 offset0:64 offset1:96
	v_mul_u32_u24_sdwa v70, v39, s31 dst_sel:DWORD dst_unused:UNUSED_PAD src0_sel:WORD_0 src1_sel:DWORD
	v_mul_u32_u24_sdwa v39, v39, s31 dst_sel:DWORD dst_unused:UNUSED_PAD src0_sel:WORD_1 src1_sel:DWORD
	v_mul_u32_u24_sdwa v82, v40, s31 dst_sel:DWORD dst_unused:UNUSED_PAD src0_sel:WORD_0 src1_sel:DWORD
	v_mul_u32_u24_sdwa v40, v40, s31 dst_sel:DWORD dst_unused:UNUSED_PAD src0_sel:WORD_1 src1_sel:DWORD
	s_waitcnt lgkmcnt(0)
	v_pk_fma_f16 v73, v41, v70, v73
	v_pk_fma_f16 v74, v41, v39, v74
	v_pk_fma_f16 v75, v41, v82, v75
	v_pk_fma_f16 v41, v41, v40, v67
	v_pk_fma_f16 v67, v42, v70, v76
	v_pk_fma_f16 v76, v42, v39, v77
	v_pk_fma_f16 v77, v42, v82, v78
	v_pk_fma_f16 v42, v42, v40, v68
	v_pk_fma_f16 v68, v43, v70, v79
	v_pk_fma_f16 v78, v43, v39, v80
	v_pk_fma_f16 v79, v43, v82, v81
	v_pk_fma_f16 v43, v43, v40, v69
	v_pk_fma_f16 v69, v44, v70, v71
	v_pk_fma_f16 v70, v44, v39, v37
	v_pk_fma_f16 v71, v44, v82, v72
	v_pk_fma_f16 v44, v44, v40, v38
	ds_read2_b64 v[37:40], v35 offset0:128 offset1:160
	;; [unrolled: 22-line block ×3, first 2 shown]
	v_mul_u32_u24_sdwa v35, v47, s31 dst_sel:DWORD dst_unused:UNUSED_PAD src0_sel:WORD_0 src1_sel:DWORD
	v_mul_u32_u24_sdwa v46, v47, s31 dst_sel:DWORD dst_unused:UNUSED_PAD src0_sel:WORD_1 src1_sel:DWORD
	v_mul_u32_u24_sdwa v47, v48, s31 dst_sel:DWORD dst_unused:UNUSED_PAD src0_sel:WORD_0 src1_sel:DWORD
	v_mul_u32_u24_sdwa v48, v48, s31 dst_sel:DWORD dst_unused:UNUSED_PAD src0_sel:WORD_1 src1_sel:DWORD
	s_waitcnt lgkmcnt(0)
	v_pk_fma_f16 v71, v37, v35, v73
	v_pk_fma_f16 v72, v37, v46, v74
	;; [unrolled: 1-line block ×16, first 2 shown]
	ds_read2_b64 v[37:40], v36 offset1:32
	v_mul_u32_u24_sdwa v47, v49, s31 dst_sel:DWORD dst_unused:UNUSED_PAD src0_sel:WORD_0 src1_sel:DWORD
	v_mul_u32_u24_sdwa v48, v49, s31 dst_sel:DWORD dst_unused:UNUSED_PAD src0_sel:WORD_1 src1_sel:DWORD
	v_mul_u32_u24_sdwa v49, v50, s31 dst_sel:DWORD dst_unused:UNUSED_PAD src0_sel:WORD_0 src1_sel:DWORD
	v_mul_u32_u24_sdwa v50, v50, s31 dst_sel:DWORD dst_unused:UNUSED_PAD src0_sel:WORD_1 src1_sel:DWORD
	s_waitcnt lgkmcnt(0)
	v_pk_fma_f16 v69, v37, v47, v71
	v_pk_fma_f16 v70, v37, v48, v72
	;; [unrolled: 1-line block ×16, first 2 shown]
	ds_read2_b64 v[37:40], v36 offset0:64 offset1:96
	v_mul_u32_u24_sdwa v47, v51, s31 dst_sel:DWORD dst_unused:UNUSED_PAD src0_sel:WORD_0 src1_sel:DWORD
	v_mul_u32_u24_sdwa v48, v51, s31 dst_sel:DWORD dst_unused:UNUSED_PAD src0_sel:WORD_1 src1_sel:DWORD
	v_mul_u32_u24_sdwa v49, v52, s31 dst_sel:DWORD dst_unused:UNUSED_PAD src0_sel:WORD_0 src1_sel:DWORD
	v_mul_u32_u24_sdwa v50, v52, s31 dst_sel:DWORD dst_unused:UNUSED_PAD src0_sel:WORD_1 src1_sel:DWORD
	s_waitcnt lgkmcnt(0)
	v_pk_fma_f16 v51, v37, v47, v69
	v_pk_fma_f16 v52, v37, v48, v70
	;; [unrolled: 1-line block ×16, first 2 shown]
	ds_read2_b64 v[37:40], v36 offset0:128 offset1:160
	v_mul_u32_u24_sdwa v47, v53, s31 dst_sel:DWORD dst_unused:UNUSED_PAD src0_sel:WORD_0 src1_sel:DWORD
	v_mul_u32_u24_sdwa v48, v53, s31 dst_sel:DWORD dst_unused:UNUSED_PAD src0_sel:WORD_1 src1_sel:DWORD
	v_mul_u32_u24_sdwa v49, v54, s31 dst_sel:DWORD dst_unused:UNUSED_PAD src0_sel:WORD_0 src1_sel:DWORD
	v_mul_u32_u24_sdwa v50, v54, s31 dst_sel:DWORD dst_unused:UNUSED_PAD src0_sel:WORD_1 src1_sel:DWORD
	s_waitcnt lgkmcnt(0)
	v_pk_fma_f16 v51, v37, v47, v51
	v_pk_fma_f16 v52, v37, v48, v52
	;; [unrolled: 1-line block ×13, first 2 shown]
	ds_read2_b64 v[35:38], v36 offset0:192 offset1:224
	v_pk_fma_f16 v45, v40, v48, v45
	v_pk_fma_f16 v46, v40, v49, v46
	;; [unrolled: 1-line block ×3, first 2 shown]
	v_mul_u32_u24_sdwa v40, v55, s31 dst_sel:DWORD dst_unused:UNUSED_PAD src0_sel:WORD_0 src1_sel:DWORD
	v_mul_u32_u24_sdwa v47, v55, s31 dst_sel:DWORD dst_unused:UNUSED_PAD src0_sel:WORD_1 src1_sel:DWORD
	v_mul_u32_u24_sdwa v48, v56, s31 dst_sel:DWORD dst_unused:UNUSED_PAD src0_sel:WORD_0 src1_sel:DWORD
	v_mul_u32_u24_sdwa v49, v56, s31 dst_sel:DWORD dst_unused:UNUSED_PAD src0_sel:WORD_1 src1_sel:DWORD
	s_waitcnt lgkmcnt(0)
	v_pk_fma_f16 v50, v35, v40, v51
	v_pk_fma_f16 v51, v35, v47, v52
	;; [unrolled: 1-line block ×13, first 2 shown]
	ds_read_b128 v[39:42], v23 offset:192
	v_pk_fma_f16 v47, v38, v47, v45
	v_pk_fma_f16 v48, v38, v48, v46
	;; [unrolled: 1-line block ×3, first 2 shown]
	ds_read2_b64 v[35:38], v33 offset1:32
	ds_read_b128 v[43:46], v23 offset:208
	s_waitcnt lgkmcnt(2)
	v_mul_u32_u24_sdwa v73, v39, s31 dst_sel:DWORD dst_unused:UNUSED_PAD src0_sel:WORD_0 src1_sel:DWORD
	v_mul_u32_u24_sdwa v39, v39, s31 dst_sel:DWORD dst_unused:UNUSED_PAD src0_sel:WORD_1 src1_sel:DWORD
	v_mul_u32_u24_sdwa v74, v40, s31 dst_sel:DWORD dst_unused:UNUSED_PAD src0_sel:WORD_0 src1_sel:DWORD
	v_mul_u32_u24_sdwa v40, v40, s31 dst_sel:DWORD dst_unused:UNUSED_PAD src0_sel:WORD_1 src1_sel:DWORD
	s_waitcnt lgkmcnt(1)
	v_pk_fma_f16 v50, v35, v73, v50
	v_pk_fma_f16 v51, v35, v39, v51
	v_pk_fma_f16 v52, v35, v74, v52
	v_pk_fma_f16 v53, v35, v40, v53
	v_pk_fma_f16 v54, v36, v73, v54
	v_pk_fma_f16 v55, v36, v39, v55
	v_pk_fma_f16 v56, v36, v74, v56
	v_pk_fma_f16 v67, v36, v40, v67
	v_pk_fma_f16 v68, v37, v73, v68
	v_pk_fma_f16 v69, v37, v39, v69
	v_pk_fma_f16 v70, v37, v74, v70
	v_pk_fma_f16 v71, v37, v40, v71
	v_pk_fma_f16 v72, v38, v73, v72
	v_pk_fma_f16 v39, v38, v39, v47
	v_pk_fma_f16 v47, v38, v74, v48
	v_pk_fma_f16 v40, v38, v40, v49
	ds_read2_b64 v[35:38], v33 offset0:64 offset1:96
	v_mul_u32_u24_sdwa v48, v41, s31 dst_sel:DWORD dst_unused:UNUSED_PAD src0_sel:WORD_0 src1_sel:DWORD
	v_mul_u32_u24_sdwa v41, v41, s31 dst_sel:DWORD dst_unused:UNUSED_PAD src0_sel:WORD_1 src1_sel:DWORD
	v_mul_u32_u24_sdwa v49, v42, s31 dst_sel:DWORD dst_unused:UNUSED_PAD src0_sel:WORD_0 src1_sel:DWORD
	v_mul_u32_u24_sdwa v42, v42, s31 dst_sel:DWORD dst_unused:UNUSED_PAD src0_sel:WORD_1 src1_sel:DWORD
	s_waitcnt lgkmcnt(0)
	v_pk_fma_f16 v50, v35, v48, v50
	v_pk_fma_f16 v51, v35, v41, v51
	v_pk_fma_f16 v52, v35, v49, v52
	v_pk_fma_f16 v53, v35, v42, v53
	v_pk_fma_f16 v54, v36, v48, v54
	v_pk_fma_f16 v55, v36, v41, v55
	v_pk_fma_f16 v56, v36, v49, v56
	v_pk_fma_f16 v67, v36, v42, v67
	v_pk_fma_f16 v68, v37, v48, v68
	v_pk_fma_f16 v69, v37, v41, v69
	v_pk_fma_f16 v70, v37, v49, v70
	v_pk_fma_f16 v71, v37, v42, v71
	v_pk_fma_f16 v48, v38, v48, v72
	v_pk_fma_f16 v39, v38, v41, v39
	v_pk_fma_f16 v41, v38, v49, v47
	v_pk_fma_f16 v40, v38, v42, v40
	ds_read2_b64 v[35:38], v33 offset0:128 offset1:160
	;; [unrolled: 22-line block ×3, first 2 shown]
	v_mul_u32_u24_sdwa v33, v45, s31 dst_sel:DWORD dst_unused:UNUSED_PAD src0_sel:WORD_0 src1_sel:DWORD
	v_mul_u32_u24_sdwa v40, v45, s31 dst_sel:DWORD dst_unused:UNUSED_PAD src0_sel:WORD_1 src1_sel:DWORD
	v_mul_u32_u24_sdwa v45, v46, s31 dst_sel:DWORD dst_unused:UNUSED_PAD src0_sel:WORD_0 src1_sel:DWORD
	v_mul_u32_u24_sdwa v46, v46, s31 dst_sel:DWORD dst_unused:UNUSED_PAD src0_sel:WORD_1 src1_sel:DWORD
	s_waitcnt lgkmcnt(0)
	v_pk_fma_f16 v47, v35, v33, v49
	v_pk_fma_f16 v48, v35, v40, v50
	;; [unrolled: 1-line block ×13, first 2 shown]
	ds_read_b128 v[39:42], v23 offset:224
	v_pk_fma_f16 v68, v37, v46, v70
	v_pk_fma_f16 v70, v38, v45, v43
	;; [unrolled: 1-line block ×3, first 2 shown]
	ds_read2_b64 v[35:38], v34 offset1:32
	ds_read_b128 v[43:46], v23 offset:240
	s_waitcnt lgkmcnt(2)
	v_mul_u32_u24_sdwa v72, v39, s31 dst_sel:DWORD dst_unused:UNUSED_PAD src0_sel:WORD_0 src1_sel:DWORD
	v_mul_u32_u24_sdwa v39, v39, s31 dst_sel:DWORD dst_unused:UNUSED_PAD src0_sel:WORD_1 src1_sel:DWORD
	v_mul_u32_u24_sdwa v73, v40, s31 dst_sel:DWORD dst_unused:UNUSED_PAD src0_sel:WORD_0 src1_sel:DWORD
	v_mul_u32_u24_sdwa v40, v40, s31 dst_sel:DWORD dst_unused:UNUSED_PAD src0_sel:WORD_1 src1_sel:DWORD
	s_waitcnt lgkmcnt(1)
	v_pk_fma_f16 v47, v35, v72, v47
	v_pk_fma_f16 v48, v35, v39, v48
	v_pk_fma_f16 v49, v35, v73, v49
	v_pk_fma_f16 v50, v35, v40, v50
	v_pk_fma_f16 v51, v36, v72, v51
	v_pk_fma_f16 v52, v36, v39, v52
	v_pk_fma_f16 v53, v36, v73, v53
	v_pk_fma_f16 v54, v36, v40, v54
	v_pk_fma_f16 v55, v37, v72, v55
	v_pk_fma_f16 v56, v37, v39, v56
	v_pk_fma_f16 v67, v37, v73, v67
	v_pk_fma_f16 v68, v37, v40, v68
	v_pk_fma_f16 v33, v38, v72, v33
	v_pk_fma_f16 v39, v38, v39, v69
	v_pk_fma_f16 v69, v38, v73, v70
	v_pk_fma_f16 v40, v38, v40, v71
	ds_read2_b64 v[35:38], v34 offset0:64 offset1:96
	v_mul_u32_u24_sdwa v70, v41, s31 dst_sel:DWORD dst_unused:UNUSED_PAD src0_sel:WORD_0 src1_sel:DWORD
	v_mul_u32_u24_sdwa v41, v41, s31 dst_sel:DWORD dst_unused:UNUSED_PAD src0_sel:WORD_1 src1_sel:DWORD
	v_mul_u32_u24_sdwa v71, v42, s31 dst_sel:DWORD dst_unused:UNUSED_PAD src0_sel:WORD_0 src1_sel:DWORD
	v_mul_u32_u24_sdwa v42, v42, s31 dst_sel:DWORD dst_unused:UNUSED_PAD src0_sel:WORD_1 src1_sel:DWORD
	s_waitcnt lgkmcnt(0)
	v_pk_fma_f16 v47, v35, v70, v47
	v_pk_fma_f16 v48, v35, v41, v48
	;; [unrolled: 1-line block ×16, first 2 shown]
	ds_read2_b64 v[35:38], v34 offset0:128 offset1:160
	v_mul_u32_u24_sdwa v42, v43, s31 dst_sel:DWORD dst_unused:UNUSED_PAD src0_sel:WORD_0 src1_sel:DWORD
	v_mul_u32_u24_sdwa v43, v43, s31 dst_sel:DWORD dst_unused:UNUSED_PAD src0_sel:WORD_1 src1_sel:DWORD
	v_mul_u32_u24_sdwa v69, v44, s31 dst_sel:DWORD dst_unused:UNUSED_PAD src0_sel:WORD_0 src1_sel:DWORD
	v_mul_u32_u24_sdwa v44, v44, s31 dst_sel:DWORD dst_unused:UNUSED_PAD src0_sel:WORD_1 src1_sel:DWORD
	s_waitcnt lgkmcnt(0)
	v_pk_fma_f16 v47, v35, v42, v47
	v_pk_fma_f16 v70, v35, v43, v48
	v_pk_fma_f16 v71, v35, v69, v49
	v_pk_fma_f16 v35, v35, v44, v50
	v_pk_fma_f16 v72, v36, v42, v51
	ds_read2_b64 v[48:51], v34 offset0:192 offset1:224
	s_waitcnt lgkmcnt(0)
	s_barrier
	s_load_dword s8, s[0:1], 0x4
	v_pk_fma_f16 v52, v36, v43, v52
	v_pk_fma_f16 v53, v36, v69, v53
	;; [unrolled: 1-line block ×4, first 2 shown]
	s_waitcnt lgkmcnt(0)
	s_lshl_b32 s8, s8, 5
	v_pk_fma_f16 v55, v37, v43, v56
	v_pk_fma_f16 v56, v37, v69, v67
	;; [unrolled: 1-line block ×7, first 2 shown]
	v_mul_u32_u24_sdwa v43, v45, s31 dst_sel:DWORD dst_unused:UNUSED_PAD src0_sel:WORD_0 src1_sel:DWORD
	v_mul_u32_u24_sdwa v73, v45, s31 dst_sel:DWORD dst_unused:UNUSED_PAD src0_sel:WORD_1 src1_sel:DWORD
	v_mul_u32_u24_sdwa v74, v46, s31 dst_sel:DWORD dst_unused:UNUSED_PAD src0_sel:WORD_0 src1_sel:DWORD
	v_mul_u32_u24_sdwa v75, v46, s31 dst_sel:DWORD dst_unused:UNUSED_PAD src0_sel:WORD_1 src1_sel:DWORD
	s_add_i32 s6, s8, s6
	v_pk_fma_f16 v44, v48, v43, v47
	v_pk_fma_f16 v41, v48, v73, v70
	;; [unrolled: 1-line block ×15, first 2 shown]
	s_cmp_ge_i32 s6, s28
	v_pk_fma_f16 v33, v51, v75, v69
	s_cbranch_scc1 .LBB58_7
; %bb.29:                               ;   in Loop: Header=BB58_12 Depth=1
	v_mov_b32_e32 v56, v1
	v_mov_b32_e32 v54, v2
	;; [unrolled: 1-line block ×8, first 2 shown]
	s_branch .LBB58_12
.LBB58_30:
	v_mov_b32_e32 v12, v8
	v_mov_b32_e32 v11, v7
	;; [unrolled: 1-line block ×4, first 2 shown]
	v_cmp_gt_i32_e32 vcc, s2, v14
	s_and_saveexec_b64 s[0:1], vcc
	s_cbranch_execz .LBB58_9
.LBB58_31:
	s_load_dword s6, s[4:5], 0xd4
	v_mov_b32_e32 v17, 1.0
	s_waitcnt lgkmcnt(0)
	s_cmp_lg_u32 s6, 1
	s_cselect_b64 s[0:1], -1, 0
	s_cmp_eq_u32 s6, 1
	s_cselect_b64 s[4:5], -1, 0
	s_and_b64 vcc, exec, s[0:1]
	s_cbranch_vccnz .LBB58_33
; %bb.32:
	v_div_scale_f32 v13, s[8:9], v5, v5, 1.0
	v_div_scale_f32 v17, vcc, 1.0, v5, 1.0
	v_rcp_f32_e32 v18, v13
	v_fma_f32 v19, -v13, v18, 1.0
	v_fmac_f32_e32 v18, v19, v18
	v_mul_f32_e32 v19, v17, v18
	v_fma_f32 v20, -v13, v19, v17
	v_fmac_f32_e32 v19, v20, v18
	v_fma_f32 v13, -v13, v19, v17
	v_div_fmas_f32 v13, v13, v18, v19
	v_div_fixup_f32 v17, v13, v5, 1.0
.LBB58_33:
	s_mul_i32 s33, s33, s2
	v_add_u32_e32 v5, s33, v14
	v_mul_lo_u32 v5, v5, s3
	v_cmp_eq_u32_e32 vcc, 0, v0
	v_cvt_f32_f16_sdwa v0, v48 dst_sel:DWORD dst_unused:UNUSED_PAD src0_sel:WORD_1
	v_mov_b32_e32 v23, 0
	v_add3_u32 v5, s29, v16, v5
	v_mul_lo_u32 v5, s6, v5
	v_cvt_f32_f16_e32 v14, v48
	v_cvt_f32_f16_sdwa v16, v44 dst_sel:DWORD dst_unused:UNUSED_PAD src0_sel:WORD_1
	v_cvt_f32_f16_e32 v18, v44
	v_add_u32_e32 v13, s7, v5
	v_lshl_add_u32 v22, v13, 8, v15
	v_lshlrev_b64 v[24:25], 2, v[22:23]
	s_and_b64 s[2:3], vcc, s[0:1]
	v_mul_f32_e32 v21, v17, v0
	v_mov_b32_e32 v0, s21
	v_add_co_u32_e32 v24, vcc, s20, v24
	v_addc_co_u32_e32 v25, vcc, v0, v25, vcc
	v_cvt_f32_f16_sdwa v0, v47 dst_sel:DWORD dst_unused:UNUSED_PAD src0_sel:WORD_1
	v_mul_f32_e32 v20, v17, v14
	v_mul_f32_e32 v19, v17, v16
	;; [unrolled: 1-line block ×3, first 2 shown]
	v_cvt_f32_f16_e32 v5, v47
	v_cvt_f32_f16_sdwa v14, v46 dst_sel:DWORD dst_unused:UNUSED_PAD src0_sel:WORD_1
	v_cvt_f32_f16_e32 v16, v46
	v_add_u32_e32 v22, 0x80, v22
	global_store_dwordx4 v[24:25], v[18:21], off
	s_nop 0
	v_lshlrev_b64 v[21:22], 2, v[22:23]
	v_mul_f32_e32 v20, v17, v0
	v_mov_b32_e32 v0, s21
	v_add_co_u32_e32 v21, vcc, s20, v21
	v_mul_f32_e32 v19, v17, v5
	v_mul_f32_e32 v18, v17, v14
	v_mul_f32_e32 v17, v17, v16
	v_addc_co_u32_e32 v22, vcc, v0, v22, vcc
	global_store_dwordx4 v[21:22], v[17:20], off
	s_and_saveexec_b64 s[0:1], s[2:3]
	s_cbranch_execz .LBB58_35
; %bb.34:
	v_ashrrev_i32_e32 v14, 31, v13
	v_lshlrev_b64 v[16:17], 3, v[13:14]
	v_mov_b32_e32 v0, s23
	v_add_co_u32_e32 v16, vcc, s22, v16
	v_addc_co_u32_e32 v17, vcc, v0, v17, vcc
	v_mov_b32_e32 v0, v1
	v_mov_b32_e32 v1, v9
	global_store_dwordx2 v[16:17], v[0:1], off
.LBB58_35:
	s_or_b64 exec, exec, s[0:1]
	v_cndmask_b32_e64 v0, 0, 1, s[4:5]
	v_cmp_ne_u32_e64 s[0:1], 1, v0
	s_andn2_b64 vcc, exec, s[4:5]
	v_mov_b32_e32 v1, 1.0
	s_cbranch_vccnz .LBB58_37
; %bb.36:
	v_div_scale_f32 v0, s[4:5], v6, v6, 1.0
	v_div_scale_f32 v1, vcc, 1.0, v6, 1.0
	v_rcp_f32_e32 v5, v0
	v_fma_f32 v9, -v0, v5, 1.0
	v_fmac_f32_e32 v5, v9, v5
	v_mul_f32_e32 v9, v1, v5
	v_fma_f32 v14, -v0, v9, v1
	v_fmac_f32_e32 v9, v14, v5
	v_fma_f32 v0, -v0, v9, v1
	v_div_fmas_f32 v0, v0, v5, v9
	v_div_fixup_f32 v1, v0, v6, 1.0
.LBB58_37:
	v_cvt_f32_f16_sdwa v6, v45 dst_sel:DWORD dst_unused:UNUSED_PAD src0_sel:WORD_1
	v_add_u32_e32 v0, s6, v13
	v_cvt_f32_f16_sdwa v13, v41 dst_sel:DWORD dst_unused:UNUSED_PAD src0_sel:WORD_1
	v_cvt_f32_f16_e32 v14, v41
	v_cvt_f32_f16_e32 v9, v45
	v_lshl_add_u32 v5, v0, 8, v15
	v_mul_f32_e32 v19, v1, v6
	v_mov_b32_e32 v6, 0
	v_mul_f32_e32 v17, v1, v13
	v_mul_f32_e32 v16, v1, v14
	v_lshlrev_b64 v[13:14], 2, v[5:6]
	v_mul_f32_e32 v18, v1, v9
	v_mov_b32_e32 v9, s21
	v_add_co_u32_e32 v13, vcc, s20, v13
	v_addc_co_u32_e32 v14, vcc, v9, v14, vcc
	global_store_dwordx4 v[13:14], v[16:19], off
	v_cvt_f32_f16_sdwa v9, v43 dst_sel:DWORD dst_unused:UNUSED_PAD src0_sel:WORD_1
	v_cvt_f32_f16_e32 v13, v43
	v_cvt_f32_f16_sdwa v14, v42 dst_sel:DWORD dst_unused:UNUSED_PAD src0_sel:WORD_1
	v_cvt_f32_f16_e32 v16, v42
	v_add_u32_e32 v5, 0x80, v5
	v_lshlrev_b64 v[5:6], 2, v[5:6]
	v_mul_f32_e32 v19, v1, v9
	v_mul_f32_e32 v18, v1, v13
	;; [unrolled: 1-line block ×4, first 2 shown]
	v_mov_b32_e32 v1, s21
	v_add_co_u32_e32 v5, vcc, s20, v5
	v_addc_co_u32_e32 v6, vcc, v1, v6, vcc
	global_store_dwordx4 v[5:6], v[16:19], off
	s_and_saveexec_b64 s[4:5], s[2:3]
	s_cbranch_execz .LBB58_39
; %bb.38:
	v_ashrrev_i32_e32 v1, 31, v0
	v_lshlrev_b64 v[5:6], 3, v[0:1]
	v_mov_b32_e32 v1, s23
	v_add_co_u32_e32 v5, vcc, s22, v5
	v_addc_co_u32_e32 v6, vcc, v1, v6, vcc
	v_mov_b32_e32 v9, v2
	global_store_dwordx2 v[5:6], v[9:10], off
.LBB58_39:
	s_or_b64 exec, exec, s[4:5]
	s_and_b64 vcc, exec, s[0:1]
	v_mov_b32_e32 v1, 1.0
	s_cbranch_vccnz .LBB58_41
; %bb.40:
	v_div_scale_f32 v1, s[4:5], v7, v7, 1.0
	v_div_scale_f32 v2, vcc, 1.0, v7, 1.0
	v_rcp_f32_e32 v5, v1
	v_fma_f32 v6, -v1, v5, 1.0
	v_fmac_f32_e32 v5, v6, v5
	v_mul_f32_e32 v6, v2, v5
	v_fma_f32 v9, -v1, v6, v2
	v_fmac_f32_e32 v6, v9, v5
	v_fma_f32 v1, -v1, v6, v2
	v_div_fmas_f32 v1, v1, v5, v6
	v_div_fixup_f32 v1, v1, v7, 1.0
.LBB58_41:
	v_cvt_f32_f16_e32 v6, v40
	v_cvt_f32_f16_e32 v9, v37
	v_add_u32_e32 v0, s6, v0
	v_cvt_f32_f16_sdwa v2, v40 dst_sel:DWORD dst_unused:UNUSED_PAD src0_sel:WORD_1
	v_lshl_add_u32 v5, v0, 8, v15
	v_cvt_f32_f16_sdwa v7, v37 dst_sel:DWORD dst_unused:UNUSED_PAD src0_sel:WORD_1
	v_mul_f32_e32 v18, v1, v6
	v_mov_b32_e32 v6, 0
	v_mul_f32_e32 v16, v1, v9
	v_lshlrev_b64 v[9:10], 2, v[5:6]
	v_mul_f32_e32 v19, v1, v2
	v_mov_b32_e32 v2, s21
	v_add_co_u32_e32 v9, vcc, s20, v9
	v_mul_f32_e32 v17, v1, v7
	v_addc_co_u32_e32 v10, vcc, v2, v10, vcc
	global_store_dwordx4 v[9:10], v[16:19], off
	v_cvt_f32_f16_sdwa v2, v39 dst_sel:DWORD dst_unused:UNUSED_PAD src0_sel:WORD_1
	v_cvt_f32_f16_e32 v7, v39
	v_cvt_f32_f16_sdwa v9, v38 dst_sel:DWORD dst_unused:UNUSED_PAD src0_sel:WORD_1
	v_cvt_f32_f16_e32 v10, v38
	v_add_u32_e32 v5, 0x80, v5
	v_mul_f32_e32 v19, v1, v2
	v_mul_f32_e32 v18, v1, v7
	;; [unrolled: 1-line block ×4, first 2 shown]
	v_lshlrev_b64 v[1:2], 2, v[5:6]
	v_mov_b32_e32 v5, s21
	v_add_co_u32_e32 v1, vcc, s20, v1
	v_addc_co_u32_e32 v2, vcc, v5, v2, vcc
	global_store_dwordx4 v[1:2], v[16:19], off
	s_and_saveexec_b64 s[4:5], s[2:3]
	s_cbranch_execz .LBB58_43
; %bb.42:
	v_ashrrev_i32_e32 v1, 31, v0
	v_lshlrev_b64 v[1:2], 3, v[0:1]
	v_mov_b32_e32 v5, s23
	v_add_co_u32_e32 v1, vcc, s22, v1
	v_addc_co_u32_e32 v2, vcc, v5, v2, vcc
	v_mov_b32_e32 v10, v3
	global_store_dwordx2 v[1:2], v[10:11], off
.LBB58_43:
	s_or_b64 exec, exec, s[4:5]
	s_and_b64 vcc, exec, s[0:1]
	v_mov_b32_e32 v1, 1.0
	s_cbranch_vccnz .LBB58_45
; %bb.44:
	v_div_scale_f32 v1, s[0:1], v8, v8, 1.0
	v_div_scale_f32 v2, vcc, 1.0, v8, 1.0
	v_rcp_f32_e32 v3, v1
	v_fma_f32 v5, -v1, v3, 1.0
	v_fmac_f32_e32 v3, v5, v3
	v_mul_f32_e32 v5, v2, v3
	v_fma_f32 v6, -v1, v5, v2
	v_fmac_f32_e32 v5, v6, v3
	v_fma_f32 v1, -v1, v5, v2
	v_div_fmas_f32 v1, v1, v3, v5
	v_div_fixup_f32 v1, v1, v8, 1.0
.LBB58_45:
	v_cvt_f32_f16_sdwa v3, v36 dst_sel:DWORD dst_unused:UNUSED_PAD src0_sel:WORD_1
	v_cvt_f32_f16_e32 v5, v36
	v_cvt_f32_f16_e32 v9, v35
	v_add_u32_e32 v0, s6, v0
	v_lshl_add_u32 v2, v0, 8, v15
	v_cvt_f32_f16_sdwa v6, v35 dst_sel:DWORD dst_unused:UNUSED_PAD src0_sel:WORD_1
	v_mul_f32_e32 v8, v1, v3
	v_mov_b32_e32 v3, 0
	v_mul_f32_e32 v7, v1, v5
	v_mul_f32_e32 v5, v1, v9
	v_lshlrev_b64 v[9:10], 2, v[2:3]
	v_mov_b32_e32 v11, s21
	v_add_co_u32_e32 v9, vcc, s20, v9
	v_mul_f32_e32 v6, v1, v6
	v_addc_co_u32_e32 v10, vcc, v11, v10, vcc
	global_store_dwordx4 v[9:10], v[5:8], off
	v_cvt_f32_f16_sdwa v9, v34 dst_sel:DWORD dst_unused:UNUSED_PAD src0_sel:WORD_1
	v_cvt_f32_f16_sdwa v5, v33 dst_sel:DWORD dst_unused:UNUSED_PAD src0_sel:WORD_1
	v_cvt_f32_f16_e32 v6, v33
	v_cvt_f32_f16_e32 v10, v34
	v_add_u32_e32 v2, 0x80, v2
	v_mul_f32_e32 v8, v1, v5
	v_mul_f32_e32 v7, v1, v6
	;; [unrolled: 1-line block ×4, first 2 shown]
	v_lshlrev_b64 v[1:2], 2, v[2:3]
	v_mov_b32_e32 v3, s21
	v_add_co_u32_e32 v1, vcc, s20, v1
	v_addc_co_u32_e32 v2, vcc, v3, v2, vcc
	global_store_dwordx4 v[1:2], v[5:8], off
	s_and_b64 exec, exec, s[2:3]
	s_cbranch_execz .LBB58_9
; %bb.46:
	v_ashrrev_i32_e32 v1, 31, v0
	v_lshlrev_b64 v[0:1], 3, v[0:1]
	v_mov_b32_e32 v2, s23
	v_add_co_u32_e32 v0, vcc, s22, v0
	v_addc_co_u32_e32 v1, vcc, v2, v1, vcc
	v_mov_b32_e32 v11, v4
	global_store_dwordx2 v[0:1], v[11:12], off
	s_endpgm
	.section	.rodata,"a",@progbits
	.p2align	6, 0x0
	.amdhsa_kernel _ZL15flash_attn_tileILi256ELi256ELi4ELi8ELb1EEvPKcS1_S1_S1_S1_PKiPfP15HIP_vector_typeIfLj2EEffffjfiS5_IjLj3EEiiiiiiiiiiiliiliiiiil
		.amdhsa_group_segment_fixed_size 27136
		.amdhsa_private_segment_fixed_size 0
		.amdhsa_kernarg_size 464
		.amdhsa_user_sgpr_count 6
		.amdhsa_user_sgpr_private_segment_buffer 1
		.amdhsa_user_sgpr_dispatch_ptr 0
		.amdhsa_user_sgpr_queue_ptr 0
		.amdhsa_user_sgpr_kernarg_segment_ptr 1
		.amdhsa_user_sgpr_dispatch_id 0
		.amdhsa_user_sgpr_flat_scratch_init 0
		.amdhsa_user_sgpr_private_segment_size 0
		.amdhsa_uses_dynamic_stack 0
		.amdhsa_system_sgpr_private_segment_wavefront_offset 0
		.amdhsa_system_sgpr_workgroup_id_x 1
		.amdhsa_system_sgpr_workgroup_id_y 1
		.amdhsa_system_sgpr_workgroup_id_z 1
		.amdhsa_system_sgpr_workgroup_info 0
		.amdhsa_system_vgpr_workitem_id 1
		.amdhsa_next_free_vgpr 97
		.amdhsa_next_free_sgpr 98
		.amdhsa_reserve_vcc 1
		.amdhsa_reserve_flat_scratch 0
		.amdhsa_float_round_mode_32 0
		.amdhsa_float_round_mode_16_64 0
		.amdhsa_float_denorm_mode_32 3
		.amdhsa_float_denorm_mode_16_64 3
		.amdhsa_dx10_clamp 1
		.amdhsa_ieee_mode 1
		.amdhsa_fp16_overflow 0
		.amdhsa_exception_fp_ieee_invalid_op 0
		.amdhsa_exception_fp_denorm_src 0
		.amdhsa_exception_fp_ieee_div_zero 0
		.amdhsa_exception_fp_ieee_overflow 0
		.amdhsa_exception_fp_ieee_underflow 0
		.amdhsa_exception_fp_ieee_inexact 0
		.amdhsa_exception_int_div_zero 0
	.end_amdhsa_kernel
	.section	.text._ZL15flash_attn_tileILi256ELi256ELi4ELi8ELb1EEvPKcS1_S1_S1_S1_PKiPfP15HIP_vector_typeIfLj2EEffffjfiS5_IjLj3EEiiiiiiiiiiiliiliiiiil,"axG",@progbits,_ZL15flash_attn_tileILi256ELi256ELi4ELi8ELb1EEvPKcS1_S1_S1_S1_PKiPfP15HIP_vector_typeIfLj2EEffffjfiS5_IjLj3EEiiiiiiiiiiiliiliiiiil,comdat
.Lfunc_end58:
	.size	_ZL15flash_attn_tileILi256ELi256ELi4ELi8ELb1EEvPKcS1_S1_S1_S1_PKiPfP15HIP_vector_typeIfLj2EEffffjfiS5_IjLj3EEiiiiiiiiiiiliiliiiiil, .Lfunc_end58-_ZL15flash_attn_tileILi256ELi256ELi4ELi8ELb1EEvPKcS1_S1_S1_S1_PKiPfP15HIP_vector_typeIfLj2EEffffjfiS5_IjLj3EEiiiiiiiiiiiliiliiiiil
                                        ; -- End function
	.set _ZL15flash_attn_tileILi256ELi256ELi4ELi8ELb1EEvPKcS1_S1_S1_S1_PKiPfP15HIP_vector_typeIfLj2EEffffjfiS5_IjLj3EEiiiiiiiiiiiliiliiiiil.num_vgpr, 97
	.set _ZL15flash_attn_tileILi256ELi256ELi4ELi8ELb1EEvPKcS1_S1_S1_S1_PKiPfP15HIP_vector_typeIfLj2EEffffjfiS5_IjLj3EEiiiiiiiiiiiliiliiiiil.num_agpr, 0
	.set _ZL15flash_attn_tileILi256ELi256ELi4ELi8ELb1EEvPKcS1_S1_S1_S1_PKiPfP15HIP_vector_typeIfLj2EEffffjfiS5_IjLj3EEiiiiiiiiiiiliiliiiiil.numbered_sgpr, 44
	.set _ZL15flash_attn_tileILi256ELi256ELi4ELi8ELb1EEvPKcS1_S1_S1_S1_PKiPfP15HIP_vector_typeIfLj2EEffffjfiS5_IjLj3EEiiiiiiiiiiiliiliiiiil.num_named_barrier, 0
	.set _ZL15flash_attn_tileILi256ELi256ELi4ELi8ELb1EEvPKcS1_S1_S1_S1_PKiPfP15HIP_vector_typeIfLj2EEffffjfiS5_IjLj3EEiiiiiiiiiiiliiliiiiil.private_seg_size, 0
	.set _ZL15flash_attn_tileILi256ELi256ELi4ELi8ELb1EEvPKcS1_S1_S1_S1_PKiPfP15HIP_vector_typeIfLj2EEffffjfiS5_IjLj3EEiiiiiiiiiiiliiliiiiil.uses_vcc, 1
	.set _ZL15flash_attn_tileILi256ELi256ELi4ELi8ELb1EEvPKcS1_S1_S1_S1_PKiPfP15HIP_vector_typeIfLj2EEffffjfiS5_IjLj3EEiiiiiiiiiiiliiliiiiil.uses_flat_scratch, 0
	.set _ZL15flash_attn_tileILi256ELi256ELi4ELi8ELb1EEvPKcS1_S1_S1_S1_PKiPfP15HIP_vector_typeIfLj2EEffffjfiS5_IjLj3EEiiiiiiiiiiiliiliiiiil.has_dyn_sized_stack, 0
	.set _ZL15flash_attn_tileILi256ELi256ELi4ELi8ELb1EEvPKcS1_S1_S1_S1_PKiPfP15HIP_vector_typeIfLj2EEffffjfiS5_IjLj3EEiiiiiiiiiiiliiliiiiil.has_recursion, 0
	.set _ZL15flash_attn_tileILi256ELi256ELi4ELi8ELb1EEvPKcS1_S1_S1_S1_PKiPfP15HIP_vector_typeIfLj2EEffffjfiS5_IjLj3EEiiiiiiiiiiiliiliiiiil.has_indirect_call, 0
	.section	.AMDGPU.csdata,"",@progbits
; Kernel info:
; codeLenInByte = 19312
; TotalNumSgprs: 48
; NumVgprs: 97
; ScratchSize: 0
; MemoryBound: 0
; FloatMode: 240
; IeeeMode: 1
; LDSByteSize: 27136 bytes/workgroup (compile time only)
; SGPRBlocks: 12
; VGPRBlocks: 24
; NumSGPRsForWavesPerEU: 102
; NumVGPRsForWavesPerEU: 97
; Occupancy: 2
; WaveLimiterHint : 1
; COMPUTE_PGM_RSRC2:SCRATCH_EN: 0
; COMPUTE_PGM_RSRC2:USER_SGPR: 6
; COMPUTE_PGM_RSRC2:TRAP_HANDLER: 0
; COMPUTE_PGM_RSRC2:TGID_X_EN: 1
; COMPUTE_PGM_RSRC2:TGID_Y_EN: 1
; COMPUTE_PGM_RSRC2:TGID_Z_EN: 1
; COMPUTE_PGM_RSRC2:TIDIG_COMP_CNT: 1
	.section	.text._ZL15flash_attn_tileILi256ELi256ELi2ELi8ELb1EEvPKcS1_S1_S1_S1_PKiPfP15HIP_vector_typeIfLj2EEffffjfiS5_IjLj3EEiiiiiiiiiiiliiliiiiil,"axG",@progbits,_ZL15flash_attn_tileILi256ELi256ELi2ELi8ELb1EEvPKcS1_S1_S1_S1_PKiPfP15HIP_vector_typeIfLj2EEffffjfiS5_IjLj3EEiiiiiiiiiiiliiliiiiil,comdat
	.globl	_ZL15flash_attn_tileILi256ELi256ELi2ELi8ELb1EEvPKcS1_S1_S1_S1_PKiPfP15HIP_vector_typeIfLj2EEffffjfiS5_IjLj3EEiiiiiiiiiiiliiliiiiil ; -- Begin function _ZL15flash_attn_tileILi256ELi256ELi2ELi8ELb1EEvPKcS1_S1_S1_S1_PKiPfP15HIP_vector_typeIfLj2EEffffjfiS5_IjLj3EEiiiiiiiiiiiliiliiiiil
	.p2align	8
	.type	_ZL15flash_attn_tileILi256ELi256ELi2ELi8ELb1EEvPKcS1_S1_S1_S1_PKiPfP15HIP_vector_typeIfLj2EEffffjfiS5_IjLj3EEiiiiiiiiiiiliiliiiiil,@function
_ZL15flash_attn_tileILi256ELi256ELi2ELi8ELb1EEvPKcS1_S1_S1_S1_PKiPfP15HIP_vector_typeIfLj2EEffffjfiS5_IjLj3EEiiiiiiiiiiiliiliiiiil: ; @_ZL15flash_attn_tileILi256ELi256ELi2ELi8ELb1EEvPKcS1_S1_S1_S1_PKiPfP15HIP_vector_typeIfLj2EEffffjfiS5_IjLj3EEiiiiiiiiiiiliiliiiiil
; %bb.0:
	s_load_dwordx4 s[0:3], s[4:5], 0x5c
	s_load_dwordx2 s[28:29], s[4:5], 0x80
	s_load_dwordx2 s[34:35], s[4:5], 0xb8
	s_mov_b64 s[30:31], 0
	s_waitcnt lgkmcnt(0)
	s_ashr_i32 s9, s3, 31
	s_lshr_b32 s9, s9, 29
	s_add_i32 s9, s3, s9
	s_ashr_i32 s9, s9, 3
	v_cvt_f32_u32_e32 v2, s9
	s_sub_i32 s10, 0, s9
	v_rcp_iflag_f32_e32 v2, v2
	v_mul_f32_e32 v2, 0x4f7ffffe, v2
	v_cvt_u32_f32_e32 v2, v2
	v_readfirstlane_b32 s11, v2
	s_mul_i32 s10, s10, s11
	s_mul_hi_u32 s10, s11, s10
	s_add_i32 s11, s11, s10
	s_mul_hi_u32 s10, s8, s11
	s_mul_i32 s11, s10, s9
	s_sub_i32 s11, s8, s11
	s_add_i32 s12, s10, 1
	s_sub_i32 s13, s11, s9
	s_cmp_ge_u32 s11, s9
	s_cselect_b32 s10, s12, s10
	s_cselect_b32 s11, s13, s11
	s_add_i32 s12, s10, 1
	s_cmp_ge_u32 s11, s9
	s_cselect_b32 s33, s12, s10
	s_abs_i32 s9, s29
	v_cvt_f32_u32_e32 v2, s9
	s_lshl_b32 s8, s8, 3
	s_mul_i32 s12, s33, s3
	s_xor_b32 s10, s3, s29
	v_rcp_iflag_f32_e32 v2, v2
	s_sub_i32 s13, 0, s9
	s_sub_i32 s29, s8, s12
	s_abs_i32 s11, s3
	v_mul_f32_e32 v2, 0x4f7ffffe, v2
	v_cvt_u32_f32_e32 v2, v2
	s_ashr_i32 s10, s10, 31
	v_readfirstlane_b32 s8, v2
	s_mul_i32 s13, s13, s8
	s_mul_hi_u32 s12, s8, s13
	s_add_i32 s8, s8, s12
	s_mul_hi_u32 s8, s11, s8
	s_mul_i32 s12, s8, s9
	s_sub_i32 s11, s11, s12
	s_add_i32 s13, s8, 1
	s_sub_i32 s12, s11, s9
	s_cmp_ge_u32 s11, s9
	s_cselect_b32 s8, s13, s8
	s_cselect_b32 s11, s12, s11
	s_add_i32 s12, s8, 1
	s_cmp_ge_u32 s11, s9
	s_cselect_b32 s8, s12, s8
	s_xor_b32 s8, s8, s10
	s_sub_i32 s37, s8, s10
	s_abs_i32 s36, s37
	v_cvt_f32_u32_e32 v2, s36
	s_load_dwordx16 s[8:23], s[4:5], 0x0
	v_rcp_iflag_f32_e32 v2, v2
	s_waitcnt lgkmcnt(0)
	s_cmp_eq_u64 s[14:15], 0
	v_mul_f32_e32 v2, 0x4f7ffffe, v2
	v_cvt_u32_f32_e32 v2, v2
	v_readfirstlane_b32 s24, v2
	s_cbranch_scc1 .LBB59_2
; %bb.1:
	s_abs_i32 s25, s34
	v_cvt_f32_u32_e32 v2, s25
	s_sub_i32 s34, 0, s25
	s_abs_i32 s31, s33
	s_ashr_i32 s30, s33, 31
	v_rcp_iflag_f32_e32 v2, v2
	s_load_dwordx2 s[26:27], s[4:5], 0xc8
	v_mul_f32_e32 v2, 0x4f7ffffe, v2
	v_cvt_u32_f32_e32 v2, v2
	v_readfirstlane_b32 s38, v2
	s_mul_i32 s34, s34, s38
	s_mul_hi_u32 s34, s38, s34
	s_add_i32 s38, s38, s34
	s_mul_hi_u32 s34, s31, s38
	s_mul_i32 s34, s34, s25
	s_sub_i32 s31, s31, s34
	s_sub_i32 s34, s31, s25
	s_cmp_ge_u32 s31, s25
	s_cselect_b32 s31, s34, s31
	s_sub_i32 s34, s31, s25
	s_cmp_ge_u32 s31, s25
	s_cselect_b32 s25, s34, s31
	s_xor_b32 s25, s25, s30
	s_sub_i32 s25, s25, s30
	s_ashr_i32 s30, s25, 31
	s_waitcnt lgkmcnt(0)
	s_mul_hi_u32 s31, s26, s25
	s_mul_i32 s30, s26, s30
	s_mul_i32 s27, s27, s25
	s_add_i32 s30, s31, s30
	s_add_i32 s27, s30, s27
	s_mul_i32 s25, s26, s25
	s_add_u32 s30, s14, s25
	s_addc_u32 s31, s15, s27
.LBB59_2:
	v_lshrrev_b32_e32 v2, 2, v1
	s_load_dwordx4 s[40:43], s[4:5], 0x70
	v_lshl_add_u32 v16, s6, 1, v2
	v_mul_hi_u32 v2, s0, v16
	v_lshlrev_b32_e32 v10, 4, v0
	s_waitcnt lgkmcnt(0)
	s_mul_i32 s0, s33, s42
	v_add_u32_e32 v2, v16, v2
	s_ashr_i32 s15, s0, 31
	v_lshrrev_b32_e32 v2, s1, v2
	s_mul_i32 s14, s29, s41
	s_add_u32 s0, s8, s0
	v_mul_lo_u32 v2, v2, s2
	s_addc_u32 s8, s9, s15
	s_ashr_i32 s9, s14, 31
	s_add_u32 s25, s0, s14
	s_addc_u32 s14, s8, s9
	s_ashr_i32 s1, s41, 31
	s_mov_b32 s0, s41
	s_ashr_i32 s41, s40, 31
	v_sub_u32_e32 v2, v16, v2
	s_lshr_b64 s[8:9], s[40:41], 2
	v_mad_u64_u32 v[4:5], s[8:9], s8, v2, 0
	s_lshr_b32 s8, s41, 2
	v_mov_b32_e32 v8, s14
	v_mov_b32_e32 v3, v5
	v_mad_u64_u32 v[5:6], s[8:9], s8, v2, v[3:4]
	v_lshlrev_b32_e32 v3, 1, v1
	s_lshr_b64 s[8:9], s[0:1], 2
	v_and_b32_e32 v17, 6, v3
	v_mad_u64_u32 v[6:7], s[14:15], s8, v17, 0
	v_lshlrev_b64 v[4:5], 2, v[4:5]
	s_lshr_b32 s9, s1, 2
	v_add_co_u32_e32 v9, vcc, s25, v4
	v_mov_b32_e32 v4, v7
	v_or_b32_e32 v28, 1, v3
	v_addc_co_u32_e32 v8, vcc, v8, v5, vcc
	v_mad_u64_u32 v[4:5], s[0:1], s9, v17, v[4:5]
	v_and_b32_e32 v11, 7, v28
	v_mad_u64_u32 v[13:14], s[0:1], s8, v11, 0
	v_mov_b32_e32 v7, v4
	v_lshlrev_b64 v[4:5], 2, v[6:7]
	v_mov_b32_e32 v6, v14
	v_mad_u64_u32 v[14:15], s[0:1], s9, v11, v[6:7]
	v_add_co_u32_e32 v20, vcc, v9, v10
	v_addc_co_u32_e32 v21, vcc, 0, v8, vcc
	v_add_co_u32_e32 v18, vcc, v20, v4
	v_addc_co_u32_e32 v19, vcc, v21, v5, vcc
	v_lshlrev_b64 v[13:14], 2, v[13:14]
	global_load_dwordx4 v[5:8], v[18:19], off
	global_load_dwordx4 v[9:12], v[18:19], off offset:512
	v_add_co_u32_e32 v13, vcc, v20, v13
	v_addc_co_u32_e32 v14, vcc, v21, v14, vcc
	global_load_dwordx4 v[20:23], v[13:14], off
	global_load_dwordx4 v[24:27], v[13:14], off offset:512
	s_load_dword s0, s[4:5], 0x40
	v_lshlrev_b32_e32 v19, 3, v0
	v_lshlrev_b32_e32 v4, 10, v1
	v_add_u32_e32 v13, 0x2200, v19
	v_add_u32_e32 v14, v13, v4
	v_lshl_add_u32 v13, v28, 9, v13
	s_cmp_eq_u64 s[18:19], 0
	s_waitcnt vmcnt(3) lgkmcnt(0)
	v_fma_mixlo_f16 v5, s0, v5, 0
	v_fma_mixlo_f16 v6, s0, v6, 0
	;; [unrolled: 1-line block ×4, first 2 shown]
	s_waitcnt vmcnt(2)
	v_fma_mixlo_f16 v9, s0, v9, 0
	v_fma_mixlo_f16 v10, s0, v10, 0
	;; [unrolled: 1-line block ×4, first 2 shown]
	v_lshlrev_b32_e32 v6, 16, v6
	v_and_b32_e32 v5, 0xffff, v5
	v_lshlrev_b32_e32 v8, 16, v8
	v_and_b32_e32 v7, 0xffff, v7
	;; [unrolled: 2-line block ×4, first 2 shown]
	v_or_b32_e32 v5, v6, v5
	v_or3_b32 v6, v8, v7, 0
	v_or_b32_e32 v7, v10, v9
	s_waitcnt vmcnt(1)
	v_fma_mixlo_f16 v15, s0, v20, 0
	v_fma_mixlo_f16 v18, s0, v21, 0
	;; [unrolled: 1-line block ×4, first 2 shown]
	s_waitcnt vmcnt(0)
	v_fma_mixlo_f16 v22, s0, v24, 0
	v_fma_mixlo_f16 v23, s0, v25, 0
	v_or3_b32 v8, v12, v11, 0
	v_or3_b32 v5, 0, 0, v5
	;; [unrolled: 1-line block ×3, first 2 shown]
	v_lshlrev_b32_e32 v18, 16, v18
	v_and_b32_e32 v15, 0xffff, v15
	v_lshlrev_b32_e32 v23, 16, v23
	ds_write2_b64 v14, v[5:6], v[7:8] offset1:32
	v_and_b32_e32 v5, 0xffff, v22
	v_fma_mixlo_f16 v6, s0, v26, 0
	v_fma_mixlo_f16 v7, s0, v27, 0
	v_lshlrev_b32_e32 v21, 16, v21
	v_and_b32_e32 v20, 0xffff, v20
	v_or_b32_e32 v9, v18, v15
	v_or_b32_e32 v5, v23, v5
	v_lshlrev_b32_e32 v7, 16, v7
	v_and_b32_e32 v6, 0xffff, v6
	v_or3_b32 v10, v21, v20, 0
	v_or3_b32 v9, 0, 0, v9
	;; [unrolled: 1-line block ×4, first 2 shown]
	ds_write2_b64 v13, v[9:10], v[5:6] offset1:32
	s_waitcnt lgkmcnt(0)
	s_barrier
	s_cbranch_scc1 .LBB59_4
; %bb.3:
	s_load_dword s0, s[4:5], 0xd0
	s_mov_b32 s1, 0
	s_waitcnt lgkmcnt(0)
	s_mul_i32 s0, s0, s33
	s_add_i32 s0, s0, s6
	s_lshl_b64 s[0:1], s[0:1], 2
	s_add_u32 s0, s18, s0
	s_addc_u32 s1, s19, s1
	s_load_dword s28, s[0:1], 0x0
.LBB59_4:
	s_lshl_b32 s6, s7, 5
	v_lshlrev_b32_e32 v18, 2, v0
	s_waitcnt lgkmcnt(0)
	s_cmp_lt_i32 s6, s28
	v_mbcnt_lo_u32_b32 v14, -1, 0
	s_cbranch_scc1 .LBB59_10
; %bb.5:
	v_mbcnt_hi_u32_b32 v20, -1, v14
	v_and_b32_e32 v5, 0x60, v20
	v_add_u32_e32 v47, 32, v5
	v_xor_b32_e32 v48, 16, v20
	v_xor_b32_e32 v49, 8, v20
	;; [unrolled: 1-line block ×5, first 2 shown]
	s_cbranch_execz .LBB59_11
; %bb.6:
	v_mov_b32_e32 v36, 0
	v_mov_b32_e32 v54, 0
	;; [unrolled: 1-line block ×12, first 2 shown]
.LBB59_7:
	v_cmp_lt_i32_e32 vcc, v48, v47
	v_cndmask_b32_e32 v1, v20, v48, vcc
	v_lshlrev_b32_e32 v1, 2, v1
	ds_bpermute_b32 v2, v1, v53
	ds_bpermute_b32 v1, v1, v54
	v_cmp_lt_i32_e32 vcc, v49, v47
	v_cndmask_b32_e32 v3, v20, v49, vcc
	v_lshlrev_b32_e32 v3, 2, v3
	s_waitcnt lgkmcnt(1)
	v_add_f32_e32 v2, v53, v2
	s_waitcnt lgkmcnt(0)
	v_add_f32_e32 v1, v54, v1
	ds_bpermute_b32 v4, v3, v2
	ds_bpermute_b32 v3, v3, v1
	v_cmp_lt_i32_e32 vcc, v50, v47
	v_cndmask_b32_e32 v5, v20, v50, vcc
	v_lshlrev_b32_e32 v5, 2, v5
	s_waitcnt lgkmcnt(1)
	v_add_f32_e32 v2, v2, v4
	s_waitcnt lgkmcnt(0)
	v_add_f32_e32 v1, v1, v3
	;; [unrolled: 9-line block ×4, first 2 shown]
	ds_bpermute_b32 v4, v5, v2
	ds_bpermute_b32 v5, v5, v3
	s_cmp_lg_u64 s[16:17], 0
	s_cselect_b64 s[0:1], -1, 0
	s_cmp_eq_u32 s7, 0
	s_cselect_b64 s[8:9], -1, 0
	s_and_b64 s[0:1], s[8:9], s[0:1]
	s_waitcnt lgkmcnt(1)
	v_add_f32_e32 v1, v2, v4
	s_waitcnt lgkmcnt(0)
	v_add_f32_e32 v2, v3, v5
	s_and_b64 vcc, exec, s[0:1]
	s_cbranch_vccz .LBB59_22
; %bb.8:
	v_add_u32_e32 v3, s29, v17
	v_ashrrev_i32_e32 v4, 31, v3
	v_lshlrev_b64 v[3:4], 2, v[3:4]
	v_mov_b32_e32 v5, s17
	v_add_co_u32_e32 v3, vcc, s16, v3
	v_addc_co_u32_e32 v4, vcc, v5, v4, vcc
	global_load_dwordx2 v[3:4], v[3:4], off
	v_max_f32_e32 v5, v14, v14
	v_max_f32_e32 v6, v15, v15
	s_mov_b32 s0, 0x3fb8aa3b
	s_mov_b32 s1, 0xc2ce8ed0
	;; [unrolled: 1-line block ×3, first 2 shown]
	v_mov_b32_e32 v7, 0x7f800000
	s_waitcnt vmcnt(0)
	v_max_f32_e32 v8, v3, v3
	v_max_f32_e32 v9, v4, v4
	;; [unrolled: 1-line block ×4, first 2 shown]
	v_sub_f32_e32 v8, v14, v5
	v_sub_f32_e32 v9, v15, v6
	v_mov_b32_e32 v15, v6
	v_sub_f32_e32 v3, v3, v5
	v_mov_b32_e32 v14, v5
	v_mul_f32_e32 v5, 0x3fb8aa3b, v8
	v_sub_f32_e32 v4, v4, v6
	v_mul_f32_e32 v6, 0x3fb8aa3b, v3
	v_fma_f32 v12, v8, s0, -v5
	v_rndne_f32_e32 v13, v5
	v_mul_f32_e32 v10, 0x3fb8aa3b, v9
	v_fma_f32 v19, v3, s0, -v6
	v_rndne_f32_e32 v20, v6
	v_fmac_f32_e32 v12, 0x32a5705f, v8
	v_sub_f32_e32 v5, v5, v13
	v_mul_f32_e32 v11, 0x3fb8aa3b, v4
	v_fma_f32 v21, v9, s0, -v10
	v_rndne_f32_e32 v22, v10
	v_fmac_f32_e32 v19, 0x32a5705f, v3
	v_sub_f32_e32 v6, v6, v20
	v_add_f32_e32 v5, v5, v12
	v_fma_f32 v23, v4, s0, -v11
	v_rndne_f32_e32 v24, v11
	v_cvt_i32_f32_e32 v13, v13
	v_fmac_f32_e32 v21, 0x32a5705f, v9
	v_sub_f32_e32 v10, v10, v22
	v_add_f32_e32 v6, v6, v19
	v_exp_f32_e32 v5, v5
	v_cvt_i32_f32_e32 v20, v20
	v_fmac_f32_e32 v23, 0x32a5705f, v4
	v_sub_f32_e32 v11, v11, v24
	v_add_f32_e32 v10, v10, v21
	v_exp_f32_e32 v6, v6
	v_cvt_i32_f32_e32 v22, v22
	v_add_f32_e32 v11, v11, v23
	v_exp_f32_e32 v10, v10
	v_cvt_i32_f32_e32 v24, v24
	v_exp_f32_e32 v11, v11
	v_ldexp_f32 v5, v5, v13
	v_cmp_ngt_f32_e32 vcc, s1, v8
	v_ldexp_f32 v6, v6, v20
	v_cndmask_b32_e32 v5, 0, v5, vcc
	v_cmp_ngt_f32_e32 vcc, s1, v3
	v_ldexp_f32 v10, v10, v22
	v_cndmask_b32_e32 v6, 0, v6, vcc
	;; [unrolled: 3-line block ×3, first 2 shown]
	v_cmp_ngt_f32_e32 vcc, s1, v4
	v_cndmask_b32_e32 v11, 0, v11, vcc
	v_cmp_nlt_f32_e32 vcc, s6, v8
	v_cndmask_b32_e32 v5, v7, v5, vcc
	v_cmp_nlt_f32_e32 vcc, s6, v3
	;; [unrolled: 2-line block ×4, first 2 shown]
	v_cndmask_b32_e32 v4, v7, v11, vcc
	v_fmac_f32_e32 v3, v1, v5
	v_cvt_f16_f32_e32 v5, v5
	v_cvt_f16_f32_e32 v7, v6
	v_fmac_f32_e32 v4, v2, v6
	v_mov_b32_e32 v1, v3
	v_mul_u32_u24_e32 v2, 0x10001, v5
	v_mul_u32_u24_e32 v5, 0x10001, v7
	v_pk_mul_f16 v36, v36, v2
	v_pk_mul_f16 v42, v42, v2
	;; [unrolled: 1-line block ×8, first 2 shown]
	v_mov_b32_e32 v2, v4
	v_cmp_gt_i32_e32 vcc, s2, v16
	s_and_saveexec_b64 s[0:1], vcc
	s_cbranch_execnz .LBB59_23
.LBB59_9:
	s_endpgm
.LBB59_10:
                                        ; implicit-def: $vgpr20
                                        ; implicit-def: $vgpr47
                                        ; implicit-def: $vgpr48
                                        ; implicit-def: $vgpr49
                                        ; implicit-def: $vgpr50
                                        ; implicit-def: $vgpr51
                                        ; implicit-def: $vgpr52
.LBB59_11:
	s_sub_i32 s0, 0, s36
	s_mul_i32 s0, s0, s24
	s_mul_hi_u32 s0, s24, s0
	s_abs_i32 s19, s29
	s_add_i32 s24, s24, s0
	s_mul_hi_u32 s34, s19, s24
	s_load_dwordx4 s[24:27], s[4:5], 0x98
	s_load_dword s14, s[4:5], 0x54
	s_load_dwordx2 s[0:1], s[4:5], 0x8c
	s_ashr_i32 s38, s29, 31
	s_ashr_i32 s37, s37, 31
	s_waitcnt lgkmcnt(0)
	s_ashr_i32 s15, s26, 2
	s_ashr_i32 s26, s35, 1
	;; [unrolled: 1-line block ×4, first 2 shown]
	s_mul_hi_u32 s35, s24, s33
	s_mul_i32 s39, s24, s0
	s_add_i32 s35, s35, s39
	s_mul_i32 s25, s25, s33
	s_add_i32 s35, s35, s25
	s_mul_i32 s24, s24, s33
	s_add_u32 s10, s10, s24
	s_mul_i32 s25, s34, s36
	s_addc_u32 s11, s11, s35
	s_sub_i32 s19, s19, s25
	s_xor_b32 s24, s38, s37
	s_add_i32 s25, s34, 1
	s_sub_i32 s35, s19, s36
	s_cmp_ge_u32 s19, s36
	s_cselect_b32 s25, s25, s34
	s_cselect_b32 s19, s35, s19
	s_add_i32 s34, s25, 1
	s_cmp_ge_u32 s19, s36
	s_load_dwordx2 s[8:9], s[4:5], 0xa8
	s_cselect_b32 s19, s34, s25
	s_xor_b32 s19, s19, s24
	s_sub_i32 s19, s19, s24
	s_mul_i32 s1, s19, s1
	s_ashr_i32 s24, s1, 31
	s_add_u32 s10, s10, s1
	s_waitcnt lgkmcnt(0)
	s_mul_hi_u32 s1, s8, s33
	s_mul_i32 s0, s8, s0
	s_addc_u32 s11, s11, s24
	s_add_i32 s0, s1, s0
	s_mul_i32 s1, s9, s33
	s_add_i32 s0, s0, s1
	s_mul_i32 s1, s8, s33
	s_add_u32 s1, s12, s1
	s_mul_i32 s19, s19, s27
	s_addc_u32 s0, s13, s0
	s_ashr_i32 s8, s19, 31
	s_add_u32 s12, s1, s19
	v_lshrrev_b32_e32 v5, 4, v0
	v_and_b32_e32 v11, 60, v18
	s_addc_u32 s13, s0, s8
	v_add_u32_e32 v3, v5, v3
	v_lshlrev_b32_e32 v5, 2, v11
	s_movk_i32 s0, 0x110
	v_mul_lo_u32 v7, s18, v3
	v_mad_u32_u24 v21, v3, s0, v5
	v_mad_u64_u32 v[5:6], s[0:1], v2, s26, v[0:1]
	v_mul_lo_u32 v2, s15, v1
	v_lshl_add_u32 v9, s18, 4, v7
	v_mov_b32_e32 v3, 0x4200
	v_ashrrev_i32_e32 v8, 31, v7
	v_lshl_add_u32 v12, s15, 3, v2
	v_ashrrev_i32_e32 v10, 31, v9
	v_lshl_add_u32 v25, v1, 7, v3
	v_lshlrev_b32_e32 v26, 2, v18
	v_ashrrev_i32_e32 v3, 31, v2
	v_ashrrev_i32_e32 v13, 31, v12
	v_lshl_add_u32 v27, v1, 9, v26
	s_add_u32 s0, s4, 0xd0
	v_lshlrev_b64 v[6:7], 2, v[7:8]
	v_lshlrev_b32_e32 v29, 2, v11
	v_lshlrev_b64 v[8:9], 2, v[9:10]
	v_lshlrev_b64 v[10:11], 2, v[2:3]
	;; [unrolled: 1-line block ×3, first 2 shown]
	v_mov_b32_e32 v37, 0
	v_add_u32_e32 v22, 0x1100, v21
	v_mul_u32_u24_e32 v23, 0x110, v0
	v_add_u32_e32 v24, 0x2200, v4
	v_add_u32_e32 v28, 0x1000, v27
	s_addc_u32 s1, s5, 0
	v_mov_b32_e32 v45, 0xfeffffff
	v_mov_b32_e32 v30, s31
	s_mov_b32 s19, 0x3f200000
	s_mov_b32 s24, 0x3fb8aa3b
	;; [unrolled: 1-line block ×4, first 2 shown]
	v_mov_b32_e32 v31, 0xbd5c1c4e
	v_mov_b32_e32 v32, 0x3e088382
	;; [unrolled: 1-line block ×3, first 2 shown]
	s_brev_b32 s27, -2
	s_mov_b32 s31, 0x10001
	v_mov_b32_e32 v34, 0x7f800000
	v_mbcnt_hi_u32_b32 v20, -1, v14
	v_mov_b32_e32 v38, 0
	v_mov_b32_e32 v39, 0
	;; [unrolled: 1-line block ×10, first 2 shown]
.LBB59_12:                              ; =>This Inner Loop Header: Depth=1
	s_mul_hi_i32 s9, s6, s18
	s_mul_i32 s8, s6, s18
	s_lshl_b64 s[8:9], s[8:9], 2
	s_add_u32 s8, s10, s8
	s_addc_u32 s9, s11, s9
	v_mov_b32_e32 v1, s9
	v_add_co_u32_e32 v2, vcc, s8, v6
	v_addc_co_u32_e32 v3, vcc, v1, v7, vcc
	v_add_co_u32_e32 v1, vcc, v2, v29
	v_addc_co_u32_e32 v2, vcc, 0, v3, vcc
	v_mov_b32_e32 v3, s9
	v_add_co_u32_e32 v4, vcc, s8, v8
	v_addc_co_u32_e32 v14, vcc, v3, v9, vcc
	v_add_co_u32_e32 v3, vcc, v4, v29
	v_addc_co_u32_e32 v4, vcc, 0, v14, vcc
	global_load_dwordx4 v[47:50], v[1:2], off
	global_load_dwordx4 v[51:54], v[3:4], off
	v_mov_b32_e32 v14, 0
	v_mov_b32_e32 v15, 0
	s_waitcnt vmcnt(1)
	ds_write_b128 v21, v[47:50]
	s_waitcnt vmcnt(0)
	ds_write_b128 v22, v[51:54]
	s_waitcnt lgkmcnt(0)
	s_barrier
	ds_read_b128 v[47:50], v23
	ds_read_b128 v[51:54], v24
	ds_read_b128 v[55:58], v24 offset:512
	s_waitcnt lgkmcnt(1)
	;;#ASMSTART
	v_dot2_f32_f16 v14, v47, v51, v14
	;;#ASMEND
	;;#ASMSTART
	v_dot2_f32_f16 v14, v48, v52, v14
	;;#ASMEND
	;;#ASMSTART
	v_dot2_f32_f16 v14, v49, v53, v14
	;;#ASMEND
	;;#ASMSTART
	v_dot2_f32_f16 v14, v50, v54, v14
	;;#ASMEND
	s_waitcnt lgkmcnt(0)
	;;#ASMSTART
	v_dot2_f32_f16 v15, v47, v55, v15
	;;#ASMEND
	;;#ASMSTART
	v_dot2_f32_f16 v15, v48, v56, v15
	;;#ASMEND
	;;#ASMSTART
	v_dot2_f32_f16 v15, v49, v57, v15
	;;#ASMEND
	;;#ASMSTART
	v_dot2_f32_f16 v15, v50, v58, v15
	;;#ASMEND
	ds_read_b128 v[47:50], v23 offset:16
	ds_read_b128 v[51:54], v24 offset:16
	ds_read_b128 v[55:58], v24 offset:528
	s_waitcnt lgkmcnt(1)
	;;#ASMSTART
	v_dot2_f32_f16 v14, v47, v51, v14
	;;#ASMEND
	;;#ASMSTART
	v_dot2_f32_f16 v14, v48, v52, v14
	;;#ASMEND
	;;#ASMSTART
	v_dot2_f32_f16 v14, v49, v53, v14
	;;#ASMEND
	;;#ASMSTART
	v_dot2_f32_f16 v14, v50, v54, v14
	;;#ASMEND
	s_waitcnt lgkmcnt(0)
	;;#ASMSTART
	v_dot2_f32_f16 v15, v47, v55, v15
	;;#ASMEND
	;;#ASMSTART
	v_dot2_f32_f16 v15, v48, v56, v15
	;;#ASMEND
	;;#ASMSTART
	v_dot2_f32_f16 v15, v49, v57, v15
	;;#ASMEND
	;;#ASMSTART
	v_dot2_f32_f16 v15, v50, v58, v15
	;;#ASMEND
	ds_read_b128 v[47:50], v23 offset:32
	ds_read_b128 v[51:54], v24 offset:32
	;; [unrolled: 29-line block ×15, first 2 shown]
	ds_read_b128 v[55:58], v24 offset:752
	s_waitcnt lgkmcnt(1)
	;;#ASMSTART
	v_dot2_f32_f16 v14, v47, v51, v14
	;;#ASMEND
	;;#ASMSTART
	v_dot2_f32_f16 v14, v48, v52, v14
	;;#ASMEND
	;; [unrolled: 3-line block ×4, first 2 shown]
	s_waitcnt lgkmcnt(0)
	;;#ASMSTART
	v_dot2_f32_f16 v15, v47, v55, v15
	;;#ASMEND
	;;#ASMSTART
	v_dot2_f32_f16 v15, v48, v56, v15
	;;#ASMEND
	;; [unrolled: 3-line block ×4, first 2 shown]
	s_barrier
	global_load_dwordx4 v[47:50], v[1:2], off offset:256
	global_load_dwordx4 v[51:54], v[3:4], off offset:256
	s_waitcnt vmcnt(1)
	ds_write_b128 v21, v[47:50]
	s_waitcnt vmcnt(0)
	ds_write_b128 v22, v[51:54]
	s_waitcnt lgkmcnt(0)
	s_barrier
	ds_read_b128 v[1:4], v23
	ds_read_b128 v[47:50], v24 offset:256
	ds_read_b128 v[51:54], v24 offset:768
	s_waitcnt lgkmcnt(1)
	;;#ASMSTART
	v_dot2_f32_f16 v14, v1, v47, v14
	;;#ASMEND
	;;#ASMSTART
	v_dot2_f32_f16 v14, v2, v48, v14
	;;#ASMEND
	;;#ASMSTART
	v_dot2_f32_f16 v14, v3, v49, v14
	;;#ASMEND
	;;#ASMSTART
	v_dot2_f32_f16 v14, v4, v50, v14
	;;#ASMEND
	s_waitcnt lgkmcnt(0)
	;;#ASMSTART
	v_dot2_f32_f16 v15, v1, v51, v15
	;;#ASMEND
	;;#ASMSTART
	v_dot2_f32_f16 v15, v2, v52, v15
	;;#ASMEND
	;;#ASMSTART
	v_dot2_f32_f16 v15, v3, v53, v15
	;;#ASMEND
	;;#ASMSTART
	v_dot2_f32_f16 v15, v4, v54, v15
	;;#ASMEND
	ds_read_b128 v[1:4], v23 offset:16
	ds_read_b128 v[47:50], v24 offset:272
	ds_read_b128 v[51:54], v24 offset:784
	s_waitcnt lgkmcnt(1)
	;;#ASMSTART
	v_dot2_f32_f16 v14, v1, v47, v14
	;;#ASMEND
	;;#ASMSTART
	v_dot2_f32_f16 v14, v2, v48, v14
	;;#ASMEND
	;;#ASMSTART
	v_dot2_f32_f16 v14, v3, v49, v14
	;;#ASMEND
	;;#ASMSTART
	v_dot2_f32_f16 v14, v4, v50, v14
	;;#ASMEND
	s_waitcnt lgkmcnt(0)
	;;#ASMSTART
	v_dot2_f32_f16 v15, v1, v51, v15
	;;#ASMEND
	;;#ASMSTART
	v_dot2_f32_f16 v15, v2, v52, v15
	;;#ASMEND
	;;#ASMSTART
	v_dot2_f32_f16 v15, v3, v53, v15
	;;#ASMEND
	;;#ASMSTART
	v_dot2_f32_f16 v15, v4, v54, v15
	;;#ASMEND
	ds_read_b128 v[1:4], v23 offset:32
	;; [unrolled: 29-line block ×14, first 2 shown]
	ds_read_b128 v[47:50], v24 offset:480
	v_add_u32_e32 v51, s6, v5
	v_ashrrev_i32_e32 v52, 31, v51
	v_lshlrev_b64 v[55:56], 1, v[51:52]
	ds_read_b128 v[51:54], v24 offset:992
	s_waitcnt lgkmcnt(1)
	;;#ASMSTART
	v_dot2_f32_f16 v14, v1, v47, v14
	;;#ASMEND
	;;#ASMSTART
	v_dot2_f32_f16 v14, v2, v48, v14
	;;#ASMEND
	;; [unrolled: 3-line block ×4, first 2 shown]
	s_waitcnt lgkmcnt(0)
	;;#ASMSTART
	v_dot2_f32_f16 v15, v1, v51, v15
	;;#ASMEND
	;;#ASMSTART
	v_dot2_f32_f16 v15, v2, v52, v15
	;;#ASMEND
	;; [unrolled: 3-line block ×4, first 2 shown]
	ds_read_b128 v[1:4], v23 offset:240
	ds_read_b128 v[47:50], v24 offset:496
	;; [unrolled: 1-line block ×3, first 2 shown]
	s_waitcnt lgkmcnt(1)
	;;#ASMSTART
	v_dot2_f32_f16 v14, v1, v47, v14
	;;#ASMEND
	;;#ASMSTART
	v_dot2_f32_f16 v14, v2, v48, v14
	;;#ASMEND
	;; [unrolled: 3-line block ×4, first 2 shown]
	s_waitcnt lgkmcnt(0)
	;;#ASMSTART
	v_dot2_f32_f16 v15, v1, v51, v15
	;;#ASMEND
	v_add_co_u32_e32 v55, vcc, s30, v55
	;;#ASMSTART
	v_dot2_f32_f16 v15, v2, v52, v15
	;;#ASMEND
	v_addc_co_u32_e32 v56, vcc, v30, v56, vcc
	;;#ASMSTART
	v_dot2_f32_f16 v15, v3, v53, v15
	;;#ASMEND
	;;#ASMSTART
	v_dot2_f32_f16 v15, v4, v54, v15
	;;#ASMEND
	global_load_ushort v1, v[55:56], off
	v_cmp_nlt_f32_e64 s[8:9], |v14|, s19
                                        ; implicit-def: $vgpr2
	s_and_saveexec_b64 s[34:35], s[8:9]
	s_xor_b64 s[8:9], exec, s[34:35]
	s_cbranch_execz .LBB59_14
; %bb.13:                               ;   in Loop: Header=BB59_12 Depth=1
	v_add_f32_e64 v2, |v14|, |v14|
	v_mul_f32_e32 v3, 0x3fb8aa3b, v2
	v_rndne_f32_e32 v4, v3
	v_sub_f32_e32 v47, v3, v4
	v_fma_f32 v3, v2, s24, -v3
	v_fmac_f32_e32 v3, 0x32a5705f, v2
	v_add_f32_e32 v3, v47, v3
	v_cvt_i32_f32_e32 v4, v4
	v_exp_f32_e32 v3, v3
	v_cmp_ngt_f32_e32 vcc, s25, v2
	v_ldexp_f32 v3, v3, v4
	v_cndmask_b32_e32 v3, 0, v3, vcc
	v_cmp_nlt_f32_e32 vcc, s26, v2
	v_cndmask_b32_e32 v2, v34, v3, vcc
	v_add_f32_e32 v2, 1.0, v2
	v_rcp_f32_e32 v2, v2
	v_fma_f32 v2, v2, -2.0, 1.0
.LBB59_14:                              ;   in Loop: Header=BB59_12 Depth=1
	s_andn2_saveexec_b64 s[8:9], s[8:9]
; %bb.15:                               ;   in Loop: Header=BB59_12 Depth=1
	v_mul_f32_e32 v2, v14, v14
	v_mov_b32_e32 v3, 0x3ca908c9
	v_fmac_f32_e32 v3, 0xbbbac73d, v2
	v_fma_f32 v3, v2, v3, v31
	v_fma_f32 v3, v2, v3, v32
	;; [unrolled: 1-line block ×3, first 2 shown]
	v_mul_f32_e64 v3, |v14|, v3
	v_fma_f32 v2, v2, v3, |v14|
; %bb.16:                               ;   in Loop: Header=BB59_12 Depth=1
	s_or_b64 exec, exec, s[8:9]
	v_and_b32_e32 v3, 0x60, v20
	v_add_u32_e32 v47, 32, v3
	v_xor_b32_e32 v48, 16, v20
	v_bfi_b32 v2, s27, v2, v14
	v_cmp_lt_i32_e32 vcc, v48, v47
	s_waitcnt vmcnt(0)
	v_fma_mix_f32 v2, s14, v2, v1 op_sel_hi:[0,0,1]
	v_cndmask_b32_e32 v3, v20, v48, vcc
	v_add_f32_e32 v4, 0x40051340, v2
	v_max_f32_e32 v14, v45, v45
	v_lshlrev_b32_e32 v3, 2, v3
	v_max_f32_e32 v14, v14, v4
	ds_bpermute_b32 v50, v3, v14
	v_xor_b32_e32 v49, 8, v20
	v_cmp_lt_i32_e32 vcc, v49, v47
	v_cndmask_b32_e32 v4, v20, v49, vcc
	v_lshlrev_b32_e32 v4, 2, v4
	s_waitcnt lgkmcnt(0)
	v_max_f32_e32 v50, v50, v50
	v_max_f32_e32 v14, v14, v50
	ds_bpermute_b32 v51, v4, v14
	v_xor_b32_e32 v50, 4, v20
	v_cmp_lt_i32_e32 vcc, v50, v47
	v_cndmask_b32_e32 v52, v20, v50, vcc
	v_lshlrev_b32_e32 v53, 2, v52
	s_waitcnt lgkmcnt(0)
	v_max_f32_e32 v51, v51, v51
	v_max_f32_e32 v14, v14, v51
	ds_bpermute_b32 v52, v53, v14
	v_xor_b32_e32 v51, 2, v20
	v_cmp_lt_i32_e32 vcc, v51, v47
	v_cndmask_b32_e32 v54, v20, v51, vcc
	v_lshlrev_b32_e32 v54, 2, v54
	s_waitcnt lgkmcnt(0)
	v_max_f32_e32 v52, v52, v52
	v_max_f32_e32 v14, v14, v52
	ds_bpermute_b32 v56, v54, v14
	v_xor_b32_e32 v52, 1, v20
	v_cmp_lt_i32_e32 vcc, v52, v47
	v_cndmask_b32_e32 v55, v20, v52, vcc
	v_lshlrev_b32_e32 v55, 2, v55
	s_waitcnt lgkmcnt(0)
	v_max_f32_e32 v56, v56, v56
	v_max_f32_e32 v14, v14, v56
	ds_bpermute_b32 v56, v55, v14
	v_cmp_nlt_f32_e64 s[8:9], |v15|, s19
                                        ; implicit-def: $vgpr57
	s_and_saveexec_b64 s[34:35], s[8:9]
	s_xor_b64 s[8:9], exec, s[34:35]
	s_cbranch_execz .LBB59_18
; %bb.17:                               ;   in Loop: Header=BB59_12 Depth=1
	v_add_f32_e64 v57, |v15|, |v15|
	v_mul_f32_e32 v58, 0x3fb8aa3b, v57
	v_rndne_f32_e32 v59, v58
	v_sub_f32_e32 v60, v58, v59
	v_fma_f32 v58, v57, s24, -v58
	v_fmac_f32_e32 v58, 0x32a5705f, v57
	v_add_f32_e32 v58, v60, v58
	v_cvt_i32_f32_e32 v59, v59
	v_exp_f32_e32 v58, v58
	v_cmp_ngt_f32_e32 vcc, s25, v57
	v_ldexp_f32 v58, v58, v59
	v_cndmask_b32_e32 v58, 0, v58, vcc
	v_cmp_nlt_f32_e32 vcc, s26, v57
	v_cndmask_b32_e32 v57, v34, v58, vcc
	v_add_f32_e32 v57, 1.0, v57
	v_rcp_f32_e32 v57, v57
	v_fma_f32 v57, v57, -2.0, 1.0
.LBB59_18:                              ;   in Loop: Header=BB59_12 Depth=1
	s_andn2_saveexec_b64 s[8:9], s[8:9]
; %bb.19:                               ;   in Loop: Header=BB59_12 Depth=1
	v_mul_f32_e32 v57, v15, v15
	v_mov_b32_e32 v58, 0x3ca908c9
	v_fmac_f32_e32 v58, 0xbbbac73d, v57
	v_fma_f32 v58, v57, v58, v31
	v_fma_f32 v58, v57, v58, v32
	;; [unrolled: 1-line block ×3, first 2 shown]
	v_mul_f32_e64 v58, |v15|, v58
	v_fma_f32 v57, v57, v58, |v15|
; %bb.20:                               ;   in Loop: Header=BB59_12 Depth=1
	s_or_b64 exec, exec, s[8:9]
	v_cvt_f32_f16_e32 v1, v1
	v_bfi_b32 v15, s27, v57, v15
	s_waitcnt lgkmcnt(0)
	v_max_f32_e32 v56, v56, v56
	v_max_f32_e32 v14, v14, v14
	v_fmac_f32_e32 v1, s14, v15
	v_max_f32_e32 v14, v14, v56
	v_add_f32_e32 v15, 0x40051340, v1
	v_max_f32_e32 v56, v44, v44
	v_max_f32_e32 v15, v56, v15
	ds_bpermute_b32 v3, v3, v15
	v_sub_f32_e32 v2, v2, v14
	s_mul_hi_i32 s9, s6, s15
	s_mul_i32 s8, s6, s15
	s_lshl_b64 s[8:9], s[8:9], 2
	s_waitcnt lgkmcnt(0)
	v_max_f32_e32 v3, v3, v3
	v_max_f32_e32 v3, v15, v3
	ds_bpermute_b32 v4, v4, v3
	s_add_u32 s8, s12, s8
	s_addc_u32 s9, s13, s9
	s_waitcnt lgkmcnt(0)
	s_barrier
	v_max_f32_e32 v4, v4, v4
	v_max_f32_e32 v3, v3, v4
	ds_bpermute_b32 v4, v53, v3
	s_waitcnt lgkmcnt(0)
	v_max_f32_e32 v4, v4, v4
	v_max_f32_e32 v3, v3, v4
	ds_bpermute_b32 v4, v54, v3
	s_waitcnt lgkmcnt(0)
	;; [unrolled: 4-line block ×3, first 2 shown]
	v_max_f32_e32 v4, v4, v4
	v_max_f32_e32 v15, v3, v4
	v_sub_f32_e32 v3, v45, v14
	v_mul_f32_e32 v4, 0x3fb8aa3b, v3
	v_fma_f32 v45, v3, s24, -v4
	v_rndne_f32_e32 v53, v4
	v_fmac_f32_e32 v45, 0x32a5705f, v3
	v_sub_f32_e32 v4, v4, v53
	v_add_f32_e32 v4, v4, v45
	v_exp_f32_e32 v4, v4
	v_cvt_i32_f32_e32 v45, v53
	v_cmp_ngt_f32_e32 vcc, s25, v3
	v_sub_f32_e32 v1, v1, v15
	v_ldexp_f32 v4, v4, v45
	v_cndmask_b32_e32 v4, 0, v4, vcc
	v_cmp_nlt_f32_e32 vcc, s26, v3
	v_cndmask_b32_e32 v3, v34, v4, vcc
	v_mul_f32_e32 v4, 0x3fb8aa3b, v2
	v_fma_f32 v45, v2, s24, -v4
	v_rndne_f32_e32 v53, v4
	v_fmac_f32_e32 v45, 0x32a5705f, v2
	v_sub_f32_e32 v4, v4, v53
	v_add_f32_e32 v4, v4, v45
	v_exp_f32_e32 v4, v4
	v_cvt_i32_f32_e32 v45, v53
	v_cmp_ngt_f32_e32 vcc, s25, v2
	v_ldexp_f32 v4, v4, v45
	v_cndmask_b32_e32 v4, 0, v4, vcc
	v_cmp_nlt_f32_e32 vcc, s26, v2
	v_cndmask_b32_e32 v53, v34, v4, vcc
	v_cvt_f16_f32_e32 v2, v53
	v_fmac_f32_e32 v53, v46, v3
	v_cvt_f16_f32_e32 v3, v3
	v_mul_u32_u24_e32 v67, 0x10001, v3
	v_sub_f32_e32 v3, v44, v15
	v_mul_f32_e32 v4, 0x3fb8aa3b, v3
	v_pk_mul_f16 v68, v42, v67
	v_pk_mul_f16 v42, v40, v67
	;; [unrolled: 1-line block ×3, first 2 shown]
	v_fma_f32 v41, v3, s24, -v4
	v_rndne_f32_e32 v44, v4
	v_fmac_f32_e32 v41, 0x32a5705f, v3
	v_sub_f32_e32 v4, v4, v44
	v_add_f32_e32 v4, v4, v41
	v_exp_f32_e32 v4, v4
	v_cvt_i32_f32_e32 v41, v44
	v_cmp_ngt_f32_e32 vcc, s25, v3
	v_ldexp_f32 v4, v4, v41
	v_cndmask_b32_e32 v4, 0, v4, vcc
	v_cmp_nlt_f32_e32 vcc, s26, v3
	v_cndmask_b32_e32 v3, v34, v4, vcc
	v_mul_f32_e32 v4, 0x3fb8aa3b, v1
	v_fma_f32 v41, v1, s24, -v4
	v_rndne_f32_e32 v44, v4
	v_fmac_f32_e32 v41, 0x32a5705f, v1
	v_sub_f32_e32 v4, v4, v44
	v_add_f32_e32 v4, v4, v41
	v_exp_f32_e32 v4, v4
	v_cvt_i32_f32_e32 v41, v44
	v_cmp_ngt_f32_e32 vcc, s25, v1
	v_ldexp_f32 v4, v4, v41
	v_cndmask_b32_e32 v4, 0, v4, vcc
	v_cmp_nlt_f32_e32 vcc, s26, v1
	v_cndmask_b32_e32 v54, v34, v4, vcc
	v_cvt_f16_f32_e32 v1, v54
	v_fmac_f32_e32 v54, v43, v3
	v_cvt_f16_f32_e32 v3, v3
	v_pack_b32_f16 v1, v2, v1
	v_mov_b32_e32 v2, s9
	v_mul_u32_u24_e32 v41, 0x10001, v3
	v_add_u32_e32 v3, v25, v18
	ds_write_b32 v3, v1
	v_add_co_u32_e32 v1, vcc, s8, v10
	v_addc_co_u32_e32 v2, vcc, v2, v11, vcc
	v_add_co_u32_e32 v1, vcc, v1, v26
	v_addc_co_u32_e32 v2, vcc, 0, v2, vcc
	global_load_dwordx4 v[1:4], v[1:2], off
	v_pk_mul_f16 v39, v39, v41
	v_pk_mul_f16 v38, v38, v41
	;; [unrolled: 1-line block ×3, first 2 shown]
	s_waitcnt vmcnt(0)
	ds_write_b128 v27, v[1:4]
	v_add_co_u32_e32 v1, vcc, s8, v12
	v_mov_b32_e32 v2, s9
	v_addc_co_u32_e32 v2, vcc, v2, v13, vcc
	v_add_co_u32_e32 v1, vcc, v1, v26
	v_addc_co_u32_e32 v2, vcc, 0, v2, vcc
	global_load_dwordx4 v[1:4], v[1:2], off
	s_or_b32 s8, s6, 16
	s_mul_hi_i32 s9, s8, s15
	s_mul_i32 s8, s8, s15
	s_lshl_b64 s[8:9], s[8:9], 2
	s_add_u32 s8, s12, s8
	s_addc_u32 s9, s13, s9
	s_waitcnt vmcnt(0)
	ds_write_b128 v28, v[1:4]
	s_waitcnt lgkmcnt(0)
	s_barrier
	ds_read2_b64 v[43:46], v19 offset1:32
	ds_read_b128 v[55:58], v25
	ds_read_b128 v[59:62], v25 offset:16
	ds_read_b128 v[63:66], v25 offset:32
	;; [unrolled: 1-line block ×3, first 2 shown]
	s_waitcnt lgkmcnt(3)
	v_mul_u32_u24_sdwa v69, v55, s31 dst_sel:DWORD dst_unused:UNUSED_PAD src0_sel:WORD_0 src1_sel:DWORD
	v_mul_u32_u24_sdwa v55, v55, s31 dst_sel:DWORD dst_unused:UNUSED_PAD src0_sel:WORD_1 src1_sel:DWORD
	v_pk_mul_f16 v70, v43, v69
	v_pk_fma_f16 v67, v36, v67, v70
	v_pk_mul_f16 v36, v43, v55
	v_pk_fma_f16 v41, v35, v41, v36
	v_pk_fma_f16 v43, v44, v69, v68
	;; [unrolled: 1-line block ×6, first 2 shown]
	ds_read2_b64 v[35:38], v19 offset0:64 offset1:96
	v_pk_fma_f16 v40, v46, v69, v40
	v_mul_u32_u24_sdwa v46, v56, s31 dst_sel:DWORD dst_unused:UNUSED_PAD src0_sel:WORD_0 src1_sel:DWORD
	v_mul_u32_u24_sdwa v55, v56, s31 dst_sel:DWORD dst_unused:UNUSED_PAD src0_sel:WORD_1 src1_sel:DWORD
	s_waitcnt lgkmcnt(0)
	v_pk_fma_f16 v56, v35, v46, v67
	v_pk_fma_f16 v41, v35, v55, v41
	;; [unrolled: 1-line block ×8, first 2 shown]
	ds_read2_b64 v[35:38], v19 offset0:128 offset1:160
	v_mul_u32_u24_sdwa v46, v57, s31 dst_sel:DWORD dst_unused:UNUSED_PAD src0_sel:WORD_0 src1_sel:DWORD
	v_mul_u32_u24_sdwa v55, v57, s31 dst_sel:DWORD dst_unused:UNUSED_PAD src0_sel:WORD_1 src1_sel:DWORD
	v_mul_u32_u24_sdwa v57, v59, s31 dst_sel:DWORD dst_unused:UNUSED_PAD src0_sel:WORD_1 src1_sel:DWORD
	s_waitcnt lgkmcnt(0)
	v_pk_fma_f16 v56, v35, v46, v56
	v_pk_fma_f16 v41, v35, v55, v41
	;; [unrolled: 1-line block ×8, first 2 shown]
	ds_read2_b64 v[35:38], v19 offset0:192 offset1:224
	v_mul_u32_u24_sdwa v46, v58, s31 dst_sel:DWORD dst_unused:UNUSED_PAD src0_sel:WORD_0 src1_sel:DWORD
	v_mul_u32_u24_sdwa v55, v58, s31 dst_sel:DWORD dst_unused:UNUSED_PAD src0_sel:WORD_1 src1_sel:DWORD
	s_waitcnt lgkmcnt(0)
	v_pk_fma_f16 v56, v35, v46, v56
	v_pk_fma_f16 v35, v35, v55, v41
	;; [unrolled: 1-line block ×4, first 2 shown]
	v_add_u32_e32 v36, 0x800, v19
	v_pk_fma_f16 v42, v37, v46, v42
	v_pk_fma_f16 v44, v37, v55, v44
	;; [unrolled: 1-line block ×4, first 2 shown]
	ds_read2_b64 v[37:40], v36 offset1:32
	v_mul_u32_u24_sdwa v55, v59, s31 dst_sel:DWORD dst_unused:UNUSED_PAD src0_sel:WORD_0 src1_sel:DWORD
	s_waitcnt lgkmcnt(0)
	v_pk_fma_f16 v56, v37, v55, v56
	v_pk_fma_f16 v35, v37, v57, v35
	;; [unrolled: 1-line block ×8, first 2 shown]
	ds_read2_b64 v[37:40], v36 offset0:64 offset1:96
	v_mul_u32_u24_sdwa v55, v60, s31 dst_sel:DWORD dst_unused:UNUSED_PAD src0_sel:WORD_0 src1_sel:DWORD
	v_mul_u32_u24_sdwa v57, v60, s31 dst_sel:DWORD dst_unused:UNUSED_PAD src0_sel:WORD_1 src1_sel:DWORD
	s_waitcnt lgkmcnt(0)
	v_pk_fma_f16 v56, v37, v55, v56
	v_pk_fma_f16 v35, v37, v57, v35
	;; [unrolled: 1-line block ×8, first 2 shown]
	ds_read2_b64 v[37:40], v36 offset0:128 offset1:160
	v_mul_u32_u24_sdwa v55, v61, s31 dst_sel:DWORD dst_unused:UNUSED_PAD src0_sel:WORD_0 src1_sel:DWORD
	v_mul_u32_u24_sdwa v57, v61, s31 dst_sel:DWORD dst_unused:UNUSED_PAD src0_sel:WORD_1 src1_sel:DWORD
	s_waitcnt lgkmcnt(0)
	v_pk_fma_f16 v56, v37, v55, v56
	v_pk_fma_f16 v35, v37, v57, v35
	;; [unrolled: 1-line block ×8, first 2 shown]
	ds_read2_b64 v[37:40], v36 offset0:192 offset1:224
	v_mul_u32_u24_sdwa v57, v62, s31 dst_sel:DWORD dst_unused:UNUSED_PAD src0_sel:WORD_1 src1_sel:DWORD
	v_mul_u32_u24_sdwa v55, v62, s31 dst_sel:DWORD dst_unused:UNUSED_PAD src0_sel:WORD_0 src1_sel:DWORD
	s_waitcnt lgkmcnt(0)
	v_pk_fma_f16 v58, v37, v57, v35
	v_add_u32_e32 v35, 0x1000, v19
	v_pk_fma_f16 v56, v37, v55, v56
	v_pk_fma_f16 v41, v38, v55, v41
	;; [unrolled: 1-line block ×7, first 2 shown]
	ds_read2_b64 v[37:40], v35 offset1:32
	v_mul_u32_u24_sdwa v55, v63, s31 dst_sel:DWORD dst_unused:UNUSED_PAD src0_sel:WORD_0 src1_sel:DWORD
	v_mul_u32_u24_sdwa v57, v63, s31 dst_sel:DWORD dst_unused:UNUSED_PAD src0_sel:WORD_1 src1_sel:DWORD
	s_waitcnt lgkmcnt(0)
	v_pk_fma_f16 v56, v37, v55, v56
	v_pk_fma_f16 v58, v37, v57, v58
	v_pk_fma_f16 v41, v38, v55, v41
	v_pk_fma_f16 v43, v38, v57, v43
	v_pk_fma_f16 v42, v39, v55, v42
	v_pk_fma_f16 v44, v39, v57, v44
	v_pk_fma_f16 v46, v40, v55, v46
	v_pk_fma_f16 v45, v40, v57, v45
	ds_read2_b64 v[37:40], v35 offset0:64 offset1:96
	v_mul_u32_u24_sdwa v55, v64, s31 dst_sel:DWORD dst_unused:UNUSED_PAD src0_sel:WORD_0 src1_sel:DWORD
	v_mul_u32_u24_sdwa v57, v64, s31 dst_sel:DWORD dst_unused:UNUSED_PAD src0_sel:WORD_1 src1_sel:DWORD
	s_waitcnt lgkmcnt(0)
	v_pk_fma_f16 v56, v37, v55, v56
	v_pk_fma_f16 v58, v37, v57, v58
	v_pk_fma_f16 v41, v38, v55, v41
	v_pk_fma_f16 v43, v38, v57, v43
	v_pk_fma_f16 v42, v39, v55, v42
	v_pk_fma_f16 v44, v39, v57, v44
	v_pk_fma_f16 v46, v40, v55, v46
	v_pk_fma_f16 v45, v40, v57, v45
	ds_read2_b64 v[37:40], v35 offset0:128 offset1:160
	;; [unrolled: 12-line block ×3, first 2 shown]
	v_mul_u32_u24_sdwa v55, v66, s31 dst_sel:DWORD dst_unused:UNUSED_PAD src0_sel:WORD_0 src1_sel:DWORD
	v_mul_u32_u24_sdwa v57, v66, s31 dst_sel:DWORD dst_unused:UNUSED_PAD src0_sel:WORD_1 src1_sel:DWORD
	s_waitcnt lgkmcnt(0)
	v_pk_fma_f16 v56, v37, v55, v56
	v_pk_fma_f16 v58, v37, v57, v58
	v_add_u32_e32 v37, 0x1800, v19
	v_pk_fma_f16 v59, v38, v55, v41
	v_pk_fma_f16 v43, v38, v57, v43
	;; [unrolled: 1-line block ×6, first 2 shown]
	ds_read2_b64 v[38:41], v37 offset1:32
	v_mul_u32_u24_sdwa v55, v1, s31 dst_sel:DWORD dst_unused:UNUSED_PAD src0_sel:WORD_0 src1_sel:DWORD
	v_mul_u32_u24_sdwa v1, v1, s31 dst_sel:DWORD dst_unused:UNUSED_PAD src0_sel:WORD_1 src1_sel:DWORD
	s_waitcnt lgkmcnt(0)
	v_pk_fma_f16 v56, v38, v55, v56
	v_pk_fma_f16 v57, v38, v1, v58
	v_pk_fma_f16 v58, v39, v55, v59
	v_pk_fma_f16 v43, v39, v1, v43
	v_pk_fma_f16 v42, v40, v55, v42
	v_pk_fma_f16 v44, v40, v1, v44
	v_pk_fma_f16 v46, v41, v55, v46
	v_pk_fma_f16 v1, v41, v1, v45
	ds_read2_b64 v[38:41], v37 offset0:64 offset1:96
	v_mul_u32_u24_sdwa v45, v2, s31 dst_sel:DWORD dst_unused:UNUSED_PAD src0_sel:WORD_0 src1_sel:DWORD
	v_mul_u32_u24_sdwa v2, v2, s31 dst_sel:DWORD dst_unused:UNUSED_PAD src0_sel:WORD_1 src1_sel:DWORD
	s_waitcnt lgkmcnt(0)
	v_pk_fma_f16 v55, v38, v45, v56
	v_pk_fma_f16 v56, v38, v2, v57
	v_pk_fma_f16 v57, v39, v45, v58
	v_pk_fma_f16 v43, v39, v2, v43
	v_pk_fma_f16 v42, v40, v45, v42
	v_pk_fma_f16 v44, v40, v2, v44
	v_pk_fma_f16 v45, v41, v45, v46
	v_pk_fma_f16 v1, v41, v2, v1
	ds_read2_b64 v[38:41], v37 offset0:128 offset1:160
	v_mul_u32_u24_sdwa v2, v3, s31 dst_sel:DWORD dst_unused:UNUSED_PAD src0_sel:WORD_0 src1_sel:DWORD
	v_mul_u32_u24_sdwa v3, v3, s31 dst_sel:DWORD dst_unused:UNUSED_PAD src0_sel:WORD_1 src1_sel:DWORD
	s_waitcnt lgkmcnt(0)
	v_pk_fma_f16 v46, v38, v2, v55
	v_pk_fma_f16 v55, v38, v3, v56
	v_pk_fma_f16 v56, v39, v2, v57
	v_pk_fma_f16 v43, v39, v3, v43
	v_pk_fma_f16 v42, v40, v2, v42
	v_pk_fma_f16 v44, v40, v3, v44
	v_pk_fma_f16 v2, v41, v2, v45
	v_pk_fma_f16 v1, v41, v3, v1
	ds_read2_b64 v[38:41], v37 offset0:192 offset1:224
	v_mul_u32_u24_sdwa v3, v4, s31 dst_sel:DWORD dst_unused:UNUSED_PAD src0_sel:WORD_0 src1_sel:DWORD
	v_mul_u32_u24_sdwa v4, v4, s31 dst_sel:DWORD dst_unused:UNUSED_PAD src0_sel:WORD_1 src1_sel:DWORD
	s_waitcnt lgkmcnt(0)
	s_barrier
	v_pk_fma_f16 v68, v41, v3, v2
	v_pk_fma_f16 v69, v41, v4, v1
	v_add_co_u32_e32 v1, vcc, s8, v10
	v_mov_b32_e32 v2, s9
	v_addc_co_u32_e32 v2, vcc, v2, v11, vcc
	v_add_co_u32_e32 v1, vcc, v1, v26
	v_addc_co_u32_e32 v2, vcc, 0, v2, vcc
	v_pk_fma_f16 v46, v38, v3, v46
	v_pk_fma_f16 v63, v38, v4, v55
	;; [unrolled: 1-line block ×6, first 2 shown]
	global_load_dwordx4 v[1:4], v[1:2], off
	s_waitcnt vmcnt(0)
	ds_write_b128 v27, v[1:4]
	v_add_co_u32_e32 v1, vcc, s8, v12
	v_mov_b32_e32 v2, s9
	v_addc_co_u32_e32 v2, vcc, v2, v13, vcc
	v_add_co_u32_e32 v1, vcc, v1, v26
	v_addc_co_u32_e32 v2, vcc, 0, v2, vcc
	global_load_dwordx4 v[1:4], v[1:2], off
	s_waitcnt vmcnt(0)
	ds_write_b128 v28, v[1:4]
	s_waitcnt lgkmcnt(0)
	s_barrier
	ds_read2_b64 v[38:41], v19 offset1:32
	ds_read_b128 v[42:45], v25 offset:64
	ds_read_b128 v[55:58], v25 offset:80
	;; [unrolled: 1-line block ×4, first 2 shown]
	s_waitcnt lgkmcnt(3)
	v_mul_u32_u24_sdwa v70, v42, s31 dst_sel:DWORD dst_unused:UNUSED_PAD src0_sel:WORD_0 src1_sel:DWORD
	v_mul_u32_u24_sdwa v42, v42, s31 dst_sel:DWORD dst_unused:UNUSED_PAD src0_sel:WORD_1 src1_sel:DWORD
	v_pk_fma_f16 v46, v38, v70, v46
	v_pk_fma_f16 v63, v38, v42, v63
	v_pk_fma_f16 v64, v39, v70, v64
	v_pk_fma_f16 v65, v39, v42, v65
	v_pk_fma_f16 v66, v40, v70, v66
	v_pk_fma_f16 v67, v40, v42, v67
	v_pk_fma_f16 v68, v41, v70, v68
	v_pk_fma_f16 v42, v41, v42, v69
	ds_read2_b64 v[38:41], v19 offset0:64 offset1:96
	v_mul_u32_u24_sdwa v69, v43, s31 dst_sel:DWORD dst_unused:UNUSED_PAD src0_sel:WORD_0 src1_sel:DWORD
	v_mul_u32_u24_sdwa v43, v43, s31 dst_sel:DWORD dst_unused:UNUSED_PAD src0_sel:WORD_1 src1_sel:DWORD
	s_waitcnt lgkmcnt(0)
	v_pk_fma_f16 v46, v38, v69, v46
	v_pk_fma_f16 v63, v38, v43, v63
	v_pk_fma_f16 v64, v39, v69, v64
	v_pk_fma_f16 v65, v39, v43, v65
	v_pk_fma_f16 v66, v40, v69, v66
	v_pk_fma_f16 v67, v40, v43, v67
	v_pk_fma_f16 v68, v41, v69, v68
	v_pk_fma_f16 v42, v41, v43, v42
	ds_read2_b64 v[38:41], v19 offset0:128 offset1:160
	v_mul_u32_u24_sdwa v43, v44, s31 dst_sel:DWORD dst_unused:UNUSED_PAD src0_sel:WORD_0 src1_sel:DWORD
	v_mul_u32_u24_sdwa v44, v44, s31 dst_sel:DWORD dst_unused:UNUSED_PAD src0_sel:WORD_1 src1_sel:DWORD
	s_waitcnt lgkmcnt(0)
	v_pk_fma_f16 v46, v38, v43, v46
	v_pk_fma_f16 v63, v38, v44, v63
	v_pk_fma_f16 v64, v39, v43, v64
	v_pk_fma_f16 v65, v39, v44, v65
	v_pk_fma_f16 v66, v40, v43, v66
	v_pk_fma_f16 v67, v40, v44, v67
	v_pk_fma_f16 v43, v41, v43, v68
	v_pk_fma_f16 v42, v41, v44, v42
	ds_read2_b64 v[38:41], v19 offset0:192 offset1:224
	v_mul_u32_u24_sdwa v44, v45, s31 dst_sel:DWORD dst_unused:UNUSED_PAD src0_sel:WORD_0 src1_sel:DWORD
	v_mul_u32_u24_sdwa v45, v45, s31 dst_sel:DWORD dst_unused:UNUSED_PAD src0_sel:WORD_1 src1_sel:DWORD
	s_waitcnt lgkmcnt(0)
	v_pk_fma_f16 v46, v38, v44, v46
	v_pk_fma_f16 v63, v38, v45, v63
	v_pk_fma_f16 v64, v39, v44, v64
	v_pk_fma_f16 v65, v39, v45, v65
	v_pk_fma_f16 v66, v40, v44, v66
	v_pk_fma_f16 v67, v40, v45, v67
	v_pk_fma_f16 v43, v41, v44, v43
	v_pk_fma_f16 v42, v41, v45, v42
	ds_read2_b64 v[38:41], v36 offset1:32
	v_mul_u32_u24_sdwa v44, v55, s31 dst_sel:DWORD dst_unused:UNUSED_PAD src0_sel:WORD_0 src1_sel:DWORD
	v_mul_u32_u24_sdwa v45, v55, s31 dst_sel:DWORD dst_unused:UNUSED_PAD src0_sel:WORD_1 src1_sel:DWORD
	s_waitcnt lgkmcnt(0)
	v_pk_fma_f16 v46, v38, v44, v46
	v_pk_fma_f16 v55, v38, v45, v63
	v_pk_fma_f16 v63, v39, v44, v64
	v_pk_fma_f16 v64, v39, v45, v65
	v_pk_fma_f16 v65, v40, v44, v66
	v_pk_fma_f16 v66, v40, v45, v67
	v_pk_fma_f16 v43, v41, v44, v43
	v_pk_fma_f16 v42, v41, v45, v42
	ds_read2_b64 v[38:41], v36 offset0:64 offset1:96
	v_mul_u32_u24_sdwa v44, v56, s31 dst_sel:DWORD dst_unused:UNUSED_PAD src0_sel:WORD_0 src1_sel:DWORD
	v_mul_u32_u24_sdwa v45, v56, s31 dst_sel:DWORD dst_unused:UNUSED_PAD src0_sel:WORD_1 src1_sel:DWORD
	s_waitcnt lgkmcnt(0)
	v_pk_fma_f16 v46, v38, v44, v46
	v_pk_fma_f16 v55, v38, v45, v55
	v_pk_fma_f16 v56, v39, v44, v63
	v_pk_fma_f16 v63, v39, v45, v64
	v_pk_fma_f16 v64, v40, v44, v65
	v_pk_fma_f16 v65, v40, v45, v66
	v_pk_fma_f16 v43, v41, v44, v43
	v_pk_fma_f16 v42, v41, v45, v42
	ds_read2_b64 v[38:41], v36 offset0:128 offset1:160
	v_mul_u32_u24_sdwa v44, v57, s31 dst_sel:DWORD dst_unused:UNUSED_PAD src0_sel:WORD_0 src1_sel:DWORD
	v_mul_u32_u24_sdwa v45, v57, s31 dst_sel:DWORD dst_unused:UNUSED_PAD src0_sel:WORD_1 src1_sel:DWORD
	s_waitcnt lgkmcnt(0)
	v_pk_fma_f16 v46, v38, v44, v46
	v_pk_fma_f16 v55, v38, v45, v55
	v_pk_fma_f16 v56, v39, v44, v56
	v_pk_fma_f16 v57, v39, v45, v63
	v_pk_fma_f16 v63, v40, v44, v64
	v_pk_fma_f16 v64, v40, v45, v65
	v_pk_fma_f16 v43, v41, v44, v43
	v_pk_fma_f16 v42, v41, v45, v42
	ds_read2_b64 v[38:41], v36 offset0:192 offset1:224
	v_mul_u32_u24_sdwa v36, v58, s31 dst_sel:DWORD dst_unused:UNUSED_PAD src0_sel:WORD_0 src1_sel:DWORD
	v_mul_u32_u24_sdwa v44, v58, s31 dst_sel:DWORD dst_unused:UNUSED_PAD src0_sel:WORD_1 src1_sel:DWORD
	s_waitcnt lgkmcnt(0)
	v_pk_fma_f16 v45, v38, v36, v46
	v_pk_fma_f16 v46, v38, v44, v55
	v_pk_fma_f16 v55, v39, v36, v56
	v_pk_fma_f16 v56, v39, v44, v57
	v_pk_fma_f16 v57, v40, v36, v63
	v_pk_fma_f16 v58, v40, v44, v64
	v_pk_fma_f16 v36, v41, v36, v43
	v_pk_fma_f16 v42, v41, v44, v42
	ds_read2_b64 v[38:41], v35 offset1:32
	v_mul_u32_u24_sdwa v43, v59, s31 dst_sel:DWORD dst_unused:UNUSED_PAD src0_sel:WORD_0 src1_sel:DWORD
	v_mul_u32_u24_sdwa v44, v59, s31 dst_sel:DWORD dst_unused:UNUSED_PAD src0_sel:WORD_1 src1_sel:DWORD
	s_waitcnt lgkmcnt(0)
	v_pk_fma_f16 v45, v38, v43, v45
	v_pk_fma_f16 v46, v38, v44, v46
	v_pk_fma_f16 v55, v39, v43, v55
	v_pk_fma_f16 v56, v39, v44, v56
	v_pk_fma_f16 v57, v40, v43, v57
	v_pk_fma_f16 v58, v40, v44, v58
	v_pk_fma_f16 v36, v41, v43, v36
	v_pk_fma_f16 v42, v41, v44, v42
	ds_read2_b64 v[38:41], v35 offset0:64 offset1:96
	v_mul_u32_u24_sdwa v43, v60, s31 dst_sel:DWORD dst_unused:UNUSED_PAD src0_sel:WORD_0 src1_sel:DWORD
	v_mul_u32_u24_sdwa v44, v60, s31 dst_sel:DWORD dst_unused:UNUSED_PAD src0_sel:WORD_1 src1_sel:DWORD
	s_waitcnt lgkmcnt(0)
	v_pk_fma_f16 v45, v38, v43, v45
	v_pk_fma_f16 v46, v38, v44, v46
	v_pk_fma_f16 v55, v39, v43, v55
	v_pk_fma_f16 v56, v39, v44, v56
	v_pk_fma_f16 v57, v40, v43, v57
	v_pk_fma_f16 v58, v40, v44, v58
	v_pk_fma_f16 v36, v41, v43, v36
	v_pk_fma_f16 v42, v41, v44, v42
	ds_read2_b64 v[38:41], v35 offset0:128 offset1:160
	v_mul_u32_u24_sdwa v43, v61, s31 dst_sel:DWORD dst_unused:UNUSED_PAD src0_sel:WORD_0 src1_sel:DWORD
	v_mul_u32_u24_sdwa v44, v61, s31 dst_sel:DWORD dst_unused:UNUSED_PAD src0_sel:WORD_1 src1_sel:DWORD
	s_waitcnt lgkmcnt(0)
	v_pk_fma_f16 v45, v38, v43, v45
	v_pk_fma_f16 v46, v38, v44, v46
	v_pk_fma_f16 v55, v39, v43, v55
	v_pk_fma_f16 v56, v39, v44, v56
	v_pk_fma_f16 v57, v40, v43, v57
	v_pk_fma_f16 v58, v40, v44, v58
	v_pk_fma_f16 v36, v41, v43, v36
	v_pk_fma_f16 v42, v41, v44, v42
	ds_read2_b64 v[38:41], v35 offset0:192 offset1:224
	v_mul_u32_u24_sdwa v35, v62, s31 dst_sel:DWORD dst_unused:UNUSED_PAD src0_sel:WORD_0 src1_sel:DWORD
	v_mul_u32_u24_sdwa v43, v62, s31 dst_sel:DWORD dst_unused:UNUSED_PAD src0_sel:WORD_1 src1_sel:DWORD
	s_waitcnt lgkmcnt(0)
	v_pk_fma_f16 v44, v38, v35, v45
	v_pk_fma_f16 v45, v38, v43, v46
	v_pk_fma_f16 v46, v39, v35, v55
	v_pk_fma_f16 v55, v39, v43, v56
	v_pk_fma_f16 v56, v40, v35, v57
	v_pk_fma_f16 v57, v40, v43, v58
	v_pk_fma_f16 v35, v41, v35, v36
	v_pk_fma_f16 v36, v41, v43, v42
	ds_read2_b64 v[38:41], v37 offset1:32
	v_mul_u32_u24_sdwa v42, v1, s31 dst_sel:DWORD dst_unused:UNUSED_PAD src0_sel:WORD_0 src1_sel:DWORD
	v_mul_u32_u24_sdwa v1, v1, s31 dst_sel:DWORD dst_unused:UNUSED_PAD src0_sel:WORD_1 src1_sel:DWORD
	s_waitcnt lgkmcnt(0)
	v_pk_fma_f16 v43, v38, v42, v44
	v_pk_fma_f16 v44, v38, v1, v45
	;; [unrolled: 1-line block ×8, first 2 shown]
	ds_read2_b64 v[38:41], v37 offset0:64 offset1:96
	v_mul_u32_u24_sdwa v36, v2, s31 dst_sel:DWORD dst_unused:UNUSED_PAD src0_sel:WORD_0 src1_sel:DWORD
	v_mul_u32_u24_sdwa v2, v2, s31 dst_sel:DWORD dst_unused:UNUSED_PAD src0_sel:WORD_1 src1_sel:DWORD
	s_waitcnt lgkmcnt(0)
	v_pk_fma_f16 v42, v38, v36, v43
	v_pk_fma_f16 v43, v38, v2, v44
	;; [unrolled: 1-line block ×8, first 2 shown]
	ds_read2_b64 v[38:41], v37 offset0:128 offset1:160
	v_mul_u32_u24_sdwa v2, v3, s31 dst_sel:DWORD dst_unused:UNUSED_PAD src0_sel:WORD_0 src1_sel:DWORD
	v_mul_u32_u24_sdwa v3, v3, s31 dst_sel:DWORD dst_unused:UNUSED_PAD src0_sel:WORD_1 src1_sel:DWORD
	s_waitcnt lgkmcnt(0)
	v_pk_fma_f16 v36, v38, v2, v42
	v_pk_fma_f16 v38, v38, v3, v43
	;; [unrolled: 1-line block ×4, first 2 shown]
	ds_read2_b64 v[42:45], v37 offset0:192 offset1:224
	s_waitcnt lgkmcnt(0)
	s_barrier
	s_load_dword s8, s[0:1], 0x4
	v_pk_fma_f16 v46, v40, v2, v46
	v_pk_fma_f16 v55, v40, v3, v55
	;; [unrolled: 1-line block ×4, first 2 shown]
	s_waitcnt lgkmcnt(0)
	s_lshl_b32 s8, s8, 5
	v_mul_u32_u24_sdwa v3, v4, s31 dst_sel:DWORD dst_unused:UNUSED_PAD src0_sel:WORD_0 src1_sel:DWORD
	v_mul_u32_u24_sdwa v4, v4, s31 dst_sel:DWORD dst_unused:UNUSED_PAD src0_sel:WORD_1 src1_sel:DWORD
	s_add_i32 s6, s8, s6
	v_pk_fma_f16 v36, v42, v3, v36
	v_pk_fma_f16 v35, v42, v4, v38
	;; [unrolled: 1-line block ×8, first 2 shown]
	s_cmp_ge_i32 s6, s28
	s_cbranch_scc1 .LBB59_7
; %bb.21:                               ;   in Loop: Header=BB59_12 Depth=1
	v_mov_b32_e32 v45, v14
	v_mov_b32_e32 v44, v15
	;; [unrolled: 1-line block ×4, first 2 shown]
	s_branch .LBB59_12
.LBB59_22:
	v_mov_b32_e32 v4, v2
	v_mov_b32_e32 v3, v1
	v_cmp_gt_i32_e32 vcc, s2, v16
	s_and_saveexec_b64 s[0:1], vcc
	s_cbranch_execz .LBB59_9
.LBB59_23:
	s_load_dword s6, s[4:5], 0xd4
	v_mov_b32_e32 v5, 1.0
	s_waitcnt lgkmcnt(0)
	s_cmp_lg_u32 s6, 1
	s_cselect_b64 s[0:1], -1, 0
	s_cmp_eq_u32 s6, 1
	s_cselect_b64 s[4:5], -1, 0
	s_and_b64 vcc, exec, s[0:1]
	s_cbranch_vccnz .LBB59_25
; %bb.24:
	v_div_scale_f32 v5, s[8:9], v1, v1, 1.0
	v_div_scale_f32 v6, vcc, 1.0, v1, 1.0
	v_rcp_f32_e32 v7, v5
	v_fma_f32 v8, -v5, v7, 1.0
	v_fmac_f32_e32 v7, v8, v7
	v_mul_f32_e32 v8, v6, v7
	v_fma_f32 v9, -v5, v8, v6
	v_fmac_f32_e32 v8, v9, v7
	v_fma_f32 v5, -v5, v8, v6
	v_div_fmas_f32 v5, v5, v7, v8
	v_div_fixup_f32 v5, v5, v1, 1.0
.LBB59_25:
	s_mul_i32 s33, s33, s2
	v_add_u32_e32 v1, s33, v16
	v_mul_lo_u32 v1, v1, s3
	v_cmp_eq_u32_e32 vcc, 0, v0
	v_cvt_f32_f16_sdwa v6, v42 dst_sel:DWORD dst_unused:UNUSED_PAD src0_sel:WORD_1
	v_cvt_f32_f16_e32 v11, v36
	v_add3_u32 v0, s29, v17, v1
	v_mul_lo_u32 v0, s6, v0
	v_cvt_f32_f16_e32 v7, v42
	v_cvt_f32_f16_sdwa v1, v36 dst_sel:DWORD dst_unused:UNUSED_PAD src0_sel:WORD_1
	v_mul_f32_e32 v9, v5, v6
	v_add_u32_e32 v0, s7, v0
	v_lshl_add_u32 v10, v0, 8, v18
	v_mul_f32_e32 v6, v5, v11
	v_mov_b32_e32 v11, 0
	v_lshlrev_b64 v[12:13], 2, v[10:11]
	s_and_b64 s[0:1], vcc, s[0:1]
	v_mul_f32_e32 v8, v5, v7
	v_mul_f32_e32 v7, v5, v1
	v_mov_b32_e32 v1, s21
	v_add_co_u32_e32 v12, vcc, s20, v12
	v_addc_co_u32_e32 v13, vcc, v1, v13, vcc
	global_store_dwordx4 v[12:13], v[6:9], off
	v_cvt_f32_f16_sdwa v1, v41 dst_sel:DWORD dst_unused:UNUSED_PAD src0_sel:WORD_1
	v_cvt_f32_f16_e32 v6, v41
	v_cvt_f32_f16_sdwa v9, v40 dst_sel:DWORD dst_unused:UNUSED_PAD src0_sel:WORD_1
	v_cvt_f32_f16_e32 v12, v40
	v_add_u32_e32 v10, 0x80, v10
	v_mul_f32_e32 v7, v5, v6
	v_mul_f32_e32 v6, v5, v9
	v_lshlrev_b64 v[9:10], 2, v[10:11]
	v_mul_f32_e32 v8, v5, v1
	v_mov_b32_e32 v1, s21
	v_add_co_u32_e32 v9, vcc, s20, v9
	v_mul_f32_e32 v5, v5, v12
	v_addc_co_u32_e32 v10, vcc, v1, v10, vcc
	global_store_dwordx4 v[9:10], v[5:8], off
	s_and_saveexec_b64 s[2:3], s[0:1]
	s_cbranch_execz .LBB59_27
; %bb.26:
	v_ashrrev_i32_e32 v1, 31, v0
	v_lshlrev_b64 v[5:6], 3, v[0:1]
	v_mov_b32_e32 v1, s23
	v_add_co_u32_e32 v5, vcc, s22, v5
	v_addc_co_u32_e32 v6, vcc, v1, v6, vcc
	v_mov_b32_e32 v7, v14
	v_mov_b32_e32 v8, v3
	global_store_dwordx2 v[5:6], v[7:8], off
.LBB59_27:
	s_or_b64 exec, exec, s[2:3]
	s_andn2_b64 vcc, exec, s[4:5]
	v_mov_b32_e32 v1, 1.0
	s_cbranch_vccnz .LBB59_29
; %bb.28:
	v_div_scale_f32 v1, s[2:3], v2, v2, 1.0
	v_div_scale_f32 v3, vcc, 1.0, v2, 1.0
	v_rcp_f32_e32 v5, v1
	v_fma_f32 v6, -v1, v5, 1.0
	v_fmac_f32_e32 v5, v6, v5
	v_mul_f32_e32 v6, v3, v5
	v_fma_f32 v7, -v1, v6, v3
	v_fmac_f32_e32 v6, v7, v5
	v_fma_f32 v1, -v1, v6, v3
	v_div_fmas_f32 v1, v1, v5, v6
	v_div_fixup_f32 v1, v1, v2, 1.0
.LBB59_29:
	v_cvt_f32_f16_sdwa v3, v39 dst_sel:DWORD dst_unused:UNUSED_PAD src0_sel:WORD_1
	v_cvt_f32_f16_e32 v5, v39
	v_cvt_f32_f16_e32 v9, v35
	v_add_u32_e32 v0, s6, v0
	v_lshl_add_u32 v2, v0, 8, v18
	v_cvt_f32_f16_sdwa v6, v35 dst_sel:DWORD dst_unused:UNUSED_PAD src0_sel:WORD_1
	v_mul_f32_e32 v8, v1, v3
	v_mov_b32_e32 v3, 0
	v_mul_f32_e32 v7, v1, v5
	v_mul_f32_e32 v5, v1, v9
	v_lshlrev_b64 v[9:10], 2, v[2:3]
	v_mov_b32_e32 v11, s21
	v_add_co_u32_e32 v9, vcc, s20, v9
	v_mul_f32_e32 v6, v1, v6
	v_addc_co_u32_e32 v10, vcc, v11, v10, vcc
	global_store_dwordx4 v[9:10], v[5:8], off
	v_cvt_f32_f16_sdwa v9, v38 dst_sel:DWORD dst_unused:UNUSED_PAD src0_sel:WORD_1
	v_cvt_f32_f16_sdwa v5, v37 dst_sel:DWORD dst_unused:UNUSED_PAD src0_sel:WORD_1
	v_cvt_f32_f16_e32 v6, v37
	v_cvt_f32_f16_e32 v10, v38
	v_add_u32_e32 v2, 0x80, v2
	v_mul_f32_e32 v8, v1, v5
	v_mul_f32_e32 v7, v1, v6
	;; [unrolled: 1-line block ×4, first 2 shown]
	v_lshlrev_b64 v[1:2], 2, v[2:3]
	v_mov_b32_e32 v3, s21
	v_add_co_u32_e32 v1, vcc, s20, v1
	v_addc_co_u32_e32 v2, vcc, v3, v2, vcc
	global_store_dwordx4 v[1:2], v[5:8], off
	s_and_b64 exec, exec, s[0:1]
	s_cbranch_execz .LBB59_9
; %bb.30:
	v_ashrrev_i32_e32 v1, 31, v0
	v_lshlrev_b64 v[0:1], 3, v[0:1]
	v_mov_b32_e32 v2, s23
	v_add_co_u32_e32 v0, vcc, s22, v0
	v_addc_co_u32_e32 v1, vcc, v2, v1, vcc
	v_mov_b32_e32 v3, v15
	global_store_dwordx2 v[0:1], v[3:4], off
	s_endpgm
	.section	.rodata,"a",@progbits
	.p2align	6, 0x0
	.amdhsa_kernel _ZL15flash_attn_tileILi256ELi256ELi2ELi8ELb1EEvPKcS1_S1_S1_S1_PKiPfP15HIP_vector_typeIfLj2EEffffjfiS5_IjLj3EEiiiiiiiiiiiliiliiiiil
		.amdhsa_group_segment_fixed_size 17920
		.amdhsa_private_segment_fixed_size 0
		.amdhsa_kernarg_size 464
		.amdhsa_user_sgpr_count 6
		.amdhsa_user_sgpr_private_segment_buffer 1
		.amdhsa_user_sgpr_dispatch_ptr 0
		.amdhsa_user_sgpr_queue_ptr 0
		.amdhsa_user_sgpr_kernarg_segment_ptr 1
		.amdhsa_user_sgpr_dispatch_id 0
		.amdhsa_user_sgpr_flat_scratch_init 0
		.amdhsa_user_sgpr_private_segment_size 0
		.amdhsa_uses_dynamic_stack 0
		.amdhsa_system_sgpr_private_segment_wavefront_offset 0
		.amdhsa_system_sgpr_workgroup_id_x 1
		.amdhsa_system_sgpr_workgroup_id_y 1
		.amdhsa_system_sgpr_workgroup_id_z 1
		.amdhsa_system_sgpr_workgroup_info 0
		.amdhsa_system_vgpr_workitem_id 1
		.amdhsa_next_free_vgpr 71
		.amdhsa_next_free_sgpr 98
		.amdhsa_reserve_vcc 1
		.amdhsa_reserve_flat_scratch 0
		.amdhsa_float_round_mode_32 0
		.amdhsa_float_round_mode_16_64 0
		.amdhsa_float_denorm_mode_32 3
		.amdhsa_float_denorm_mode_16_64 3
		.amdhsa_dx10_clamp 1
		.amdhsa_ieee_mode 1
		.amdhsa_fp16_overflow 0
		.amdhsa_exception_fp_ieee_invalid_op 0
		.amdhsa_exception_fp_denorm_src 0
		.amdhsa_exception_fp_ieee_div_zero 0
		.amdhsa_exception_fp_ieee_overflow 0
		.amdhsa_exception_fp_ieee_underflow 0
		.amdhsa_exception_fp_ieee_inexact 0
		.amdhsa_exception_int_div_zero 0
	.end_amdhsa_kernel
	.section	.text._ZL15flash_attn_tileILi256ELi256ELi2ELi8ELb1EEvPKcS1_S1_S1_S1_PKiPfP15HIP_vector_typeIfLj2EEffffjfiS5_IjLj3EEiiiiiiiiiiiliiliiiiil,"axG",@progbits,_ZL15flash_attn_tileILi256ELi256ELi2ELi8ELb1EEvPKcS1_S1_S1_S1_PKiPfP15HIP_vector_typeIfLj2EEffffjfiS5_IjLj3EEiiiiiiiiiiiliiliiiiil,comdat
.Lfunc_end59:
	.size	_ZL15flash_attn_tileILi256ELi256ELi2ELi8ELb1EEvPKcS1_S1_S1_S1_PKiPfP15HIP_vector_typeIfLj2EEffffjfiS5_IjLj3EEiiiiiiiiiiiliiliiiiil, .Lfunc_end59-_ZL15flash_attn_tileILi256ELi256ELi2ELi8ELb1EEvPKcS1_S1_S1_S1_PKiPfP15HIP_vector_typeIfLj2EEffffjfiS5_IjLj3EEiiiiiiiiiiiliiliiiiil
                                        ; -- End function
	.set _ZL15flash_attn_tileILi256ELi256ELi2ELi8ELb1EEvPKcS1_S1_S1_S1_PKiPfP15HIP_vector_typeIfLj2EEffffjfiS5_IjLj3EEiiiiiiiiiiiliiliiiiil.num_vgpr, 71
	.set _ZL15flash_attn_tileILi256ELi256ELi2ELi8ELb1EEvPKcS1_S1_S1_S1_PKiPfP15HIP_vector_typeIfLj2EEffffjfiS5_IjLj3EEiiiiiiiiiiiliiliiiiil.num_agpr, 0
	.set _ZL15flash_attn_tileILi256ELi256ELi2ELi8ELb1EEvPKcS1_S1_S1_S1_PKiPfP15HIP_vector_typeIfLj2EEffffjfiS5_IjLj3EEiiiiiiiiiiiliiliiiiil.numbered_sgpr, 44
	.set _ZL15flash_attn_tileILi256ELi256ELi2ELi8ELb1EEvPKcS1_S1_S1_S1_PKiPfP15HIP_vector_typeIfLj2EEffffjfiS5_IjLj3EEiiiiiiiiiiiliiliiiiil.num_named_barrier, 0
	.set _ZL15flash_attn_tileILi256ELi256ELi2ELi8ELb1EEvPKcS1_S1_S1_S1_PKiPfP15HIP_vector_typeIfLj2EEffffjfiS5_IjLj3EEiiiiiiiiiiiliiliiiiil.private_seg_size, 0
	.set _ZL15flash_attn_tileILi256ELi256ELi2ELi8ELb1EEvPKcS1_S1_S1_S1_PKiPfP15HIP_vector_typeIfLj2EEffffjfiS5_IjLj3EEiiiiiiiiiiiliiliiiiil.uses_vcc, 1
	.set _ZL15flash_attn_tileILi256ELi256ELi2ELi8ELb1EEvPKcS1_S1_S1_S1_PKiPfP15HIP_vector_typeIfLj2EEffffjfiS5_IjLj3EEiiiiiiiiiiiliiliiiiil.uses_flat_scratch, 0
	.set _ZL15flash_attn_tileILi256ELi256ELi2ELi8ELb1EEvPKcS1_S1_S1_S1_PKiPfP15HIP_vector_typeIfLj2EEffffjfiS5_IjLj3EEiiiiiiiiiiiliiliiiiil.has_dyn_sized_stack, 0
	.set _ZL15flash_attn_tileILi256ELi256ELi2ELi8ELb1EEvPKcS1_S1_S1_S1_PKiPfP15HIP_vector_typeIfLj2EEffffjfiS5_IjLj3EEiiiiiiiiiiiliiliiiiil.has_recursion, 0
	.set _ZL15flash_attn_tileILi256ELi256ELi2ELi8ELb1EEvPKcS1_S1_S1_S1_PKiPfP15HIP_vector_typeIfLj2EEffffjfiS5_IjLj3EEiiiiiiiiiiiliiliiiiil.has_indirect_call, 0
	.section	.AMDGPU.csdata,"",@progbits
; Kernel info:
; codeLenInByte = 11020
; TotalNumSgprs: 48
; NumVgprs: 71
; ScratchSize: 0
; MemoryBound: 0
; FloatMode: 240
; IeeeMode: 1
; LDSByteSize: 17920 bytes/workgroup (compile time only)
; SGPRBlocks: 12
; VGPRBlocks: 17
; NumSGPRsForWavesPerEU: 102
; NumVGPRsForWavesPerEU: 71
; Occupancy: 3
; WaveLimiterHint : 1
; COMPUTE_PGM_RSRC2:SCRATCH_EN: 0
; COMPUTE_PGM_RSRC2:USER_SGPR: 6
; COMPUTE_PGM_RSRC2:TRAP_HANDLER: 0
; COMPUTE_PGM_RSRC2:TGID_X_EN: 1
; COMPUTE_PGM_RSRC2:TGID_Y_EN: 1
; COMPUTE_PGM_RSRC2:TGID_Z_EN: 1
; COMPUTE_PGM_RSRC2:TIDIG_COMP_CNT: 1
	.section	.text._ZL15flash_attn_tileILi256ELi256ELi1ELi8ELb1EEvPKcS1_S1_S1_S1_PKiPfP15HIP_vector_typeIfLj2EEffffjfiS5_IjLj3EEiiiiiiiiiiiliiliiiiil,"axG",@progbits,_ZL15flash_attn_tileILi256ELi256ELi1ELi8ELb1EEvPKcS1_S1_S1_S1_PKiPfP15HIP_vector_typeIfLj2EEffffjfiS5_IjLj3EEiiiiiiiiiiiliiliiiiil,comdat
	.globl	_ZL15flash_attn_tileILi256ELi256ELi1ELi8ELb1EEvPKcS1_S1_S1_S1_PKiPfP15HIP_vector_typeIfLj2EEffffjfiS5_IjLj3EEiiiiiiiiiiiliiliiiiil ; -- Begin function _ZL15flash_attn_tileILi256ELi256ELi1ELi8ELb1EEvPKcS1_S1_S1_S1_PKiPfP15HIP_vector_typeIfLj2EEffffjfiS5_IjLj3EEiiiiiiiiiiiliiliiiiil
	.p2align	8
	.type	_ZL15flash_attn_tileILi256ELi256ELi1ELi8ELb1EEvPKcS1_S1_S1_S1_PKiPfP15HIP_vector_typeIfLj2EEffffjfiS5_IjLj3EEiiiiiiiiiiiliiliiiiil,@function
_ZL15flash_attn_tileILi256ELi256ELi1ELi8ELb1EEvPKcS1_S1_S1_S1_PKiPfP15HIP_vector_typeIfLj2EEffffjfiS5_IjLj3EEiiiiiiiiiiiliiliiiiil: ; @_ZL15flash_attn_tileILi256ELi256ELi1ELi8ELb1EEvPKcS1_S1_S1_S1_PKiPfP15HIP_vector_typeIfLj2EEffffjfiS5_IjLj3EEiiiiiiiiiiiliiliiiiil
; %bb.0:
	s_load_dwordx4 s[0:3], s[4:5], 0x5c
	s_load_dwordx2 s[28:29], s[4:5], 0x80
	s_load_dwordx2 s[34:35], s[4:5], 0xb8
	s_mov_b64 s[30:31], 0
	s_waitcnt lgkmcnt(0)
	s_ashr_i32 s9, s3, 31
	s_lshr_b32 s9, s9, 29
	s_add_i32 s9, s3, s9
	s_ashr_i32 s9, s9, 3
	v_cvt_f32_u32_e32 v2, s9
	s_sub_i32 s10, 0, s9
	v_rcp_iflag_f32_e32 v2, v2
	v_mul_f32_e32 v2, 0x4f7ffffe, v2
	v_cvt_u32_f32_e32 v2, v2
	v_readfirstlane_b32 s11, v2
	s_mul_i32 s10, s10, s11
	s_mul_hi_u32 s10, s11, s10
	s_add_i32 s11, s11, s10
	s_mul_hi_u32 s10, s8, s11
	s_mul_i32 s11, s10, s9
	s_sub_i32 s11, s8, s11
	s_add_i32 s12, s10, 1
	s_sub_i32 s13, s11, s9
	s_cmp_ge_u32 s11, s9
	s_cselect_b32 s10, s12, s10
	s_cselect_b32 s11, s13, s11
	s_add_i32 s12, s10, 1
	s_cmp_ge_u32 s11, s9
	s_cselect_b32 s33, s12, s10
	s_abs_i32 s9, s29
	v_cvt_f32_u32_e32 v2, s9
	s_lshl_b32 s8, s8, 3
	s_mul_i32 s12, s33, s3
	s_xor_b32 s10, s3, s29
	v_rcp_iflag_f32_e32 v2, v2
	s_sub_i32 s13, 0, s9
	s_sub_i32 s29, s8, s12
	s_abs_i32 s11, s3
	v_mul_f32_e32 v2, 0x4f7ffffe, v2
	v_cvt_u32_f32_e32 v2, v2
	s_ashr_i32 s10, s10, 31
	v_readfirstlane_b32 s8, v2
	s_mul_i32 s13, s13, s8
	s_mul_hi_u32 s12, s8, s13
	s_add_i32 s8, s8, s12
	s_mul_hi_u32 s8, s11, s8
	s_mul_i32 s12, s8, s9
	s_sub_i32 s11, s11, s12
	s_add_i32 s13, s8, 1
	s_sub_i32 s12, s11, s9
	s_cmp_ge_u32 s11, s9
	s_cselect_b32 s8, s13, s8
	s_cselect_b32 s11, s12, s11
	s_add_i32 s12, s8, 1
	s_cmp_ge_u32 s11, s9
	s_cselect_b32 s8, s12, s8
	s_xor_b32 s8, s8, s10
	s_sub_i32 s37, s8, s10
	s_abs_i32 s36, s37
	v_cvt_f32_u32_e32 v2, s36
	s_load_dwordx16 s[8:23], s[4:5], 0x0
	v_rcp_iflag_f32_e32 v2, v2
	s_waitcnt lgkmcnt(0)
	s_cmp_eq_u64 s[14:15], 0
	v_mul_f32_e32 v2, 0x4f7ffffe, v2
	v_cvt_u32_f32_e32 v2, v2
	v_readfirstlane_b32 s38, v2
	s_cbranch_scc1 .LBB60_2
; %bb.1:
	s_abs_i32 s26, s34
	v_cvt_f32_u32_e32 v2, s26
	s_sub_i32 s31, 0, s26
	s_abs_i32 s30, s33
	s_ashr_i32 s27, s33, 31
	v_rcp_iflag_f32_e32 v2, v2
	s_load_dwordx2 s[24:25], s[4:5], 0xc8
	v_mul_f32_e32 v2, 0x4f7ffffe, v2
	v_cvt_u32_f32_e32 v2, v2
	v_readfirstlane_b32 s34, v2
	s_mul_i32 s31, s31, s34
	s_mul_hi_u32 s31, s34, s31
	s_add_i32 s34, s34, s31
	s_mul_hi_u32 s31, s30, s34
	s_mul_i32 s31, s31, s26
	s_sub_i32 s30, s30, s31
	s_sub_i32 s31, s30, s26
	s_cmp_ge_u32 s30, s26
	s_cselect_b32 s30, s31, s30
	s_sub_i32 s31, s30, s26
	s_cmp_ge_u32 s30, s26
	s_cselect_b32 s26, s31, s30
	s_xor_b32 s26, s26, s27
	s_sub_i32 s26, s26, s27
	s_ashr_i32 s27, s26, 31
	s_waitcnt lgkmcnt(0)
	s_mul_hi_u32 s30, s24, s26
	s_mul_i32 s27, s24, s27
	s_mul_i32 s25, s25, s26
	s_add_i32 s27, s30, s27
	s_add_i32 s27, s27, s25
	s_mul_i32 s24, s24, s26
	s_add_u32 s30, s14, s24
	s_addc_u32 s31, s15, s27
.LBB60_2:
	v_lshrrev_b32_e32 v2, 3, v1
	s_load_dwordx4 s[24:27], s[4:5], 0x70
	v_add_u32_e32 v32, s6, v2
	v_mul_hi_u32 v2, s0, v32
	v_and_b32_e32 v31, 7, v1
	v_lshlrev_b32_e32 v34, 3, v0
	s_waitcnt lgkmcnt(0)
	s_mul_i32 s14, s33, s26
	v_add_u32_e32 v2, v32, v2
	s_ashr_i32 s26, s14, 31
	v_lshrrev_b32_e32 v2, s1, v2
	s_mul_i32 s15, s29, s25
	s_add_u32 s8, s8, s14
	v_mul_lo_u32 v2, v2, s2
	s_addc_u32 s9, s9, s26
	s_ashr_i32 s14, s15, 31
	s_add_u32 s26, s8, s15
	s_addc_u32 s27, s9, s14
	s_ashr_i32 s9, s25, 31
	s_mov_b32 s8, s25
	s_ashr_i32 s25, s24, 31
	s_lshr_b64 s[14:15], s[8:9], 2
	v_sub_u32_e32 v2, v32, v2
	s_lshr_b64 s[0:1], s[24:25], 2
	v_mad_u64_u32 v[3:4], s[14:15], s14, v31, 0
	v_mad_u64_u32 v[5:6], s[0:1], s0, v2, 0
	s_lshr_b32 s0, s9, 2
	v_mad_u64_u32 v[7:8], s[0:1], s0, v31, v[4:5]
	v_mov_b32_e32 v4, v6
	s_lshr_b32 s0, s25, 2
	v_mad_u64_u32 v[8:9], s[0:1], s0, v2, v[4:5]
	v_mov_b32_e32 v4, v7
	v_lshlrev_b64 v[3:4], 2, v[3:4]
	v_mov_b32_e32 v6, v8
	v_mov_b32_e32 v7, s27
	v_add_co_u32_e32 v8, vcc, s26, v3
	v_addc_co_u32_e32 v7, vcc, v7, v4, vcc
	v_lshlrev_b64 v[3:4], 2, v[5:6]
	v_lshlrev_b32_e32 v5, 4, v0
	v_add_co_u32_e32 v3, vcc, v8, v3
	v_addc_co_u32_e32 v4, vcc, v7, v4, vcc
	v_add_co_u32_e32 v12, vcc, v3, v5
	v_addc_co_u32_e32 v13, vcc, 0, v4, vcc
	global_load_dwordx4 v[4:7], v[12:13], off
	global_load_dwordx4 v[8:11], v[12:13], off offset:512
	s_load_dword s0, s[4:5], 0x40
	v_lshlrev_b32_e32 v3, 9, v1
	v_add_u32_e32 v35, 0x4400, v3
	v_add_u32_e32 v12, v35, v34
	s_cmp_eq_u64 s[18:19], 0
	s_waitcnt vmcnt(1) lgkmcnt(0)
	v_fma_mixlo_f16 v4, s0, v4, 0
	v_fma_mixlo_f16 v5, s0, v5, 0
	;; [unrolled: 1-line block ×4, first 2 shown]
	s_waitcnt vmcnt(0)
	v_fma_mixlo_f16 v8, s0, v8, 0
	v_fma_mixlo_f16 v9, s0, v9, 0
	;; [unrolled: 1-line block ×4, first 2 shown]
	v_lshlrev_b32_e32 v5, 16, v5
	v_and_b32_e32 v4, 0xffff, v4
	v_lshlrev_b32_e32 v7, 16, v7
	v_and_b32_e32 v6, 0xffff, v6
	;; [unrolled: 2-line block ×4, first 2 shown]
	v_or_b32_e32 v4, v5, v4
	v_or3_b32 v5, v7, v6, 0
	v_or_b32_e32 v6, v9, v8
	v_or3_b32 v7, v11, v10, 0
	v_or3_b32 v4, 0, 0, v4
	;; [unrolled: 1-line block ×3, first 2 shown]
	ds_write2_b64 v12, v[4:5], v[6:7] offset1:32
	s_waitcnt lgkmcnt(0)
	s_barrier
	s_cbranch_scc1 .LBB60_4
; %bb.3:
	s_load_dword s0, s[4:5], 0xd0
	s_mov_b32 s1, 0
	s_waitcnt lgkmcnt(0)
	s_mul_i32 s0, s0, s33
	s_add_i32 s0, s0, s6
	s_lshl_b64 s[0:1], s[0:1], 2
	s_add_u32 s0, s18, s0
	s_addc_u32 s1, s19, s1
	s_load_dword s28, s[0:1], 0x0
.LBB60_4:
	s_lshl_b32 s6, s7, 6
	v_lshlrev_b32_e32 v33, 2, v0
	s_waitcnt lgkmcnt(0)
	s_cmp_lt_i32 s6, s28
	v_mbcnt_lo_u32_b32 v4, -1, 0
	s_cbranch_scc1 .LBB60_12
; %bb.5:
	v_mbcnt_hi_u32_b32 v36, -1, v4
	v_and_b32_e32 v5, 0x60, v36
	v_add_u32_e32 v56, 32, v5
	v_xor_b32_e32 v61, 16, v36
	v_xor_b32_e32 v60, 8, v36
	;; [unrolled: 1-line block ×5, first 2 shown]
	s_cbranch_execz .LBB60_13
; %bb.6:
	v_mov_b32_e32 v54, 0
	v_mov_b32_e32 v62, 0
	;; [unrolled: 1-line block ×6, first 2 shown]
.LBB60_7:
	v_cmp_lt_i32_e32 vcc, v61, v56
	v_cndmask_b32_e32 v1, v36, v61, vcc
	v_lshlrev_b32_e32 v1, 2, v1
	ds_bpermute_b32 v1, v1, v62
	v_cmp_lt_i32_e32 vcc, v60, v56
	v_cndmask_b32_e32 v2, v36, v60, vcc
	v_lshlrev_b32_e32 v2, 2, v2
	v_cmp_lt_i32_e32 vcc, v59, v56
	s_waitcnt lgkmcnt(0)
	v_add_f32_e32 v1, v62, v1
	ds_bpermute_b32 v2, v2, v1
	v_cndmask_b32_e32 v3, v36, v59, vcc
	v_lshlrev_b32_e32 v3, 2, v3
	v_cmp_lt_i32_e32 vcc, v58, v56
	s_cmp_lg_u64 s[16:17], 0
	s_waitcnt lgkmcnt(0)
	v_add_f32_e32 v1, v1, v2
	ds_bpermute_b32 v2, v3, v1
	v_cndmask_b32_e32 v3, v36, v58, vcc
	v_lshlrev_b32_e32 v3, 2, v3
	v_cmp_lt_i32_e32 vcc, v57, v56
	v_cndmask_b32_e32 v4, v36, v57, vcc
	s_waitcnt lgkmcnt(0)
	v_add_f32_e32 v2, v1, v2
	ds_bpermute_b32 v3, v3, v2
	v_lshlrev_b32_e32 v4, 2, v4
	s_cselect_b64 s[0:1], -1, 0
	s_cmp_eq_u32 s7, 0
	s_cselect_b64 s[8:9], -1, 0
	s_waitcnt lgkmcnt(0)
	v_add_f32_e32 v2, v2, v3
	ds_bpermute_b32 v3, v4, v2
	s_and_b64 s[0:1], s[8:9], s[0:1]
	v_add_u32_e32 v1, s29, v31
	s_and_b64 vcc, exec, s[0:1]
	s_waitcnt lgkmcnt(0)
	v_add_f32_e32 v31, v2, v3
	s_cbranch_vccz .LBB60_9
; %bb.8:
	v_ashrrev_i32_e32 v2, 31, v1
	v_lshlrev_b64 v[2:3], 2, v[1:2]
	v_mov_b32_e32 v4, s17
	v_add_co_u32_e32 v2, vcc, s16, v2
	v_addc_co_u32_e32 v3, vcc, v4, v3, vcc
	global_load_dword v2, v[2:3], off
	v_max_f32_e32 v3, v30, v30
	s_mov_b32 s0, 0x3fb8aa3b
	s_mov_b32 s1, 0xc2ce8ed0
	s_waitcnt vmcnt(0)
	v_max_f32_e32 v4, v2, v2
	v_max_f32_e32 v3, v3, v4
	v_sub_f32_e32 v4, v30, v3
	v_sub_f32_e32 v2, v2, v3
	v_mul_f32_e32 v5, 0x3fb8aa3b, v4
	v_mul_f32_e32 v6, 0x3fb8aa3b, v2
	v_fma_f32 v7, v4, s0, -v5
	v_rndne_f32_e32 v8, v5
	v_fma_f32 v11, v2, s0, -v6
	v_rndne_f32_e32 v12, v6
	v_fmac_f32_e32 v7, 0x32a5705f, v4
	v_sub_f32_e32 v5, v5, v8
	v_fmac_f32_e32 v11, 0x32a5705f, v2
	v_sub_f32_e32 v6, v6, v12
	v_add_f32_e32 v5, v5, v7
	v_cvt_i32_f32_e32 v8, v8
	v_add_f32_e32 v6, v6, v11
	v_exp_f32_e32 v5, v5
	v_cvt_i32_f32_e32 v12, v12
	v_exp_f32_e32 v6, v6
	v_cmp_ngt_f32_e32 vcc, s1, v4
	v_ldexp_f32 v5, v5, v8
	s_mov_b32 s0, 0x42b17218
	v_ldexp_f32 v6, v6, v12
	v_cndmask_b32_e32 v5, 0, v5, vcc
	v_cmp_ngt_f32_e32 vcc, s1, v2
	v_mov_b32_e32 v7, 0x7f800000
	v_cndmask_b32_e32 v6, 0, v6, vcc
	v_cmp_nlt_f32_e32 vcc, s0, v4
	v_cndmask_b32_e32 v4, v7, v5, vcc
	v_cvt_f16_f32_e32 v5, v4
	v_cmp_nlt_f32_e32 vcc, s0, v2
	v_cndmask_b32_e32 v2, v7, v6, vcc
	v_fmac_f32_e32 v2, v31, v4
	v_mov_b32_e32 v31, v2
	v_mul_u32_u24_e32 v2, 0x10001, v5
	v_pk_mul_f16 v54, v54, v2
	v_pk_mul_f16 v55, v55, v2
	;; [unrolled: 1-line block ×4, first 2 shown]
	v_mov_b32_e32 v30, v3
.LBB60_9:
	v_div_scale_f32 v2, s[0:1], v31, v31, 1.0
	v_div_scale_f32 v3, vcc, 1.0, v31, 1.0
	v_cmp_eq_u32_e64 s[0:1], 0, v0
	s_mul_i32 s33, s33, s2
	s_load_dword s4, s[4:5], 0xd4
	v_add_u32_e32 v5, s33, v32
	v_mov_b32_e32 v6, 0
	v_cvt_f32_f16_sdwa v4, v55 dst_sel:DWORD dst_unused:UNUSED_PAD src0_sel:WORD_1
	v_cvt_f32_f16_e32 v11, v55
	v_cvt_f32_f16_sdwa v12, v54 dst_sel:DWORD dst_unused:UNUSED_PAD src0_sel:WORD_1
	v_cvt_f32_f16_e32 v13, v54
	s_waitcnt lgkmcnt(0)
	s_cmp_lg_u32 s4, 1
	v_cvt_f32_f16_sdwa v14, v9 dst_sel:DWORD dst_unused:UNUSED_PAD src0_sel:WORD_1
	v_cvt_f32_f16_e32 v9, v9
	v_rcp_f32_e32 v0, v2
	v_cvt_f32_f16_sdwa v15, v10 dst_sel:DWORD dst_unused:UNUSED_PAD src0_sel:WORD_1
	v_cvt_f32_f16_e32 v10, v10
	v_fma_f32 v7, -v2, v0, 1.0
	v_fmac_f32_e32 v0, v7, v0
	v_mul_f32_e32 v7, v3, v0
	v_fma_f32 v8, -v2, v7, v3
	v_fmac_f32_e32 v7, v8, v0
	v_fma_f32 v2, -v2, v7, v3
	v_div_fmas_f32 v3, v2, v0, v7
	v_mad_u64_u32 v[0:1], s[2:3], v5, s3, v[1:2]
	s_cselect_b64 s[2:3], -1, 0
	v_mov_b32_e32 v8, s21
	v_mul_lo_u32 v0, s4, v0
	s_and_b64 s[0:1], s[0:1], s[2:3]
	v_add_u32_e32 v0, s7, v0
	v_lshl_add_u32 v5, v0, 8, v33
	v_lshlrev_b64 v[1:2], 2, v[5:6]
	v_add_u32_e32 v5, 0x80, v5
	v_add_co_u32_e32 v7, vcc, s20, v1
	v_lshlrev_b64 v[5:6], 2, v[5:6]
	v_div_fixup_f32 v1, v3, v31, 1.0
	v_cndmask_b32_e64 v16, v1, 1.0, s[2:3]
	v_addc_co_u32_e32 v8, vcc, v8, v2, vcc
	v_mul_f32_e32 v4, v16, v4
	v_mul_f32_e32 v3, v16, v11
	;; [unrolled: 1-line block ×4, first 2 shown]
	global_store_dwordx4 v[7:8], v[1:4], off
	v_mov_b32_e32 v7, s21
	v_add_co_u32_e32 v5, vcc, s20, v5
	v_mul_f32_e32 v4, v16, v14
	v_mul_f32_e32 v3, v16, v9
	;; [unrolled: 1-line block ×4, first 2 shown]
	v_addc_co_u32_e32 v6, vcc, v7, v6, vcc
	global_store_dwordx4 v[5:6], v[1:4], off
	s_and_saveexec_b64 s[2:3], s[0:1]
	s_cbranch_execz .LBB60_11
; %bb.10:
	v_ashrrev_i32_e32 v1, 31, v0
	v_lshlrev_b64 v[0:1], 3, v[0:1]
	v_mov_b32_e32 v2, s23
	v_add_co_u32_e32 v0, vcc, s22, v0
	v_addc_co_u32_e32 v1, vcc, v2, v1, vcc
	global_store_dwordx2 v[0:1], v[30:31], off
.LBB60_11:
	s_endpgm
.LBB60_12:
                                        ; implicit-def: $vgpr36
                                        ; implicit-def: $vgpr56
                                        ; implicit-def: $vgpr61
                                        ; implicit-def: $vgpr60
                                        ; implicit-def: $vgpr59
                                        ; implicit-def: $vgpr58
                                        ; implicit-def: $vgpr57
.LBB60_13:
	s_sub_i32 s0, 0, s36
	s_mul_i32 s0, s0, s38
	s_mul_hi_u32 s0, s38, s0
	s_add_i32 s38, s38, s0
	s_load_dwordx4 s[24:27], s[4:5], 0x98
	s_load_dword s14, s[4:5], 0x54
	s_load_dwordx2 s[0:1], s[4:5], 0x8c
	s_abs_i32 s19, s29
	s_mul_hi_u32 s34, s19, s38
	s_waitcnt lgkmcnt(0)
	s_ashr_i32 s15, s26, 2
	s_ashr_i32 s26, s35, 1
	;; [unrolled: 1-line block ×4, first 2 shown]
	s_mul_hi_u32 s35, s24, s33
	s_mul_i32 s39, s24, s0
	s_add_i32 s35, s35, s39
	s_mul_i32 s25, s25, s33
	s_ashr_i32 s38, s29, 31
	s_ashr_i32 s37, s37, 31
	s_add_i32 s35, s35, s25
	s_mul_i32 s24, s24, s33
	s_add_u32 s10, s10, s24
	s_mul_i32 s25, s34, s36
	s_addc_u32 s11, s11, s35
	s_sub_i32 s19, s19, s25
	s_xor_b32 s24, s38, s37
	s_add_i32 s25, s34, 1
	s_sub_i32 s35, s19, s36
	s_cmp_ge_u32 s19, s36
	s_cselect_b32 s25, s25, s34
	s_cselect_b32 s19, s35, s19
	s_add_i32 s34, s25, 1
	s_cmp_ge_u32 s19, s36
	s_load_dwordx2 s[8:9], s[4:5], 0xa8
	s_cselect_b32 s19, s34, s25
	s_xor_b32 s19, s19, s24
	s_sub_i32 s19, s19, s24
	s_mul_i32 s1, s19, s1
	s_ashr_i32 s24, s1, 31
	s_add_u32 s10, s10, s1
	s_waitcnt lgkmcnt(0)
	s_mul_hi_u32 s1, s8, s33
	s_mul_i32 s0, s8, s0
	s_addc_u32 s11, s11, s24
	s_add_i32 s0, s1, s0
	s_mul_i32 s1, s9, s33
	s_add_i32 s0, s0, s1
	s_mul_i32 s1, s8, s33
	v_lshrrev_b32_e32 v5, 4, v0
	s_add_u32 s1, s12, s1
	s_mul_i32 s19, s19, s27
	v_lshl_add_u32 v6, v1, 1, v5
	s_addc_u32 s0, s13, s0
	s_ashr_i32 s8, s19, 31
	v_mul_lo_u32 v5, s18, v6
	s_add_u32 s12, s1, s19
	v_and_b32_e32 v16, 60, v33
	s_addc_u32 s13, s0, s8
	v_lshlrev_b32_e32 v7, 2, v16
	s_movk_i32 s0, 0x110
	v_mad_u32_u24 v37, v6, s0, v7
	s_lshl_b32 s0, s18, 4
	v_add_u32_e32 v7, s0, v5
	v_add_u32_e32 v10, s0, v7
	v_add_u32_e32 v20, s0, v10
	v_mad_u64_u32 v[13:14], s[0:1], v2, s26, v[0:1]
	v_mov_b32_e32 v2, 0x5400
	v_lshl_add_u32 v42, v1, 7, v2
	v_mul_lo_u32 v2, s15, v1
	s_lshl_b32 s0, s15, 3
	v_lshlrev_b32_e32 v44, 2, v33
	v_ashrrev_i32_e32 v6, 31, v5
	v_add_u32_e32 v24, s0, v2
	v_add_u32_e32 v26, s0, v24
	;; [unrolled: 1-line block ×3, first 2 shown]
	v_ashrrev_i32_e32 v8, 31, v7
	v_ashrrev_i32_e32 v11, 31, v10
	;; [unrolled: 1-line block ×3, first 2 shown]
	v_add_u32_e32 v45, v3, v44
	v_ashrrev_i32_e32 v3, 31, v2
	v_ashrrev_i32_e32 v25, 31, v24
	;; [unrolled: 1-line block ×4, first 2 shown]
	v_lshl_add_u32 v1, v1, 9, v44
	s_add_u32 s0, s4, 0xd0
	v_lshlrev_b64 v[14:15], 2, v[5:6]
	v_lshlrev_b32_e32 v49, 2, v16
	v_lshlrev_b64 v[16:17], 2, v[7:8]
	v_lshlrev_b64 v[18:19], 2, v[10:11]
	;; [unrolled: 1-line block ×7, first 2 shown]
	v_mov_b32_e32 v9, 0
	v_add_u32_e32 v38, 0x1100, v37
	v_add_u32_e32 v39, 0x2200, v37
	;; [unrolled: 1-line block ×3, first 2 shown]
	v_mul_u32_u24_e32 v41, 0x110, v0
	v_lshl_add_u32 v43, v0, 1, v42
	v_add_u32_e32 v46, 0x1000, v1
	v_add_u32_e32 v47, 0x2000, v1
	;; [unrolled: 1-line block ×3, first 2 shown]
	s_addc_u32 s1, s5, 0
	v_mov_b32_e32 v12, 0xfeffffff
	s_mov_b32 s19, 0x3f200000
	s_mov_b32 s24, 0x3fb8aa3b
	s_mov_b32 s25, 0xc2ce8ed0
	s_mov_b32 s26, 0x42b17218
	v_mov_b32_e32 v50, 0xbd5c1c4e
	v_mov_b32_e32 v51, 0x3e088382
	;; [unrolled: 1-line block ×3, first 2 shown]
	s_brev_b32 s27, -2
	s_mov_b32 s34, 0x10001
	v_mov_b32_e32 v53, 0x7f800000
	v_mbcnt_hi_u32_b32 v36, -1, v4
	v_mov_b32_e32 v10, 0
	v_mov_b32_e32 v55, 0
	;; [unrolled: 1-line block ×4, first 2 shown]
.LBB60_14:                              ; =>This Inner Loop Header: Depth=1
	s_mul_hi_i32 s9, s6, s18
	s_mul_i32 s8, s6, s18
	s_lshl_b64 s[8:9], s[8:9], 2
	s_add_u32 s8, s10, s8
	s_addc_u32 s9, s11, s9
	v_mov_b32_e32 v1, s9
	v_add_co_u32_e32 v2, vcc, s8, v14
	v_addc_co_u32_e32 v3, vcc, v1, v15, vcc
	v_add_co_u32_e32 v1, vcc, v2, v49
	v_addc_co_u32_e32 v2, vcc, 0, v3, vcc
	v_mov_b32_e32 v3, s9
	v_add_co_u32_e32 v4, vcc, s8, v16
	v_addc_co_u32_e32 v5, vcc, v3, v17, vcc
	v_add_co_u32_e32 v3, vcc, v4, v49
	v_addc_co_u32_e32 v4, vcc, 0, v5, vcc
	;; [unrolled: 5-line block ×3, first 2 shown]
	v_mov_b32_e32 v7, s9
	v_add_co_u32_e32 v8, vcc, s8, v20
	v_addc_co_u32_e32 v30, vcc, v7, v21, vcc
	v_add_co_u32_e32 v7, vcc, v8, v49
	global_load_dwordx4 v[56:59], v[1:2], off
	global_load_dwordx4 v[60:63], v[3:4], off
	v_addc_co_u32_e32 v8, vcc, 0, v30, vcc
	global_load_dwordx4 v[64:67], v[5:6], off
	global_load_dwordx4 v[68:71], v[7:8], off
	v_mov_b32_e32 v30, 0
	s_waitcnt vmcnt(3)
	ds_write_b128 v37, v[56:59]
	s_waitcnt vmcnt(2)
	ds_write_b128 v38, v[60:63]
	;; [unrolled: 2-line block ×4, first 2 shown]
	s_waitcnt lgkmcnt(0)
	s_barrier
	ds_read_b128 v[57:60], v41
	ds_read_b128 v[61:64], v35
	v_mov_b32_e32 v56, 0
	ds_read_b128 v[65:68], v41 offset:8704
	s_waitcnt lgkmcnt(1)
	;;#ASMSTART
	v_dot2_f32_f16 v56, v57, v61, v56
	;;#ASMEND
	;;#ASMSTART
	v_dot2_f32_f16 v56, v58, v62, v56
	;;#ASMEND
	;;#ASMSTART
	v_dot2_f32_f16 v56, v59, v63, v56
	;;#ASMEND
	;;#ASMSTART
	v_dot2_f32_f16 v56, v60, v64, v56
	;;#ASMEND
	s_waitcnt lgkmcnt(0)
	;;#ASMSTART
	v_dot2_f32_f16 v30, v65, v61, v30
	;;#ASMEND
	;;#ASMSTART
	v_dot2_f32_f16 v30, v66, v62, v30
	;;#ASMEND
	;;#ASMSTART
	v_dot2_f32_f16 v30, v67, v63, v30
	;;#ASMEND
	;;#ASMSTART
	v_dot2_f32_f16 v30, v68, v64, v30
	;;#ASMEND
	ds_read_b128 v[57:60], v41 offset:16
	ds_read_b128 v[61:64], v35 offset:16
	ds_read_b128 v[65:68], v41 offset:8720
	s_waitcnt lgkmcnt(1)
	;;#ASMSTART
	v_dot2_f32_f16 v56, v57, v61, v56
	;;#ASMEND
	;;#ASMSTART
	v_dot2_f32_f16 v56, v58, v62, v56
	;;#ASMEND
	;;#ASMSTART
	v_dot2_f32_f16 v56, v59, v63, v56
	;;#ASMEND
	;;#ASMSTART
	v_dot2_f32_f16 v56, v60, v64, v56
	;;#ASMEND
	s_waitcnt lgkmcnt(0)
	;;#ASMSTART
	v_dot2_f32_f16 v30, v65, v61, v30
	;;#ASMEND
	;;#ASMSTART
	v_dot2_f32_f16 v30, v66, v62, v30
	;;#ASMEND
	;;#ASMSTART
	v_dot2_f32_f16 v30, v67, v63, v30
	;;#ASMEND
	;;#ASMSTART
	v_dot2_f32_f16 v30, v68, v64, v30
	;;#ASMEND
	ds_read_b128 v[57:60], v41 offset:32
	ds_read_b128 v[61:64], v35 offset:32
	;; [unrolled: 29-line block ×15, first 2 shown]
	ds_read_b128 v[65:68], v41 offset:8944
	s_waitcnt lgkmcnt(1)
	;;#ASMSTART
	v_dot2_f32_f16 v56, v57, v61, v56
	;;#ASMEND
	;;#ASMSTART
	v_dot2_f32_f16 v56, v58, v62, v56
	;;#ASMEND
	;; [unrolled: 3-line block ×4, first 2 shown]
	s_waitcnt lgkmcnt(0)
	;;#ASMSTART
	v_dot2_f32_f16 v30, v65, v61, v30
	;;#ASMEND
	;;#ASMSTART
	v_dot2_f32_f16 v30, v66, v62, v30
	;;#ASMEND
	;; [unrolled: 3-line block ×4, first 2 shown]
	s_barrier
	global_load_dwordx4 v[57:60], v[1:2], off offset:256
	s_nop 0
	global_load_dwordx4 v[1:4], v[3:4], off offset:256
	s_nop 0
	;; [unrolled: 2-line block ×3, first 2 shown]
	global_load_dwordx4 v[5:8], v[7:8], off offset:256
	s_waitcnt vmcnt(3)
	ds_write_b128 v37, v[57:60]
	s_waitcnt vmcnt(2)
	ds_write_b128 v38, v[1:4]
	;; [unrolled: 2-line block ×4, first 2 shown]
	s_waitcnt lgkmcnt(0)
	s_barrier
	ds_read_b128 v[1:4], v41
	ds_read_b128 v[5:8], v35 offset:256
	ds_read_b128 v[57:60], v41 offset:8704
	s_waitcnt lgkmcnt(1)
	;;#ASMSTART
	v_dot2_f32_f16 v56, v1, v5, v56
	;;#ASMEND
	;;#ASMSTART
	v_dot2_f32_f16 v56, v2, v6, v56
	;;#ASMEND
	;;#ASMSTART
	v_dot2_f32_f16 v56, v3, v7, v56
	;;#ASMEND
	;;#ASMSTART
	v_dot2_f32_f16 v56, v4, v8, v56
	;;#ASMEND
	s_waitcnt lgkmcnt(0)
	;;#ASMSTART
	v_dot2_f32_f16 v30, v57, v5, v30
	;;#ASMEND
	;;#ASMSTART
	v_dot2_f32_f16 v30, v58, v6, v30
	;;#ASMEND
	;;#ASMSTART
	v_dot2_f32_f16 v30, v59, v7, v30
	;;#ASMEND
	;;#ASMSTART
	v_dot2_f32_f16 v30, v60, v8, v30
	;;#ASMEND
	ds_read_b128 v[1:4], v41 offset:16
	ds_read_b128 v[5:8], v35 offset:272
	ds_read_b128 v[57:60], v41 offset:8720
	s_waitcnt lgkmcnt(1)
	;;#ASMSTART
	v_dot2_f32_f16 v56, v1, v5, v56
	;;#ASMEND
	;;#ASMSTART
	v_dot2_f32_f16 v56, v2, v6, v56
	;;#ASMEND
	;;#ASMSTART
	v_dot2_f32_f16 v56, v3, v7, v56
	;;#ASMEND
	;;#ASMSTART
	v_dot2_f32_f16 v56, v4, v8, v56
	;;#ASMEND
	s_waitcnt lgkmcnt(0)
	;;#ASMSTART
	v_dot2_f32_f16 v30, v57, v5, v30
	;;#ASMEND
	;;#ASMSTART
	v_dot2_f32_f16 v30, v58, v6, v30
	;;#ASMEND
	;;#ASMSTART
	v_dot2_f32_f16 v30, v59, v7, v30
	;;#ASMEND
	;;#ASMSTART
	v_dot2_f32_f16 v30, v60, v8, v30
	;;#ASMEND
	ds_read_b128 v[1:4], v41 offset:32
	;; [unrolled: 29-line block ×15, first 2 shown]
	ds_read_b128 v[5:8], v35 offset:496
	ds_read_b128 v[57:60], v41 offset:8944
	s_waitcnt lgkmcnt(1)
	;;#ASMSTART
	v_dot2_f32_f16 v56, v1, v5, v56
	;;#ASMEND
	;;#ASMSTART
	v_dot2_f32_f16 v56, v2, v6, v56
	;;#ASMEND
	;; [unrolled: 3-line block ×4, first 2 shown]
	s_waitcnt lgkmcnt(0)
	;;#ASMSTART
	v_dot2_f32_f16 v30, v57, v5, v30
	;;#ASMEND
	;;#ASMSTART
	v_dot2_f32_f16 v30, v58, v6, v30
	;;#ASMEND
	;; [unrolled: 3-line block ×3, first 2 shown]
	v_cmp_nlt_f32_e64 s[8:9], |v56|, s19
	;;#ASMSTART
	v_dot2_f32_f16 v30, v60, v8, v30
	;;#ASMEND
                                        ; implicit-def: $vgpr3
	s_and_saveexec_b64 s[36:37], s[8:9]
	s_xor_b64 s[8:9], exec, s[36:37]
	s_cbranch_execz .LBB60_16
; %bb.15:                               ;   in Loop: Header=BB60_14 Depth=1
	v_add_f32_e64 v1, |v56|, |v56|
	v_mul_f32_e32 v2, 0x3fb8aa3b, v1
	v_rndne_f32_e32 v3, v2
	v_sub_f32_e32 v4, v2, v3
	v_fma_f32 v2, v1, s24, -v2
	v_fmac_f32_e32 v2, 0x32a5705f, v1
	v_add_f32_e32 v2, v4, v2
	v_cvt_i32_f32_e32 v3, v3
	v_exp_f32_e32 v2, v2
	v_cmp_ngt_f32_e32 vcc, s25, v1
	v_ldexp_f32 v2, v2, v3
	v_cndmask_b32_e32 v2, 0, v2, vcc
	v_cmp_nlt_f32_e32 vcc, s26, v1
	v_cndmask_b32_e32 v1, v53, v2, vcc
	v_add_f32_e32 v1, 1.0, v1
	v_rcp_f32_e32 v1, v1
	v_fma_f32 v3, v1, -2.0, 1.0
.LBB60_16:                              ;   in Loop: Header=BB60_14 Depth=1
	s_andn2_saveexec_b64 s[8:9], s[8:9]
; %bb.17:                               ;   in Loop: Header=BB60_14 Depth=1
	v_mul_f32_e32 v1, v56, v56
	v_mov_b32_e32 v2, 0x3ca908c9
	v_fmac_f32_e32 v2, 0xbbbac73d, v1
	v_fma_f32 v2, v1, v2, v50
	v_fma_f32 v2, v1, v2, v51
	;; [unrolled: 1-line block ×3, first 2 shown]
	v_mul_f32_e64 v2, |v56|, v2
	v_fma_f32 v3, v1, v2, |v56|
; %bb.18:                               ;   in Loop: Header=BB60_14 Depth=1
	s_or_b64 exec, exec, s[8:9]
	v_add_u32_e32 v1, s6, v13
	v_ashrrev_i32_e32 v2, 31, v1
	v_lshlrev_b64 v[1:2], 1, v[1:2]
	v_mov_b32_e32 v4, s31
	v_add_co_u32_e32 v1, vcc, s30, v1
	v_addc_co_u32_e32 v2, vcc, v4, v2, vcc
	global_load_ushort v4, v[1:2], off
	v_cmp_nlt_f32_e64 s[8:9], |v30|, s19
                                        ; implicit-def: $vgpr5
	s_and_saveexec_b64 s[36:37], s[8:9]
	s_xor_b64 s[8:9], exec, s[36:37]
	s_cbranch_execz .LBB60_20
; %bb.19:                               ;   in Loop: Header=BB60_14 Depth=1
	v_add_f32_e64 v5, |v30|, |v30|
	v_mul_f32_e32 v6, 0x3fb8aa3b, v5
	v_rndne_f32_e32 v7, v6
	v_sub_f32_e32 v8, v6, v7
	v_fma_f32 v6, v5, s24, -v6
	v_fmac_f32_e32 v6, 0x32a5705f, v5
	v_add_f32_e32 v6, v8, v6
	v_cvt_i32_f32_e32 v7, v7
	v_exp_f32_e32 v6, v6
	v_cmp_ngt_f32_e32 vcc, s25, v5
	v_ldexp_f32 v6, v6, v7
	v_cndmask_b32_e32 v6, 0, v6, vcc
	v_cmp_nlt_f32_e32 vcc, s26, v5
	v_cndmask_b32_e32 v5, v53, v6, vcc
	v_add_f32_e32 v5, 1.0, v5
	v_rcp_f32_e32 v5, v5
	v_fma_f32 v5, v5, -2.0, 1.0
.LBB60_20:                              ;   in Loop: Header=BB60_14 Depth=1
	s_andn2_saveexec_b64 s[8:9], s[8:9]
; %bb.21:                               ;   in Loop: Header=BB60_14 Depth=1
	v_mul_f32_e32 v5, v30, v30
	v_mov_b32_e32 v6, 0x3ca908c9
	v_fmac_f32_e32 v6, 0xbbbac73d, v5
	v_fma_f32 v6, v5, v6, v50
	v_fma_f32 v6, v5, v6, v51
	;; [unrolled: 1-line block ×3, first 2 shown]
	v_mul_f32_e64 v6, |v30|, v6
	v_fma_f32 v5, v5, v6, |v30|
; %bb.22:                               ;   in Loop: Header=BB60_14 Depth=1
	s_or_b64 exec, exec, s[8:9]
	global_load_ushort v1, v[1:2], off offset:64
	v_and_b32_e32 v6, 0x60, v36
	v_bfi_b32 v3, s27, v3, v56
	v_xor_b32_e32 v57, 1, v36
	v_add_u32_e32 v56, 32, v6
	v_cmp_lt_i32_e32 vcc, v57, v56
	v_xor_b32_e32 v58, 2, v36
	v_cndmask_b32_e32 v6, v36, v57, vcc
	v_cmp_lt_i32_e32 vcc, v58, v56
	v_xor_b32_e32 v59, 4, v36
	v_cndmask_b32_e32 v7, v36, v58, vcc
	;; [unrolled: 3-line block ×3, first 2 shown]
	v_cmp_lt_i32_e32 vcc, v60, v56
	v_xor_b32_e32 v61, 16, v36
	v_bfi_b32 v5, s27, v5, v30
	s_waitcnt vmcnt(1)
	v_fma_mix_f32 v3, s14, v3, v4 op_sel_hi:[0,0,1]
	v_cndmask_b32_e32 v62, v36, v60, vcc
	v_cmp_lt_i32_e32 vcc, v61, v56
	v_add_f32_e32 v4, 0x40051340, v3
	v_cndmask_b32_e32 v63, v36, v61, vcc
	v_lshlrev_b32_e32 v8, 2, v8
	v_lshlrev_b32_e32 v7, 2, v7
	;; [unrolled: 1-line block ×3, first 2 shown]
	s_mul_hi_i32 s9, s6, s15
	s_mul_i32 s8, s6, s15
	s_lshl_b64 s[8:9], s[8:9], 2
	s_add_u32 s8, s12, s8
	s_addc_u32 s9, s13, s9
	s_waitcnt vmcnt(0)
	s_barrier
	v_fma_mix_f32 v1, s14, v5, v1 op_sel_hi:[0,0,1]
	v_add_f32_e32 v2, 0x40051340, v1
	v_max3_f32 v2, v12, v4, v2
	v_lshlrev_b32_e32 v4, 2, v63
	ds_bpermute_b32 v4, v4, v2
	v_lshlrev_b32_e32 v5, 2, v62
	s_waitcnt lgkmcnt(0)
	v_max_f32_e32 v4, v4, v4
	v_max_f32_e32 v2, v2, v4
	ds_bpermute_b32 v4, v5, v2
	s_waitcnt lgkmcnt(0)
	v_max_f32_e32 v4, v4, v4
	v_max_f32_e32 v2, v2, v4
	ds_bpermute_b32 v4, v8, v2
	;; [unrolled: 4-line block ×4, first 2 shown]
	s_waitcnt lgkmcnt(0)
	v_max_f32_e32 v4, v4, v4
	v_max_f32_e32 v30, v2, v4
	v_sub_f32_e32 v3, v3, v30
	v_mul_f32_e32 v4, 0x3fb8aa3b, v3
	v_fma_f32 v5, v3, s24, -v4
	v_rndne_f32_e32 v6, v4
	v_fmac_f32_e32 v5, 0x32a5705f, v3
	v_sub_f32_e32 v4, v4, v6
	v_add_f32_e32 v4, v4, v5
	v_exp_f32_e32 v4, v4
	v_cvt_i32_f32_e32 v5, v6
	v_sub_f32_e32 v1, v1, v30
	v_cmp_ngt_f32_e32 vcc, s25, v3
	v_sub_f32_e32 v2, v12, v30
	v_ldexp_f32 v4, v4, v5
	v_mul_f32_e32 v5, 0x3fb8aa3b, v1
	v_fma_f32 v6, v1, s24, -v5
	v_rndne_f32_e32 v7, v5
	v_fmac_f32_e32 v6, 0x32a5705f, v1
	v_sub_f32_e32 v5, v5, v7
	v_add_f32_e32 v5, v5, v6
	v_exp_f32_e32 v5, v5
	v_cvt_i32_f32_e32 v6, v7
	v_cndmask_b32_e32 v4, 0, v4, vcc
	v_cmp_nlt_f32_e32 vcc, s26, v3
	v_cndmask_b32_e32 v3, v53, v4, vcc
	v_ldexp_f32 v5, v5, v6
	v_cmp_ngt_f32_e32 vcc, s25, v1
	v_cndmask_b32_e32 v5, 0, v5, vcc
	v_cmp_nlt_f32_e32 vcc, s26, v1
	v_cndmask_b32_e32 v1, v53, v5, vcc
	v_cvt_f16_f32_e32 v4, v3
	v_add_f32_e32 v62, v3, v1
	v_mul_f32_e32 v3, 0x3fb8aa3b, v2
	v_fma_f32 v5, v2, s24, -v3
	v_rndne_f32_e32 v6, v3
	v_fmac_f32_e32 v5, 0x32a5705f, v2
	v_sub_f32_e32 v3, v3, v6
	v_add_f32_e32 v3, v3, v5
	v_exp_f32_e32 v3, v3
	v_cvt_i32_f32_e32 v5, v6
	v_cmp_ngt_f32_e32 vcc, s25, v2
	v_cvt_f16_f32_e32 v1, v1
	ds_write_b16 v43, v4
	ds_write_b16 v43, v1 offset:64
	v_ldexp_f32 v3, v3, v5
	v_cndmask_b32_e32 v3, 0, v3, vcc
	v_cmp_nlt_f32_e32 vcc, s26, v2
	v_cndmask_b32_e32 v2, v53, v3, vcc
	v_fmac_f32_e32 v62, v11, v2
	v_cvt_f16_f32_e32 v2, v2
	v_add_co_u32_e32 v1, vcc, s8, v22
	v_mul_u32_u24_e32 v63, 0x10001, v2
	v_mov_b32_e32 v2, s9
	v_addc_co_u32_e32 v2, vcc, v2, v23, vcc
	v_add_co_u32_e32 v1, vcc, v1, v44
	v_addc_co_u32_e32 v2, vcc, 0, v2, vcc
	global_load_dwordx4 v[1:4], v[1:2], off
	v_pk_mul_f16 v64, v10, v63
	v_pk_mul_f16 v65, v9, v63
	s_waitcnt vmcnt(0)
	ds_write_b128 v45, v[1:4]
	v_add_co_u32_e32 v1, vcc, s8, v24
	v_mov_b32_e32 v2, s9
	v_addc_co_u32_e32 v2, vcc, v2, v25, vcc
	v_add_co_u32_e32 v1, vcc, v1, v44
	v_addc_co_u32_e32 v2, vcc, 0, v2, vcc
	global_load_dwordx4 v[1:4], v[1:2], off
	s_waitcnt vmcnt(0)
	ds_write_b128 v46, v[1:4]
	v_add_co_u32_e32 v1, vcc, s8, v26
	v_mov_b32_e32 v2, s9
	v_addc_co_u32_e32 v2, vcc, v2, v27, vcc
	v_add_co_u32_e32 v1, vcc, v1, v44
	v_addc_co_u32_e32 v2, vcc, 0, v2, vcc
	global_load_dwordx4 v[1:4], v[1:2], off
	;; [unrolled: 8-line block ×3, first 2 shown]
	s_or_b32 s8, s6, 32
	s_mul_hi_i32 s9, s8, s15
	s_mul_i32 s8, s8, s15
	s_lshl_b64 s[8:9], s[8:9], 2
	s_add_u32 s8, s12, s8
	s_addc_u32 s9, s13, s9
	s_waitcnt vmcnt(0)
	ds_write_b128 v48, v[1:4]
	s_waitcnt lgkmcnt(0)
	s_barrier
	ds_read2_b64 v[66:69], v34 offset1:32
	ds_read_b128 v[70:73], v42
	ds_read_b128 v[9:12], v42 offset:16
	ds_read_b128 v[5:8], v42 offset:32
	;; [unrolled: 1-line block ×3, first 2 shown]
	s_waitcnt lgkmcnt(3)
	v_mul_u32_u24_sdwa v74, v70, s34 dst_sel:DWORD dst_unused:UNUSED_PAD src0_sel:WORD_0 src1_sel:DWORD
	v_pk_mul_f16 v66, v66, v74
	v_pk_fma_f16 v54, v54, v63, v66
	v_pk_mul_f16 v66, v67, v74
	v_pk_fma_f16 v55, v55, v63, v66
	v_pk_fma_f16 v67, v68, v74, v64
	;; [unrolled: 1-line block ×3, first 2 shown]
	ds_read2_b64 v[63:66], v34 offset0:64 offset1:96
	v_mul_u32_u24_sdwa v69, v70, s34 dst_sel:DWORD dst_unused:UNUSED_PAD src0_sel:WORD_1 src1_sel:DWORD
	v_mul_u32_u24_sdwa v70, v72, s34 dst_sel:DWORD dst_unused:UNUSED_PAD src0_sel:WORD_0 src1_sel:DWORD
	s_waitcnt lgkmcnt(0)
	v_pk_fma_f16 v54, v63, v69, v54
	v_pk_fma_f16 v55, v64, v69, v55
	;; [unrolled: 1-line block ×4, first 2 shown]
	ds_read2_b64 v[63:66], v34 offset0:128 offset1:160
	v_mul_u32_u24_sdwa v69, v71, s34 dst_sel:DWORD dst_unused:UNUSED_PAD src0_sel:WORD_0 src1_sel:DWORD
	s_waitcnt lgkmcnt(0)
	v_pk_fma_f16 v54, v63, v69, v54
	v_pk_fma_f16 v55, v64, v69, v55
	;; [unrolled: 1-line block ×4, first 2 shown]
	ds_read2_b64 v[63:66], v34 offset0:192 offset1:224
	v_mul_u32_u24_sdwa v69, v71, s34 dst_sel:DWORD dst_unused:UNUSED_PAD src0_sel:WORD_1 src1_sel:DWORD
	v_mul_u32_u24_sdwa v71, v9, s34 dst_sel:DWORD dst_unused:UNUSED_PAD src0_sel:WORD_0 src1_sel:DWORD
	v_mul_u32_u24_sdwa v9, v9, s34 dst_sel:DWORD dst_unused:UNUSED_PAD src0_sel:WORD_1 src1_sel:DWORD
	s_waitcnt lgkmcnt(0)
	v_pk_fma_f16 v55, v64, v69, v55
	v_add_u32_e32 v64, 0x800, v34
	v_pk_fma_f16 v54, v63, v69, v54
	v_pk_fma_f16 v63, v65, v69, v67
	;; [unrolled: 1-line block ×3, first 2 shown]
	ds_read2_b64 v[65:68], v64 offset1:32
	s_waitcnt lgkmcnt(0)
	v_pk_fma_f16 v54, v65, v70, v54
	v_pk_fma_f16 v55, v66, v70, v55
	;; [unrolled: 1-line block ×4, first 2 shown]
	ds_read2_b64 v[65:68], v64 offset0:64 offset1:96
	v_mul_u32_u24_sdwa v70, v72, s34 dst_sel:DWORD dst_unused:UNUSED_PAD src0_sel:WORD_1 src1_sel:DWORD
	s_waitcnt lgkmcnt(0)
	v_pk_fma_f16 v54, v65, v70, v54
	v_pk_fma_f16 v55, v66, v70, v55
	;; [unrolled: 1-line block ×4, first 2 shown]
	ds_read2_b64 v[65:68], v64 offset0:128 offset1:160
	v_mul_u32_u24_sdwa v70, v73, s34 dst_sel:DWORD dst_unused:UNUSED_PAD src0_sel:WORD_0 src1_sel:DWORD
	s_waitcnt lgkmcnt(0)
	v_pk_fma_f16 v54, v65, v70, v54
	v_pk_fma_f16 v55, v66, v70, v55
	;; [unrolled: 1-line block ×4, first 2 shown]
	ds_read2_b64 v[65:68], v64 offset0:192 offset1:224
	v_mul_u32_u24_sdwa v70, v73, s34 dst_sel:DWORD dst_unused:UNUSED_PAD src0_sel:WORD_1 src1_sel:DWORD
	s_waitcnt lgkmcnt(0)
	v_pk_fma_f16 v54, v65, v70, v54
	v_add_u32_e32 v65, 0x1000, v34
	v_pk_fma_f16 v55, v66, v70, v55
	v_pk_fma_f16 v63, v67, v70, v63
	;; [unrolled: 1-line block ×3, first 2 shown]
	ds_read2_b64 v[66:69], v65 offset1:32
	s_waitcnt lgkmcnt(0)
	v_pk_fma_f16 v54, v66, v71, v54
	v_pk_fma_f16 v55, v67, v71, v55
	;; [unrolled: 1-line block ×4, first 2 shown]
	ds_read2_b64 v[66:69], v65 offset0:64 offset1:96
	s_waitcnt lgkmcnt(0)
	v_pk_fma_f16 v54, v66, v9, v54
	v_pk_fma_f16 v55, v67, v9, v55
	;; [unrolled: 1-line block ×4, first 2 shown]
	ds_read2_b64 v[66:69], v65 offset0:128 offset1:160
	v_mul_u32_u24_sdwa v70, v10, s34 dst_sel:DWORD dst_unused:UNUSED_PAD src0_sel:WORD_0 src1_sel:DWORD
	v_mul_u32_u24_sdwa v10, v10, s34 dst_sel:DWORD dst_unused:UNUSED_PAD src0_sel:WORD_1 src1_sel:DWORD
	s_waitcnt lgkmcnt(0)
	v_pk_fma_f16 v54, v66, v70, v54
	v_pk_fma_f16 v55, v67, v70, v55
	;; [unrolled: 1-line block ×4, first 2 shown]
	ds_read2_b64 v[66:69], v65 offset0:192 offset1:224
	s_waitcnt lgkmcnt(0)
	v_pk_fma_f16 v54, v66, v10, v54
	v_add_u32_e32 v66, 0x1800, v34
	v_pk_fma_f16 v55, v67, v10, v55
	v_pk_fma_f16 v63, v68, v10, v63
	;; [unrolled: 1-line block ×3, first 2 shown]
	ds_read2_b64 v[67:70], v66 offset1:32
	v_mul_u32_u24_sdwa v10, v11, s34 dst_sel:DWORD dst_unused:UNUSED_PAD src0_sel:WORD_0 src1_sel:DWORD
	s_waitcnt lgkmcnt(0)
	v_pk_fma_f16 v54, v67, v10, v54
	v_pk_fma_f16 v55, v68, v10, v55
	;; [unrolled: 1-line block ×4, first 2 shown]
	ds_read2_b64 v[67:70], v66 offset0:64 offset1:96
	v_mul_u32_u24_sdwa v10, v11, s34 dst_sel:DWORD dst_unused:UNUSED_PAD src0_sel:WORD_1 src1_sel:DWORD
	s_waitcnt lgkmcnt(0)
	v_pk_fma_f16 v11, v67, v10, v54
	v_pk_fma_f16 v54, v68, v10, v55
	;; [unrolled: 1-line block ×4, first 2 shown]
	ds_read2_b64 v[67:70], v66 offset0:128 offset1:160
	v_mul_u32_u24_sdwa v10, v12, s34 dst_sel:DWORD dst_unused:UNUSED_PAD src0_sel:WORD_0 src1_sel:DWORD
	s_waitcnt lgkmcnt(0)
	v_pk_fma_f16 v11, v67, v10, v11
	v_pk_fma_f16 v54, v68, v10, v54
	;; [unrolled: 1-line block ×4, first 2 shown]
	ds_read2_b64 v[67:70], v66 offset0:192 offset1:224
	v_mul_u32_u24_sdwa v10, v12, s34 dst_sel:DWORD dst_unused:UNUSED_PAD src0_sel:WORD_1 src1_sel:DWORD
	s_waitcnt lgkmcnt(0)
	v_pk_fma_f16 v63, v67, v10, v11
	v_add_u32_e32 v67, 0x2000, v34
	v_pk_fma_f16 v54, v68, v10, v54
	v_pk_fma_f16 v55, v69, v10, v55
	;; [unrolled: 1-line block ×3, first 2 shown]
	ds_read2_b64 v[9:12], v67 offset1:32
	v_mul_u32_u24_sdwa v69, v5, s34 dst_sel:DWORD dst_unused:UNUSED_PAD src0_sel:WORD_0 src1_sel:DWORD
	v_mul_u32_u24_sdwa v5, v5, s34 dst_sel:DWORD dst_unused:UNUSED_PAD src0_sel:WORD_1 src1_sel:DWORD
	s_waitcnt lgkmcnt(0)
	v_pk_fma_f16 v63, v9, v69, v63
	v_pk_fma_f16 v54, v10, v69, v54
	;; [unrolled: 1-line block ×4, first 2 shown]
	ds_read2_b64 v[9:12], v67 offset0:64 offset1:96
	s_waitcnt lgkmcnt(0)
	v_pk_fma_f16 v63, v9, v5, v63
	v_pk_fma_f16 v54, v10, v5, v54
	;; [unrolled: 1-line block ×4, first 2 shown]
	ds_read2_b64 v[9:12], v67 offset0:128 offset1:160
	v_mul_u32_u24_sdwa v68, v6, s34 dst_sel:DWORD dst_unused:UNUSED_PAD src0_sel:WORD_0 src1_sel:DWORD
	v_mul_u32_u24_sdwa v6, v6, s34 dst_sel:DWORD dst_unused:UNUSED_PAD src0_sel:WORD_1 src1_sel:DWORD
	s_waitcnt lgkmcnt(0)
	v_pk_fma_f16 v63, v9, v68, v63
	v_pk_fma_f16 v54, v10, v68, v54
	;; [unrolled: 1-line block ×4, first 2 shown]
	ds_read2_b64 v[9:12], v67 offset0:192 offset1:224
	s_waitcnt lgkmcnt(0)
	v_pk_fma_f16 v68, v9, v6, v63
	v_add_u32_e32 v63, 0x2800, v34
	v_pk_fma_f16 v54, v10, v6, v54
	v_pk_fma_f16 v55, v11, v6, v55
	;; [unrolled: 1-line block ×3, first 2 shown]
	ds_read2_b64 v[9:12], v63 offset1:32
	v_mul_u32_u24_sdwa v6, v7, s34 dst_sel:DWORD dst_unused:UNUSED_PAD src0_sel:WORD_0 src1_sel:DWORD
	s_waitcnt lgkmcnt(0)
	v_pk_fma_f16 v68, v9, v6, v68
	v_pk_fma_f16 v54, v10, v6, v54
	;; [unrolled: 1-line block ×4, first 2 shown]
	ds_read2_b64 v[9:12], v63 offset0:64 offset1:96
	v_mul_u32_u24_sdwa v6, v7, s34 dst_sel:DWORD dst_unused:UNUSED_PAD src0_sel:WORD_1 src1_sel:DWORD
	s_waitcnt lgkmcnt(0)
	v_pk_fma_f16 v7, v9, v6, v68
	v_pk_fma_f16 v54, v10, v6, v54
	;; [unrolled: 1-line block ×4, first 2 shown]
	ds_read2_b64 v[9:12], v63 offset0:128 offset1:160
	v_mul_u32_u24_sdwa v6, v8, s34 dst_sel:DWORD dst_unused:UNUSED_PAD src0_sel:WORD_0 src1_sel:DWORD
	s_waitcnt lgkmcnt(0)
	v_pk_fma_f16 v7, v9, v6, v7
	v_pk_fma_f16 v54, v10, v6, v54
	;; [unrolled: 1-line block ×4, first 2 shown]
	ds_read2_b64 v[9:12], v63 offset0:192 offset1:224
	v_mul_u32_u24_sdwa v6, v8, s34 dst_sel:DWORD dst_unused:UNUSED_PAD src0_sel:WORD_1 src1_sel:DWORD
	s_waitcnt lgkmcnt(0)
	v_pk_fma_f16 v11, v11, v6, v55
	v_add_u32_e32 v55, 0x3000, v34
	v_pk_fma_f16 v9, v9, v6, v7
	v_pk_fma_f16 v10, v10, v6, v54
	;; [unrolled: 1-line block ×3, first 2 shown]
	ds_read2_b64 v[5:8], v55 offset1:32
	v_mul_u32_u24_sdwa v54, v1, s34 dst_sel:DWORD dst_unused:UNUSED_PAD src0_sel:WORD_0 src1_sel:DWORD
	v_mul_u32_u24_sdwa v1, v1, s34 dst_sel:DWORD dst_unused:UNUSED_PAD src0_sel:WORD_1 src1_sel:DWORD
	s_waitcnt lgkmcnt(0)
	v_pk_fma_f16 v9, v5, v54, v9
	v_pk_fma_f16 v10, v6, v54, v10
	;; [unrolled: 1-line block ×4, first 2 shown]
	ds_read2_b64 v[5:8], v55 offset0:64 offset1:96
	v_add_u32_e32 v54, 0x3800, v34
	s_waitcnt lgkmcnt(0)
	v_pk_fma_f16 v9, v5, v1, v9
	v_pk_fma_f16 v10, v6, v1, v10
	;; [unrolled: 1-line block ×4, first 2 shown]
	ds_read2_b64 v[5:8], v55 offset0:128 offset1:160
	v_mul_u32_u24_sdwa v12, v2, s34 dst_sel:DWORD dst_unused:UNUSED_PAD src0_sel:WORD_0 src1_sel:DWORD
	v_mul_u32_u24_sdwa v2, v2, s34 dst_sel:DWORD dst_unused:UNUSED_PAD src0_sel:WORD_1 src1_sel:DWORD
	s_waitcnt lgkmcnt(0)
	v_pk_fma_f16 v9, v5, v12, v9
	v_pk_fma_f16 v10, v6, v12, v10
	v_pk_fma_f16 v11, v7, v12, v11
	v_pk_fma_f16 v1, v8, v12, v1
	ds_read2_b64 v[5:8], v55 offset0:192 offset1:224
	s_waitcnt lgkmcnt(0)
	v_pk_fma_f16 v9, v5, v2, v9
	v_pk_fma_f16 v10, v6, v2, v10
	v_pk_fma_f16 v11, v7, v2, v11
	v_pk_fma_f16 v1, v8, v2, v1
	ds_read2_b64 v[5:8], v54 offset1:32
	v_mul_u32_u24_sdwa v2, v3, s34 dst_sel:DWORD dst_unused:UNUSED_PAD src0_sel:WORD_0 src1_sel:DWORD
	s_waitcnt lgkmcnt(0)
	v_pk_fma_f16 v9, v5, v2, v9
	v_pk_fma_f16 v10, v6, v2, v10
	;; [unrolled: 1-line block ×4, first 2 shown]
	ds_read2_b64 v[5:8], v54 offset0:64 offset1:96
	v_mul_u32_u24_sdwa v2, v3, s34 dst_sel:DWORD dst_unused:UNUSED_PAD src0_sel:WORD_1 src1_sel:DWORD
	s_waitcnt lgkmcnt(0)
	v_pk_fma_f16 v3, v5, v2, v9
	v_pk_fma_f16 v9, v6, v2, v10
	;; [unrolled: 1-line block ×4, first 2 shown]
	ds_read2_b64 v[5:8], v54 offset0:128 offset1:160
	v_mul_u32_u24_sdwa v2, v4, s34 dst_sel:DWORD dst_unused:UNUSED_PAD src0_sel:WORD_0 src1_sel:DWORD
	s_waitcnt lgkmcnt(0)
	v_pk_fma_f16 v3, v5, v2, v3
	v_pk_fma_f16 v9, v6, v2, v9
	;; [unrolled: 1-line block ×4, first 2 shown]
	ds_read2_b64 v[5:8], v54 offset0:192 offset1:224
	v_mul_u32_u24_sdwa v2, v4, s34 dst_sel:DWORD dst_unused:UNUSED_PAD src0_sel:WORD_1 src1_sel:DWORD
	s_waitcnt lgkmcnt(0)
	s_barrier
	v_pk_fma_f16 v76, v5, v2, v3
	v_pk_fma_f16 v77, v6, v2, v9
	v_pk_fma_f16 v78, v7, v2, v10
	v_pk_fma_f16 v79, v8, v2, v1
	v_add_co_u32_e32 v1, vcc, s8, v22
	v_mov_b32_e32 v2, s9
	v_addc_co_u32_e32 v2, vcc, v2, v23, vcc
	v_add_co_u32_e32 v1, vcc, v1, v44
	v_addc_co_u32_e32 v2, vcc, 0, v2, vcc
	global_load_dwordx4 v[1:4], v[1:2], off
	s_waitcnt vmcnt(0)
	ds_write_b128 v45, v[1:4]
	v_add_co_u32_e32 v1, vcc, s8, v24
	v_mov_b32_e32 v2, s9
	v_addc_co_u32_e32 v2, vcc, v2, v25, vcc
	v_add_co_u32_e32 v1, vcc, v1, v44
	v_addc_co_u32_e32 v2, vcc, 0, v2, vcc
	global_load_dwordx4 v[1:4], v[1:2], off
	s_waitcnt vmcnt(0)
	ds_write_b128 v46, v[1:4]
	v_add_co_u32_e32 v1, vcc, s8, v26
	v_mov_b32_e32 v2, s9
	v_addc_co_u32_e32 v2, vcc, v2, v27, vcc
	v_add_co_u32_e32 v1, vcc, v1, v44
	v_addc_co_u32_e32 v2, vcc, 0, v2, vcc
	global_load_dwordx4 v[1:4], v[1:2], off
	s_waitcnt vmcnt(0)
	ds_write_b128 v47, v[1:4]
	v_add_co_u32_e32 v1, vcc, s8, v28
	v_mov_b32_e32 v2, s9
	v_addc_co_u32_e32 v2, vcc, v2, v29, vcc
	v_add_co_u32_e32 v1, vcc, v1, v44
	v_addc_co_u32_e32 v2, vcc, 0, v2, vcc
	global_load_dwordx4 v[1:4], v[1:2], off
	s_waitcnt vmcnt(0)
	ds_write_b128 v48, v[1:4]
	s_waitcnt lgkmcnt(0)
	s_barrier
	ds_read2_b64 v[68:71], v34 offset1:32
	ds_read_b128 v[72:75], v42 offset:64
	ds_read_b128 v[9:12], v42 offset:80
	;; [unrolled: 1-line block ×4, first 2 shown]
	s_waitcnt lgkmcnt(3)
	v_mul_u32_u24_sdwa v80, v72, s34 dst_sel:DWORD dst_unused:UNUSED_PAD src0_sel:WORD_0 src1_sel:DWORD
	v_pk_fma_f16 v76, v68, v80, v76
	v_pk_fma_f16 v77, v69, v80, v77
	v_pk_fma_f16 v78, v70, v80, v78
	v_pk_fma_f16 v79, v71, v80, v79
	ds_read2_b64 v[68:71], v34 offset0:64 offset1:96
	v_mul_u32_u24_sdwa v72, v72, s34 dst_sel:DWORD dst_unused:UNUSED_PAD src0_sel:WORD_1 src1_sel:DWORD
	s_waitcnt lgkmcnt(0)
	v_pk_fma_f16 v76, v68, v72, v76
	v_pk_fma_f16 v77, v69, v72, v77
	v_pk_fma_f16 v78, v70, v72, v78
	v_pk_fma_f16 v72, v71, v72, v79
	ds_read2_b64 v[68:71], v34 offset0:128 offset1:160
	v_mul_u32_u24_sdwa v79, v73, s34 dst_sel:DWORD dst_unused:UNUSED_PAD src0_sel:WORD_0 src1_sel:DWORD
	v_mul_u32_u24_sdwa v73, v73, s34 dst_sel:DWORD dst_unused:UNUSED_PAD src0_sel:WORD_1 src1_sel:DWORD
	s_waitcnt lgkmcnt(0)
	v_pk_fma_f16 v76, v68, v79, v76
	v_pk_fma_f16 v77, v69, v79, v77
	;; [unrolled: 1-line block ×4, first 2 shown]
	ds_read2_b64 v[68:71], v34 offset0:192 offset1:224
	s_waitcnt lgkmcnt(0)
	v_pk_fma_f16 v76, v68, v73, v76
	v_pk_fma_f16 v77, v69, v73, v77
	;; [unrolled: 1-line block ×4, first 2 shown]
	ds_read2_b64 v[68:71], v64 offset1:32
	v_mul_u32_u24_sdwa v73, v74, s34 dst_sel:DWORD dst_unused:UNUSED_PAD src0_sel:WORD_0 src1_sel:DWORD
	s_waitcnt lgkmcnt(0)
	v_pk_fma_f16 v76, v68, v73, v76
	v_pk_fma_f16 v77, v69, v73, v77
	;; [unrolled: 1-line block ×4, first 2 shown]
	ds_read2_b64 v[68:71], v64 offset0:64 offset1:96
	v_mul_u32_u24_sdwa v73, v74, s34 dst_sel:DWORD dst_unused:UNUSED_PAD src0_sel:WORD_1 src1_sel:DWORD
	s_waitcnt lgkmcnt(0)
	v_pk_fma_f16 v74, v68, v73, v76
	v_pk_fma_f16 v76, v69, v73, v77
	;; [unrolled: 1-line block ×4, first 2 shown]
	ds_read2_b64 v[68:71], v64 offset0:128 offset1:160
	v_mul_u32_u24_sdwa v73, v75, s34 dst_sel:DWORD dst_unused:UNUSED_PAD src0_sel:WORD_0 src1_sel:DWORD
	s_waitcnt lgkmcnt(0)
	v_pk_fma_f16 v74, v68, v73, v74
	v_pk_fma_f16 v76, v69, v73, v76
	;; [unrolled: 1-line block ×4, first 2 shown]
	ds_read2_b64 v[68:71], v64 offset0:192 offset1:224
	v_mul_u32_u24_sdwa v64, v75, s34 dst_sel:DWORD dst_unused:UNUSED_PAD src0_sel:WORD_1 src1_sel:DWORD
	s_waitcnt lgkmcnt(0)
	v_pk_fma_f16 v73, v68, v64, v74
	v_pk_fma_f16 v74, v69, v64, v76
	;; [unrolled: 1-line block ×4, first 2 shown]
	ds_read2_b64 v[68:71], v65 offset1:32
	v_mul_u32_u24_sdwa v72, v9, s34 dst_sel:DWORD dst_unused:UNUSED_PAD src0_sel:WORD_0 src1_sel:DWORD
	v_mul_u32_u24_sdwa v9, v9, s34 dst_sel:DWORD dst_unused:UNUSED_PAD src0_sel:WORD_1 src1_sel:DWORD
	s_waitcnt lgkmcnt(0)
	v_pk_fma_f16 v73, v68, v72, v73
	v_pk_fma_f16 v74, v69, v72, v74
	;; [unrolled: 1-line block ×4, first 2 shown]
	ds_read2_b64 v[68:71], v65 offset0:64 offset1:96
	s_waitcnt lgkmcnt(0)
	v_pk_fma_f16 v72, v68, v9, v73
	v_pk_fma_f16 v73, v69, v9, v74
	;; [unrolled: 1-line block ×4, first 2 shown]
	ds_read2_b64 v[68:71], v65 offset0:128 offset1:160
	v_mul_u32_u24_sdwa v64, v10, s34 dst_sel:DWORD dst_unused:UNUSED_PAD src0_sel:WORD_0 src1_sel:DWORD
	v_mul_u32_u24_sdwa v10, v10, s34 dst_sel:DWORD dst_unused:UNUSED_PAD src0_sel:WORD_1 src1_sel:DWORD
	s_waitcnt lgkmcnt(0)
	v_pk_fma_f16 v72, v68, v64, v72
	v_pk_fma_f16 v73, v69, v64, v73
	;; [unrolled: 1-line block ×4, first 2 shown]
	ds_read2_b64 v[68:71], v65 offset0:192 offset1:224
	s_waitcnt lgkmcnt(0)
	v_pk_fma_f16 v64, v68, v10, v72
	v_pk_fma_f16 v65, v69, v10, v73
	;; [unrolled: 1-line block ×4, first 2 shown]
	ds_read2_b64 v[68:71], v66 offset1:32
	v_mul_u32_u24_sdwa v10, v11, s34 dst_sel:DWORD dst_unused:UNUSED_PAD src0_sel:WORD_0 src1_sel:DWORD
	s_waitcnt lgkmcnt(0)
	v_pk_fma_f16 v64, v68, v10, v64
	v_pk_fma_f16 v65, v69, v10, v65
	;; [unrolled: 1-line block ×4, first 2 shown]
	ds_read2_b64 v[68:71], v66 offset0:64 offset1:96
	v_mul_u32_u24_sdwa v10, v11, s34 dst_sel:DWORD dst_unused:UNUSED_PAD src0_sel:WORD_1 src1_sel:DWORD
	s_waitcnt lgkmcnt(0)
	v_pk_fma_f16 v11, v68, v10, v64
	v_pk_fma_f16 v64, v69, v10, v65
	;; [unrolled: 1-line block ×4, first 2 shown]
	ds_read2_b64 v[68:71], v66 offset0:128 offset1:160
	v_mul_u32_u24_sdwa v10, v12, s34 dst_sel:DWORD dst_unused:UNUSED_PAD src0_sel:WORD_0 src1_sel:DWORD
	s_waitcnt lgkmcnt(0)
	v_pk_fma_f16 v11, v68, v10, v11
	v_pk_fma_f16 v64, v69, v10, v64
	;; [unrolled: 1-line block ×4, first 2 shown]
	ds_read2_b64 v[68:71], v66 offset0:192 offset1:224
	v_mul_u32_u24_sdwa v10, v12, s34 dst_sel:DWORD dst_unused:UNUSED_PAD src0_sel:WORD_1 src1_sel:DWORD
	s_waitcnt lgkmcnt(0)
	v_pk_fma_f16 v66, v68, v10, v11
	v_pk_fma_f16 v64, v69, v10, v64
	;; [unrolled: 1-line block ×4, first 2 shown]
	ds_read2_b64 v[9:12], v67 offset1:32
	v_mul_u32_u24_sdwa v69, v5, s34 dst_sel:DWORD dst_unused:UNUSED_PAD src0_sel:WORD_0 src1_sel:DWORD
	v_mul_u32_u24_sdwa v5, v5, s34 dst_sel:DWORD dst_unused:UNUSED_PAD src0_sel:WORD_1 src1_sel:DWORD
	s_waitcnt lgkmcnt(0)
	v_pk_fma_f16 v66, v9, v69, v66
	v_pk_fma_f16 v64, v10, v69, v64
	;; [unrolled: 1-line block ×4, first 2 shown]
	ds_read2_b64 v[9:12], v67 offset0:64 offset1:96
	s_waitcnt lgkmcnt(0)
	v_pk_fma_f16 v66, v9, v5, v66
	v_pk_fma_f16 v64, v10, v5, v64
	;; [unrolled: 1-line block ×4, first 2 shown]
	ds_read2_b64 v[9:12], v67 offset0:128 offset1:160
	v_mul_u32_u24_sdwa v68, v6, s34 dst_sel:DWORD dst_unused:UNUSED_PAD src0_sel:WORD_0 src1_sel:DWORD
	v_mul_u32_u24_sdwa v6, v6, s34 dst_sel:DWORD dst_unused:UNUSED_PAD src0_sel:WORD_1 src1_sel:DWORD
	s_waitcnt lgkmcnt(0)
	v_pk_fma_f16 v66, v9, v68, v66
	v_pk_fma_f16 v64, v10, v68, v64
	;; [unrolled: 1-line block ×4, first 2 shown]
	ds_read2_b64 v[9:12], v67 offset0:192 offset1:224
	s_waitcnt lgkmcnt(0)
	v_pk_fma_f16 v66, v9, v6, v66
	v_pk_fma_f16 v64, v10, v6, v64
	;; [unrolled: 1-line block ×4, first 2 shown]
	ds_read2_b64 v[9:12], v63 offset1:32
	v_mul_u32_u24_sdwa v6, v7, s34 dst_sel:DWORD dst_unused:UNUSED_PAD src0_sel:WORD_0 src1_sel:DWORD
	s_waitcnt lgkmcnt(0)
	v_pk_fma_f16 v66, v9, v6, v66
	v_pk_fma_f16 v64, v10, v6, v64
	;; [unrolled: 1-line block ×4, first 2 shown]
	ds_read2_b64 v[9:12], v63 offset0:64 offset1:96
	v_mul_u32_u24_sdwa v6, v7, s34 dst_sel:DWORD dst_unused:UNUSED_PAD src0_sel:WORD_1 src1_sel:DWORD
	s_waitcnt lgkmcnt(0)
	v_pk_fma_f16 v7, v9, v6, v66
	v_pk_fma_f16 v64, v10, v6, v64
	;; [unrolled: 1-line block ×4, first 2 shown]
	ds_read2_b64 v[9:12], v63 offset0:128 offset1:160
	v_mul_u32_u24_sdwa v6, v8, s34 dst_sel:DWORD dst_unused:UNUSED_PAD src0_sel:WORD_0 src1_sel:DWORD
	s_waitcnt lgkmcnt(0)
	v_pk_fma_f16 v7, v9, v6, v7
	v_pk_fma_f16 v64, v10, v6, v64
	;; [unrolled: 1-line block ×4, first 2 shown]
	ds_read2_b64 v[9:12], v63 offset0:192 offset1:224
	v_mul_u32_u24_sdwa v6, v8, s34 dst_sel:DWORD dst_unused:UNUSED_PAD src0_sel:WORD_1 src1_sel:DWORD
	v_mul_u32_u24_sdwa v63, v1, s34 dst_sel:DWORD dst_unused:UNUSED_PAD src0_sel:WORD_0 src1_sel:DWORD
	v_mul_u32_u24_sdwa v1, v1, s34 dst_sel:DWORD dst_unused:UNUSED_PAD src0_sel:WORD_1 src1_sel:DWORD
	s_waitcnt lgkmcnt(0)
	v_pk_fma_f16 v9, v9, v6, v7
	v_pk_fma_f16 v10, v10, v6, v64
	;; [unrolled: 1-line block ×4, first 2 shown]
	ds_read2_b64 v[5:8], v55 offset1:32
	s_waitcnt lgkmcnt(0)
	v_pk_fma_f16 v9, v5, v63, v9
	v_pk_fma_f16 v10, v6, v63, v10
	;; [unrolled: 1-line block ×4, first 2 shown]
	ds_read2_b64 v[5:8], v55 offset0:64 offset1:96
	s_waitcnt lgkmcnt(0)
	v_pk_fma_f16 v9, v5, v1, v9
	v_pk_fma_f16 v10, v6, v1, v10
	;; [unrolled: 1-line block ×4, first 2 shown]
	ds_read2_b64 v[5:8], v55 offset0:128 offset1:160
	v_mul_u32_u24_sdwa v12, v2, s34 dst_sel:DWORD dst_unused:UNUSED_PAD src0_sel:WORD_0 src1_sel:DWORD
	v_mul_u32_u24_sdwa v2, v2, s34 dst_sel:DWORD dst_unused:UNUSED_PAD src0_sel:WORD_1 src1_sel:DWORD
	s_waitcnt lgkmcnt(0)
	v_pk_fma_f16 v9, v5, v12, v9
	v_pk_fma_f16 v10, v6, v12, v10
	;; [unrolled: 1-line block ×4, first 2 shown]
	ds_read2_b64 v[5:8], v55 offset0:192 offset1:224
	s_waitcnt lgkmcnt(0)
	v_pk_fma_f16 v9, v5, v2, v9
	v_pk_fma_f16 v10, v6, v2, v10
	;; [unrolled: 1-line block ×4, first 2 shown]
	ds_read2_b64 v[5:8], v54 offset1:32
	v_mul_u32_u24_sdwa v2, v3, s34 dst_sel:DWORD dst_unused:UNUSED_PAD src0_sel:WORD_0 src1_sel:DWORD
	s_waitcnt lgkmcnt(0)
	v_pk_fma_f16 v9, v5, v2, v9
	v_pk_fma_f16 v10, v6, v2, v10
	;; [unrolled: 1-line block ×4, first 2 shown]
	ds_read2_b64 v[5:8], v54 offset0:64 offset1:96
	v_mul_u32_u24_sdwa v2, v3, s34 dst_sel:DWORD dst_unused:UNUSED_PAD src0_sel:WORD_1 src1_sel:DWORD
	s_waitcnt lgkmcnt(0)
	v_pk_fma_f16 v3, v5, v2, v9
	v_pk_fma_f16 v9, v6, v2, v10
	;; [unrolled: 1-line block ×4, first 2 shown]
	ds_read2_b64 v[5:8], v54 offset0:128 offset1:160
	v_mul_u32_u24_sdwa v2, v4, s34 dst_sel:DWORD dst_unused:UNUSED_PAD src0_sel:WORD_0 src1_sel:DWORD
	s_waitcnt lgkmcnt(0)
	v_pk_fma_f16 v3, v5, v2, v3
	v_pk_fma_f16 v9, v6, v2, v9
	;; [unrolled: 1-line block ×4, first 2 shown]
	ds_read2_b64 v[5:8], v54 offset0:192 offset1:224
	s_waitcnt lgkmcnt(0)
	s_barrier
	s_load_dword s8, s[0:1], 0x4
	v_mul_u32_u24_sdwa v2, v4, s34 dst_sel:DWORD dst_unused:UNUSED_PAD src0_sel:WORD_1 src1_sel:DWORD
	v_pk_fma_f16 v54, v5, v2, v3
	v_pk_fma_f16 v55, v6, v2, v9
	;; [unrolled: 1-line block ×3, first 2 shown]
	s_waitcnt lgkmcnt(0)
	s_lshl_b32 s8, s8, 6
	s_add_i32 s6, s8, s6
	v_pk_fma_f16 v9, v8, v2, v1
	s_cmp_ge_i32 s6, s28
	s_cbranch_scc1 .LBB60_7
; %bb.23:                               ;   in Loop: Header=BB60_14 Depth=1
	v_mov_b32_e32 v12, v30
	v_mov_b32_e32 v11, v62
	s_branch .LBB60_14
	.section	.rodata,"a",@progbits
	.p2align	6, 0x0
	.amdhsa_kernel _ZL15flash_attn_tileILi256ELi256ELi1ELi8ELb1EEvPKcS1_S1_S1_S1_PKiPfP15HIP_vector_typeIfLj2EEffffjfiS5_IjLj3EEiiiiiiiiiiiliiliiiiil
		.amdhsa_group_segment_fixed_size 22528
		.amdhsa_private_segment_fixed_size 0
		.amdhsa_kernarg_size 464
		.amdhsa_user_sgpr_count 6
		.amdhsa_user_sgpr_private_segment_buffer 1
		.amdhsa_user_sgpr_dispatch_ptr 0
		.amdhsa_user_sgpr_queue_ptr 0
		.amdhsa_user_sgpr_kernarg_segment_ptr 1
		.amdhsa_user_sgpr_dispatch_id 0
		.amdhsa_user_sgpr_flat_scratch_init 0
		.amdhsa_user_sgpr_private_segment_size 0
		.amdhsa_uses_dynamic_stack 0
		.amdhsa_system_sgpr_private_segment_wavefront_offset 0
		.amdhsa_system_sgpr_workgroup_id_x 1
		.amdhsa_system_sgpr_workgroup_id_y 1
		.amdhsa_system_sgpr_workgroup_id_z 1
		.amdhsa_system_sgpr_workgroup_info 0
		.amdhsa_system_vgpr_workitem_id 1
		.amdhsa_next_free_vgpr 85
		.amdhsa_next_free_sgpr 98
		.amdhsa_reserve_vcc 1
		.amdhsa_reserve_flat_scratch 0
		.amdhsa_float_round_mode_32 0
		.amdhsa_float_round_mode_16_64 0
		.amdhsa_float_denorm_mode_32 3
		.amdhsa_float_denorm_mode_16_64 3
		.amdhsa_dx10_clamp 1
		.amdhsa_ieee_mode 1
		.amdhsa_fp16_overflow 0
		.amdhsa_exception_fp_ieee_invalid_op 0
		.amdhsa_exception_fp_denorm_src 0
		.amdhsa_exception_fp_ieee_div_zero 0
		.amdhsa_exception_fp_ieee_overflow 0
		.amdhsa_exception_fp_ieee_underflow 0
		.amdhsa_exception_fp_ieee_inexact 0
		.amdhsa_exception_int_div_zero 0
	.end_amdhsa_kernel
	.section	.text._ZL15flash_attn_tileILi256ELi256ELi1ELi8ELb1EEvPKcS1_S1_S1_S1_PKiPfP15HIP_vector_typeIfLj2EEffffjfiS5_IjLj3EEiiiiiiiiiiiliiliiiiil,"axG",@progbits,_ZL15flash_attn_tileILi256ELi256ELi1ELi8ELb1EEvPKcS1_S1_S1_S1_PKiPfP15HIP_vector_typeIfLj2EEffffjfiS5_IjLj3EEiiiiiiiiiiiliiliiiiil,comdat
.Lfunc_end60:
	.size	_ZL15flash_attn_tileILi256ELi256ELi1ELi8ELb1EEvPKcS1_S1_S1_S1_PKiPfP15HIP_vector_typeIfLj2EEffffjfiS5_IjLj3EEiiiiiiiiiiiliiliiiiil, .Lfunc_end60-_ZL15flash_attn_tileILi256ELi256ELi1ELi8ELb1EEvPKcS1_S1_S1_S1_PKiPfP15HIP_vector_typeIfLj2EEffffjfiS5_IjLj3EEiiiiiiiiiiiliiliiiiil
                                        ; -- End function
	.set _ZL15flash_attn_tileILi256ELi256ELi1ELi8ELb1EEvPKcS1_S1_S1_S1_PKiPfP15HIP_vector_typeIfLj2EEffffjfiS5_IjLj3EEiiiiiiiiiiiliiliiiiil.num_vgpr, 81
	.set _ZL15flash_attn_tileILi256ELi256ELi1ELi8ELb1EEvPKcS1_S1_S1_S1_PKiPfP15HIP_vector_typeIfLj2EEffffjfiS5_IjLj3EEiiiiiiiiiiiliiliiiiil.num_agpr, 0
	.set _ZL15flash_attn_tileILi256ELi256ELi1ELi8ELb1EEvPKcS1_S1_S1_S1_PKiPfP15HIP_vector_typeIfLj2EEffffjfiS5_IjLj3EEiiiiiiiiiiiliiliiiiil.numbered_sgpr, 40
	.set _ZL15flash_attn_tileILi256ELi256ELi1ELi8ELb1EEvPKcS1_S1_S1_S1_PKiPfP15HIP_vector_typeIfLj2EEffffjfiS5_IjLj3EEiiiiiiiiiiiliiliiiiil.num_named_barrier, 0
	.set _ZL15flash_attn_tileILi256ELi256ELi1ELi8ELb1EEvPKcS1_S1_S1_S1_PKiPfP15HIP_vector_typeIfLj2EEffffjfiS5_IjLj3EEiiiiiiiiiiiliiliiiiil.private_seg_size, 0
	.set _ZL15flash_attn_tileILi256ELi256ELi1ELi8ELb1EEvPKcS1_S1_S1_S1_PKiPfP15HIP_vector_typeIfLj2EEffffjfiS5_IjLj3EEiiiiiiiiiiiliiliiiiil.uses_vcc, 1
	.set _ZL15flash_attn_tileILi256ELi256ELi1ELi8ELb1EEvPKcS1_S1_S1_S1_PKiPfP15HIP_vector_typeIfLj2EEffffjfiS5_IjLj3EEiiiiiiiiiiiliiliiiiil.uses_flat_scratch, 0
	.set _ZL15flash_attn_tileILi256ELi256ELi1ELi8ELb1EEvPKcS1_S1_S1_S1_PKiPfP15HIP_vector_typeIfLj2EEffffjfiS5_IjLj3EEiiiiiiiiiiiliiliiiiil.has_dyn_sized_stack, 0
	.set _ZL15flash_attn_tileILi256ELi256ELi1ELi8ELb1EEvPKcS1_S1_S1_S1_PKiPfP15HIP_vector_typeIfLj2EEffffjfiS5_IjLj3EEiiiiiiiiiiiliiliiiiil.has_recursion, 0
	.set _ZL15flash_attn_tileILi256ELi256ELi1ELi8ELb1EEvPKcS1_S1_S1_S1_PKiPfP15HIP_vector_typeIfLj2EEffffjfiS5_IjLj3EEiiiiiiiiiiiliiliiiiil.has_indirect_call, 0
	.section	.AMDGPU.csdata,"",@progbits
; Kernel info:
; codeLenInByte = 10660
; TotalNumSgprs: 44
; NumVgprs: 81
; ScratchSize: 0
; MemoryBound: 0
; FloatMode: 240
; IeeeMode: 1
; LDSByteSize: 22528 bytes/workgroup (compile time only)
; SGPRBlocks: 12
; VGPRBlocks: 21
; NumSGPRsForWavesPerEU: 102
; NumVGPRsForWavesPerEU: 85
; Occupancy: 2
; WaveLimiterHint : 1
; COMPUTE_PGM_RSRC2:SCRATCH_EN: 0
; COMPUTE_PGM_RSRC2:USER_SGPR: 6
; COMPUTE_PGM_RSRC2:TRAP_HANDLER: 0
; COMPUTE_PGM_RSRC2:TGID_X_EN: 1
; COMPUTE_PGM_RSRC2:TGID_Y_EN: 1
; COMPUTE_PGM_RSRC2:TGID_Z_EN: 1
; COMPUTE_PGM_RSRC2:TIDIG_COMP_CNT: 1
	.section	.text._ZL15flash_attn_tileILi256ELi256ELi8ELi4ELb1EEvPKcS1_S1_S1_S1_PKiPfP15HIP_vector_typeIfLj2EEffffjfiS5_IjLj3EEiiiiiiiiiiiliiliiiiil,"axG",@progbits,_ZL15flash_attn_tileILi256ELi256ELi8ELi4ELb1EEvPKcS1_S1_S1_S1_PKiPfP15HIP_vector_typeIfLj2EEffffjfiS5_IjLj3EEiiiiiiiiiiiliiliiiiil,comdat
	.globl	_ZL15flash_attn_tileILi256ELi256ELi8ELi4ELb1EEvPKcS1_S1_S1_S1_PKiPfP15HIP_vector_typeIfLj2EEffffjfiS5_IjLj3EEiiiiiiiiiiiliiliiiiil ; -- Begin function _ZL15flash_attn_tileILi256ELi256ELi8ELi4ELb1EEvPKcS1_S1_S1_S1_PKiPfP15HIP_vector_typeIfLj2EEffffjfiS5_IjLj3EEiiiiiiiiiiiliiliiiiil
	.p2align	8
	.type	_ZL15flash_attn_tileILi256ELi256ELi8ELi4ELb1EEvPKcS1_S1_S1_S1_PKiPfP15HIP_vector_typeIfLj2EEffffjfiS5_IjLj3EEiiiiiiiiiiiliiliiiiil,@function
_ZL15flash_attn_tileILi256ELi256ELi8ELi4ELb1EEvPKcS1_S1_S1_S1_PKiPfP15HIP_vector_typeIfLj2EEffffjfiS5_IjLj3EEiiiiiiiiiiiliiliiiiil: ; @_ZL15flash_attn_tileILi256ELi256ELi8ELi4ELb1EEvPKcS1_S1_S1_S1_PKiPfP15HIP_vector_typeIfLj2EEffffjfiS5_IjLj3EEiiiiiiiiiiiliiliiiiil
; %bb.0:
	s_load_dwordx4 s[0:3], s[4:5], 0x5c
	s_load_dwordx2 s[30:31], s[4:5], 0x80
	s_load_dwordx2 s[36:37], s[4:5], 0xb8
	s_mov_b64 s[34:35], 0
	s_waitcnt lgkmcnt(0)
	s_ashr_i32 s9, s3, 31
	s_lshr_b32 s9, s9, 30
	s_add_i32 s9, s3, s9
	s_ashr_i32 s9, s9, 2
	v_cvt_f32_u32_e32 v2, s9
	s_sub_i32 s10, 0, s9
	v_rcp_iflag_f32_e32 v2, v2
	v_mul_f32_e32 v2, 0x4f7ffffe, v2
	v_cvt_u32_f32_e32 v2, v2
	v_readfirstlane_b32 s11, v2
	s_mul_i32 s10, s10, s11
	s_mul_hi_u32 s10, s11, s10
	s_add_i32 s11, s11, s10
	s_mul_hi_u32 s10, s8, s11
	s_mul_i32 s11, s10, s9
	s_sub_i32 s11, s8, s11
	s_add_i32 s12, s10, 1
	s_sub_i32 s13, s11, s9
	s_cmp_ge_u32 s11, s9
	s_cselect_b32 s10, s12, s10
	s_cselect_b32 s11, s13, s11
	s_add_i32 s12, s10, 1
	s_cmp_ge_u32 s11, s9
	s_cselect_b32 s33, s12, s10
	s_abs_i32 s9, s31
	v_cvt_f32_u32_e32 v2, s9
	s_lshl_b32 s8, s8, 2
	s_mul_i32 s12, s33, s3
	s_sub_i32 s13, 0, s9
	v_rcp_iflag_f32_e32 v2, v2
	s_sub_i32 s28, s8, s12
	s_abs_i32 s11, s3
	s_xor_b32 s10, s3, s31
	v_mul_f32_e32 v2, 0x4f7ffffe, v2
	v_cvt_u32_f32_e32 v2, v2
	s_ashr_i32 s10, s10, 31
	v_readfirstlane_b32 s8, v2
	s_mul_i32 s13, s13, s8
	s_mul_hi_u32 s12, s8, s13
	s_add_i32 s8, s8, s12
	s_mul_hi_u32 s8, s11, s8
	s_mul_i32 s12, s8, s9
	s_sub_i32 s11, s11, s12
	s_add_i32 s13, s8, 1
	s_sub_i32 s12, s11, s9
	s_cmp_ge_u32 s11, s9
	s_cselect_b32 s8, s13, s8
	s_cselect_b32 s11, s12, s11
	s_add_i32 s12, s8, 1
	s_cmp_ge_u32 s11, s9
	s_cselect_b32 s8, s12, s8
	s_xor_b32 s8, s8, s10
	s_sub_i32 s31, s8, s10
	s_abs_i32 s29, s31
	v_cvt_f32_u32_e32 v2, s29
	s_load_dwordx16 s[8:23], s[4:5], 0x0
	v_rcp_iflag_f32_e32 v2, v2
	s_waitcnt lgkmcnt(0)
	s_cmp_eq_u64 s[14:15], 0
	v_mul_f32_e32 v2, 0x4f7ffffe, v2
	v_cvt_u32_f32_e32 v2, v2
	v_readfirstlane_b32 s38, v2
	s_cbranch_scc1 .LBB61_2
; %bb.1:
	s_abs_i32 s26, s36
	v_cvt_f32_u32_e32 v2, s26
	s_sub_i32 s35, 0, s26
	s_abs_i32 s34, s33
	s_ashr_i32 s27, s33, 31
	v_rcp_iflag_f32_e32 v2, v2
	s_load_dwordx2 s[24:25], s[4:5], 0xc8
	v_mul_f32_e32 v2, 0x4f7ffffe, v2
	v_cvt_u32_f32_e32 v2, v2
	v_readfirstlane_b32 s36, v2
	s_mul_i32 s35, s35, s36
	s_mul_hi_u32 s35, s36, s35
	s_add_i32 s36, s36, s35
	s_mul_hi_u32 s35, s34, s36
	s_mul_i32 s35, s35, s26
	s_sub_i32 s34, s34, s35
	s_sub_i32 s35, s34, s26
	s_cmp_ge_u32 s34, s26
	s_cselect_b32 s34, s35, s34
	s_sub_i32 s35, s34, s26
	s_cmp_ge_u32 s34, s26
	s_cselect_b32 s26, s35, s34
	s_xor_b32 s26, s26, s27
	s_sub_i32 s26, s26, s27
	s_ashr_i32 s27, s26, 31
	s_waitcnt lgkmcnt(0)
	s_mul_hi_u32 s34, s24, s26
	s_mul_i32 s27, s24, s27
	s_mul_i32 s25, s25, s26
	s_add_i32 s27, s34, s27
	s_add_i32 s27, s27, s25
	s_mul_i32 s24, s24, s26
	s_add_u32 s34, s14, s24
	s_addc_u32 s35, s15, s27
.LBB61_2:
	s_load_dwordx4 s[24:27], s[4:5], 0x70
	v_lshl_add_u32 v14, s6, 3, v1
	v_mul_hi_u32 v2, s0, v14
	v_lshlrev_b32_e32 v17, 3, v0
	s_waitcnt lgkmcnt(0)
	s_mul_i32 s0, s33, s26
	v_add_u32_e32 v2, v14, v2
	s_ashr_i32 s15, s0, 31
	v_lshrrev_b32_e32 v2, s1, v2
	s_mul_i32 s14, s28, s25
	s_add_u32 s0, s8, s0
	v_mul_lo_u32 v2, v2, s2
	s_addc_u32 s8, s9, s15
	s_ashr_i32 s1, s14, 31
	s_add_u32 s14, s0, s14
	s_addc_u32 s15, s8, s1
	s_ashr_i32 s1, s24, 31
	s_mov_b32 s0, s24
	v_sub_u32_e32 v2, v14, v2
	s_lshr_b64 s[8:9], s[0:1], 2
	v_mad_u64_u32 v[3:4], s[8:9], s8, v2, 0
	s_lshr_b32 s0, s1, 2
	v_mad_u64_u32 v[4:5], s[0:1], s0, v2, v[4:5]
	v_mov_b32_e32 v5, s15
	s_ashr_i32 s1, s25, 31
	v_lshlrev_b64 v[3:4], 2, v[3:4]
	s_and_b32 s0, s25, -4
	v_add_co_u32_e32 v3, vcc, s14, v3
	v_addc_co_u32_e32 v4, vcc, v5, v4, vcc
	v_lshlrev_b32_e32 v5, 4, v0
	v_add_co_u32_e32 v11, vcc, v3, v5
	v_addc_co_u32_e32 v12, vcc, 0, v4, vcc
	global_load_dwordx4 v[3:6], v[11:12], off
	global_load_dwordx4 v[7:10], v[11:12], off offset:512
	v_mov_b32_e32 v13, s1
	v_add_co_u32_e32 v15, vcc, s0, v11
	v_addc_co_u32_e32 v16, vcc, v12, v13, vcc
	global_load_dwordx4 v[18:21], v[15:16], off
	global_load_dwordx4 v[22:25], v[15:16], off offset:512
	s_mov_b32 s0, s25
	s_lshr_b64 s[8:9], s[0:1], 2
	s_lshl_b64 s[14:15], s[8:9], 3
	v_mov_b32_e32 v13, s15
	v_add_co_u32_e32 v15, vcc, s14, v11
	v_addc_co_u32_e32 v16, vcc, v12, v13, vcc
	global_load_dwordx4 v[26:29], v[15:16], off
	global_load_dwordx4 v[30:33], v[15:16], off offset:512
	v_mad_u64_u32 v[11:12], s[8:9], s8, 12, v[11:12]
	v_lshlrev_b32_e32 v16, 11, v1
	s_cmp_eq_u64 s[18:19], 0
	v_mad_u64_u32 v[12:13], s[0:1], s1, 12, v[12:13]
	s_load_dword s0, s[4:5], 0x40
	v_or_b32_e32 v13, v16, v17
	global_load_dwordx4 v[34:37], v[11:12], off
	global_load_dwordx4 v[38:41], v[11:12], off offset:512
	s_waitcnt vmcnt(7) lgkmcnt(0)
	v_fma_mixlo_f16 v3, s0, v3, 0
	v_fma_mixlo_f16 v4, s0, v4, 0
	;; [unrolled: 1-line block ×4, first 2 shown]
	s_waitcnt vmcnt(6)
	v_fma_mixlo_f16 v7, s0, v7, 0
	v_fma_mixlo_f16 v8, s0, v8, 0
	;; [unrolled: 1-line block ×4, first 2 shown]
	v_lshlrev_b32_e32 v4, 16, v4
	v_and_b32_e32 v3, 0xffff, v3
	v_lshlrev_b32_e32 v6, 16, v6
	v_and_b32_e32 v5, 0xffff, v5
	;; [unrolled: 2-line block ×4, first 2 shown]
	s_waitcnt vmcnt(5)
	v_fma_mixlo_f16 v11, s0, v18, 0
	v_fma_mixlo_f16 v12, s0, v19, 0
	v_fma_mixlo_f16 v15, s0, v20, 0
	v_fma_mixlo_f16 v18, s0, v21, 0
	s_waitcnt vmcnt(4)
	v_fma_mixlo_f16 v19, s0, v22, 0
	v_fma_mixlo_f16 v20, s0, v23, 0
	v_or_b32_e32 v3, v4, v3
	v_or3_b32 v4, v6, v5, 0
	v_or_b32_e32 v5, v8, v7
	v_fma_mixlo_f16 v21, s0, v24, 0
	v_fma_mixlo_f16 v22, s0, v25, 0
	v_or3_b32 v6, v10, v9, 0
	v_lshlrev_b32_e32 v7, 16, v12
	v_and_b32_e32 v8, 0xffff, v11
	v_lshlrev_b32_e32 v9, 16, v18
	v_and_b32_e32 v10, 0xffff, v15
	;; [unrolled: 2-line block ×3, first 2 shown]
	v_or3_b32 v3, 0, 0, v3
	v_or3_b32 v5, 0, 0, v5
	v_lshlrev_b32_e32 v15, 16, v22
	v_or_b32_e32 v8, v7, v8
	v_or3_b32 v7, v9, v10, 0
	v_or_b32_e32 v9, v11, v12
	ds_write2_b64 v13, v[3:4], v[5:6] offset1:32
	v_and_b32_e32 v3, 0xffff, v21
	v_or3_b32 v6, 0, 0, v8
	v_or3_b32 v4, v15, v3, 0
	;; [unrolled: 1-line block ×3, first 2 shown]
	ds_write2_b64 v13, v[6:7], v[3:4] offset0:64 offset1:96
	s_waitcnt vmcnt(3)
	v_fma_mixlo_f16 v3, s0, v26, 0
	v_fma_mixlo_f16 v4, s0, v27, 0
	v_lshlrev_b32_e32 v4, 16, v4
	v_and_b32_e32 v3, 0xffff, v3
	v_or_b32_e32 v3, v4, v3
	v_fma_mixlo_f16 v4, s0, v28, 0
	v_fma_mixlo_f16 v5, s0, v29, 0
	v_lshlrev_b32_e32 v5, 16, v5
	v_and_b32_e32 v4, 0xffff, v4
	v_or3_b32 v4, v5, v4, 0
	s_waitcnt vmcnt(2)
	v_fma_mixlo_f16 v5, s0, v30, 0
	v_fma_mixlo_f16 v6, s0, v31, 0
	v_lshlrev_b32_e32 v6, 16, v6
	v_and_b32_e32 v5, 0xffff, v5
	v_or_b32_e32 v5, v6, v5
	v_fma_mixlo_f16 v6, s0, v32, 0
	v_fma_mixlo_f16 v7, s0, v33, 0
	v_lshlrev_b32_e32 v7, 16, v7
	v_and_b32_e32 v6, 0xffff, v6
	v_or3_b32 v3, 0, 0, v3
	v_or3_b32 v6, v7, v6, 0
	;; [unrolled: 1-line block ×3, first 2 shown]
	ds_write2_b64 v13, v[3:4], v[5:6] offset0:128 offset1:160
	s_waitcnt vmcnt(1)
	v_fma_mixlo_f16 v3, s0, v34, 0
	v_fma_mixlo_f16 v4, s0, v35, 0
	v_lshlrev_b32_e32 v4, 16, v4
	v_and_b32_e32 v3, 0xffff, v3
	v_or_b32_e32 v3, v4, v3
	v_fma_mixlo_f16 v4, s0, v36, 0
	v_fma_mixlo_f16 v5, s0, v37, 0
	v_lshlrev_b32_e32 v5, 16, v5
	v_and_b32_e32 v4, 0xffff, v4
	v_or3_b32 v4, v5, v4, 0
	s_waitcnt vmcnt(0)
	v_fma_mixlo_f16 v5, s0, v38, 0
	v_fma_mixlo_f16 v6, s0, v39, 0
	v_lshlrev_b32_e32 v6, 16, v6
	v_and_b32_e32 v5, 0xffff, v5
	v_or_b32_e32 v5, v6, v5
	v_fma_mixlo_f16 v6, s0, v40, 0
	v_fma_mixlo_f16 v7, s0, v41, 0
	v_lshlrev_b32_e32 v7, 16, v7
	v_and_b32_e32 v6, 0xffff, v6
	v_or3_b32 v3, 0, 0, v3
	v_or3_b32 v6, v7, v6, 0
	;; [unrolled: 1-line block ×3, first 2 shown]
	ds_write2_b64 v13, v[3:4], v[5:6] offset0:192 offset1:224
	s_waitcnt lgkmcnt(0)
	s_barrier
	s_cbranch_scc1 .LBB61_4
; %bb.3:
	s_load_dword s0, s[4:5], 0xd0
	s_mov_b32 s1, 0
	s_waitcnt lgkmcnt(0)
	s_mul_i32 s0, s0, s33
	s_add_i32 s0, s0, s6
	s_lshl_b64 s[0:1], s[0:1], 2
	s_add_u32 s0, s18, s0
	s_addc_u32 s1, s19, s1
	s_load_dword s30, s[0:1], 0x0
.LBB61_4:
	s_lshl_b32 s6, s7, 5
	v_lshlrev_b32_e32 v15, 2, v0
	s_waitcnt lgkmcnt(0)
	s_cmp_lt_i32 s6, s30
	v_mbcnt_lo_u32_b32 v3, -1, 0
	s_cbranch_scc1 .LBB61_10
; %bb.5:
	v_mbcnt_hi_u32_b32 v18, -1, v3
	v_and_b32_e32 v4, 0x60, v18
	v_add_u32_e32 v60, 32, v4
	v_xor_b32_e32 v61, 16, v18
	v_xor_b32_e32 v59, 8, v18
	;; [unrolled: 1-line block ×5, first 2 shown]
	s_cbranch_execz .LBB61_11
; %bb.6:
	v_mov_b32_e32 v43, 0
	v_mov_b32_e32 v65, 0
	;; [unrolled: 1-line block ×24, first 2 shown]
.LBB61_7:
	v_cmp_lt_i32_e32 vcc, v61, v60
	v_cndmask_b32_e32 v5, v18, v61, vcc
	v_lshlrev_b32_e32 v5, 2, v5
	ds_bpermute_b32 v6, v5, v56
	ds_bpermute_b32 v12, v5, v57
	ds_bpermute_b32 v13, v5, v58
	ds_bpermute_b32 v5, v5, v65
	v_cmp_lt_i32_e32 vcc, v59, v60
	v_cndmask_b32_e32 v7, v18, v59, vcc
	v_lshlrev_b32_e32 v7, 2, v7
	s_waitcnt lgkmcnt(3)
	v_add_f32_e32 v6, v56, v6
	s_waitcnt lgkmcnt(2)
	v_add_f32_e32 v12, v57, v12
	s_waitcnt lgkmcnt(1)
	v_add_f32_e32 v13, v58, v13
	s_waitcnt lgkmcnt(0)
	v_add_f32_e32 v5, v65, v5
	ds_bpermute_b32 v8, v7, v6
	ds_bpermute_b32 v16, v7, v12
	ds_bpermute_b32 v17, v7, v13
	ds_bpermute_b32 v7, v7, v5
	v_cmp_lt_i32_e32 vcc, v62, v60
	v_cndmask_b32_e32 v9, v18, v62, vcc
	v_lshlrev_b32_e32 v9, 2, v9
	s_waitcnt lgkmcnt(3)
	v_add_f32_e32 v6, v6, v8
	s_waitcnt lgkmcnt(2)
	v_add_f32_e32 v12, v12, v16
	s_waitcnt lgkmcnt(1)
	v_add_f32_e32 v13, v13, v17
	s_waitcnt lgkmcnt(0)
	v_add_f32_e32 v5, v5, v7
	;; [unrolled: 15-line block ×4, first 2 shown]
	ds_bpermute_b32 v8, v11, v6
	ds_bpermute_b32 v10, v11, v9
	;; [unrolled: 1-line block ×4, first 2 shown]
	s_cmp_lg_u64 s[16:17], 0
	s_cselect_b64 s[0:1], -1, 0
	s_cmp_eq_u32 s7, 0
	s_cselect_b64 s[8:9], -1, 0
	s_and_b64 s[0:1], s[8:9], s[0:1]
	s_waitcnt lgkmcnt(3)
	v_add_f32_e32 v5, v6, v8
	s_waitcnt lgkmcnt(2)
	v_add_f32_e32 v6, v9, v10
	;; [unrolled: 2-line block ×4, first 2 shown]
	s_and_b64 vcc, exec, s[0:1]
	s_cbranch_vccz .LBB61_30
; %bb.8:
	s_ashr_i32 s29, s28, 31
	s_lshl_b64 s[0:1], s[28:29], 2
	s_add_u32 s0, s16, s0
	s_addc_u32 s1, s17, s1
	v_mov_b32_e32 v9, 0
	global_load_dwordx4 v[9:12], v9, s[0:1]
	v_max_f32_e32 v13, v1, v1
	v_max_f32_e32 v17, v2, v2
	s_mov_b32 s6, 0x3fb8aa3b
	v_max_f32_e32 v18, v3, v3
	s_mov_b32 s1, 0xc2ce8ed0
	s_mov_b32 s0, 0x42b17218
	v_mov_b32_e32 v20, 0x7f800000
	s_waitcnt vmcnt(0)
	v_max_f32_e32 v16, v9, v9
	v_max_f32_e32 v16, v13, v16
	;; [unrolled: 1-line block ×3, first 2 shown]
	v_sub_f32_e32 v1, v1, v16
	v_max_f32_e32 v17, v17, v19
	v_sub_f32_e32 v9, v9, v16
	v_mul_f32_e32 v13, 0x3fb8aa3b, v1
	v_max_f32_e32 v21, v11, v11
	v_sub_f32_e32 v2, v2, v17
	v_mul_f32_e32 v19, 0x3fb8aa3b, v9
	v_fma_f32 v25, v1, s6, -v13
	v_rndne_f32_e32 v26, v13
	v_max_f32_e32 v18, v18, v21
	v_sub_f32_e32 v10, v10, v17
	v_mul_f32_e32 v21, 0x3fb8aa3b, v2
	v_fma_f32 v27, v9, s6, -v19
	v_rndne_f32_e32 v28, v19
	v_fmac_f32_e32 v25, 0x32a5705f, v1
	v_sub_f32_e32 v13, v13, v26
	v_mul_f32_e32 v22, 0x3fb8aa3b, v10
	v_fma_f32 v29, v2, s6, -v21
	v_rndne_f32_e32 v30, v21
	v_fmac_f32_e32 v27, 0x32a5705f, v9
	v_sub_f32_e32 v19, v19, v28
	v_add_f32_e32 v13, v13, v25
	v_fma_f32 v31, v10, s6, -v22
	v_rndne_f32_e32 v48, v22
	v_cvt_i32_f32_e32 v26, v26
	v_fmac_f32_e32 v29, 0x32a5705f, v2
	v_sub_f32_e32 v21, v21, v30
	v_add_f32_e32 v19, v19, v27
	v_exp_f32_e32 v13, v13
	v_cvt_i32_f32_e32 v28, v28
	v_fmac_f32_e32 v31, 0x32a5705f, v10
	v_sub_f32_e32 v22, v22, v48
	v_add_f32_e32 v21, v21, v29
	v_exp_f32_e32 v19, v19
	v_cvt_i32_f32_e32 v30, v30
	v_add_f32_e32 v22, v22, v31
	v_exp_f32_e32 v21, v21
	v_cvt_i32_f32_e32 v48, v48
	v_exp_f32_e32 v22, v22
	v_ldexp_f32 v13, v13, v26
	v_cmp_ngt_f32_e32 vcc, s1, v1
	v_ldexp_f32 v19, v19, v28
	v_cndmask_b32_e32 v13, 0, v13, vcc
	v_cmp_ngt_f32_e32 vcc, s1, v9
	v_ldexp_f32 v21, v21, v30
	v_cndmask_b32_e32 v19, 0, v19, vcc
	v_cmp_ngt_f32_e32 vcc, s1, v2
	v_ldexp_f32 v22, v22, v48
	v_cndmask_b32_e32 v21, 0, v21, vcc
	v_cmp_ngt_f32_e32 vcc, s1, v10
	v_cndmask_b32_e32 v22, 0, v22, vcc
	v_cmp_nlt_f32_e32 vcc, s0, v1
	v_sub_f32_e32 v3, v3, v18
	v_cndmask_b32_e32 v1, v20, v13, vcc
	v_cmp_nlt_f32_e32 vcc, s0, v9
	v_mul_f32_e32 v23, 0x3fb8aa3b, v3
	v_cndmask_b32_e32 v9, v20, v19, vcc
	v_cmp_nlt_f32_e32 vcc, s0, v2
	v_cvt_f16_f32_e32 v13, v1
	v_fma_f32 v49, v3, s6, -v23
	v_rndne_f32_e32 v50, v23
	v_cndmask_b32_e32 v2, v20, v21, vcc
	v_sub_f32_e32 v11, v11, v18
	v_fmac_f32_e32 v49, 0x32a5705f, v3
	v_sub_f32_e32 v23, v23, v50
	v_cvt_f16_f32_e32 v19, v2
	v_mul_f32_e32 v24, 0x3fb8aa3b, v11
	v_add_f32_e32 v23, v23, v49
	v_fma_f32 v51, v11, s6, -v24
	v_rndne_f32_e32 v52, v24
	v_cvt_i32_f32_e32 v50, v50
	v_exp_f32_e32 v23, v23
	v_cmp_nlt_f32_e32 vcc, s0, v10
	v_fmac_f32_e32 v9, v5, v1
	v_mul_u32_u24_e32 v1, 0x10001, v13
	v_fmac_f32_e32 v51, 0x32a5705f, v11
	v_cndmask_b32_e32 v10, v20, v22, vcc
	v_pk_mul_f16 v43, v43, v1
	v_pk_mul_f16 v47, v47, v1
	;; [unrolled: 1-line block ×4, first 2 shown]
	v_sub_f32_e32 v1, v24, v52
	v_fmac_f32_e32 v10, v6, v2
	v_mul_u32_u24_e32 v2, 0x10001, v19
	v_add_f32_e32 v1, v1, v51
	v_pk_mul_f16 v40, v40, v2
	v_pk_mul_f16 v44, v44, v2
	;; [unrolled: 1-line block ×4, first 2 shown]
	v_exp_f32_e32 v1, v1
	v_cvt_i32_f32_e32 v2, v52
	v_ldexp_f32 v23, v23, v50
	v_cmp_ngt_f32_e32 vcc, s1, v3
	v_cndmask_b32_e32 v5, 0, v23, vcc
	v_cmp_nlt_f32_e32 vcc, s0, v3
	v_cndmask_b32_e32 v3, v20, v5, vcc
	v_ldexp_f32 v1, v1, v2
	v_cvt_f16_f32_e32 v2, v3
	v_cmp_ngt_f32_e32 vcc, s1, v11
	v_cndmask_b32_e32 v1, 0, v1, vcc
	v_cmp_nlt_f32_e32 vcc, s0, v11
	v_cndmask_b32_e32 v11, v20, v1, vcc
	v_fmac_f32_e32 v11, v7, v3
	v_mul_u32_u24_e32 v1, 0x10001, v2
	v_max_f32_e32 v2, v12, v12
	v_max_f32_e32 v3, v4, v4
	;; [unrolled: 1-line block ×3, first 2 shown]
	v_sub_f32_e32 v2, v4, v19
	v_mul_f32_e32 v3, 0x3fb8aa3b, v2
	v_fma_f32 v4, v2, s6, -v3
	v_rndne_f32_e32 v5, v3
	v_fmac_f32_e32 v4, 0x32a5705f, v2
	v_sub_f32_e32 v3, v3, v5
	v_add_f32_e32 v3, v3, v4
	v_exp_f32_e32 v3, v3
	v_cvt_i32_f32_e32 v4, v5
	v_pk_mul_f16 v36, v36, v1
	v_pk_mul_f16 v39, v39, v1
	v_pk_mul_f16 v37, v37, v1
	v_pk_mul_f16 v38, v38, v1
	v_ldexp_f32 v1, v3, v4
	v_sub_f32_e32 v3, v12, v19
	v_mul_f32_e32 v4, 0x3fb8aa3b, v3
	v_fma_f32 v5, v3, s6, -v4
	v_rndne_f32_e32 v6, v4
	v_fmac_f32_e32 v5, 0x32a5705f, v3
	v_sub_f32_e32 v4, v4, v6
	v_add_f32_e32 v4, v4, v5
	v_exp_f32_e32 v4, v4
	v_cvt_i32_f32_e32 v5, v6
	v_cmp_ngt_f32_e32 vcc, s1, v2
	v_cndmask_b32_e32 v1, 0, v1, vcc
	v_cmp_nlt_f32_e32 vcc, s0, v2
	v_cndmask_b32_e32 v1, v20, v1, vcc
	v_ldexp_f32 v2, v4, v5
	v_cvt_f16_f32_e32 v4, v1
	v_cmp_ngt_f32_e32 vcc, s1, v3
	v_cndmask_b32_e32 v2, 0, v2, vcc
	v_cmp_nlt_f32_e32 vcc, s0, v3
	v_cndmask_b32_e32 v12, v20, v2, vcc
	v_fmac_f32_e32 v12, v8, v1
	v_mul_u32_u24_e32 v1, 0x10001, v4
	v_pk_mul_f16 v34, v34, v1
	v_pk_mul_f16 v35, v35, v1
	;; [unrolled: 1-line block ×4, first 2 shown]
	v_mov_b32_e32 v1, v16
	v_mov_b32_e32 v2, v17
	;; [unrolled: 1-line block ×8, first 2 shown]
	v_cmp_gt_i32_e32 vcc, s2, v14
	s_and_saveexec_b64 s[0:1], vcc
	s_cbranch_execnz .LBB61_31
.LBB61_9:
	s_endpgm
.LBB61_10:
                                        ; implicit-def: $vgpr18
                                        ; implicit-def: $vgpr60
                                        ; implicit-def: $vgpr61
                                        ; implicit-def: $vgpr59
                                        ; implicit-def: $vgpr62
                                        ; implicit-def: $vgpr63
                                        ; implicit-def: $vgpr64
.LBB61_11:
	s_sub_i32 s0, 0, s29
	s_mul_i32 s0, s0, s38
	s_mul_hi_u32 s0, s38, s0
	s_add_i32 s38, s38, s0
	s_load_dwordx4 s[24:27], s[4:5], 0x98
	s_load_dword s14, s[4:5], 0x54
	s_load_dwordx2 s[0:1], s[4:5], 0x8c
	s_abs_i32 s19, s28
	s_mul_hi_u32 s36, s19, s38
	s_waitcnt lgkmcnt(0)
	s_ashr_i32 s15, s26, 2
	s_ashr_i32 s26, s37, 1
	;; [unrolled: 1-line block ×4, first 2 shown]
	s_mul_hi_u32 s37, s24, s33
	s_mul_i32 s39, s24, s0
	s_add_i32 s37, s37, s39
	s_mul_i32 s25, s25, s33
	s_ashr_i32 s38, s28, 31
	s_ashr_i32 s31, s31, 31
	s_add_i32 s37, s37, s25
	s_mul_i32 s24, s24, s33
	s_add_u32 s10, s10, s24
	s_mul_i32 s25, s36, s29
	s_addc_u32 s11, s11, s37
	s_sub_i32 s19, s19, s25
	s_xor_b32 s24, s38, s31
	s_add_i32 s25, s36, 1
	s_sub_i32 s31, s19, s29
	s_cmp_ge_u32 s19, s29
	s_cselect_b32 s25, s25, s36
	s_cselect_b32 s19, s31, s19
	s_add_i32 s31, s25, 1
	s_cmp_ge_u32 s19, s29
	s_load_dwordx2 s[8:9], s[4:5], 0xa8
	s_cselect_b32 s19, s31, s25
	s_xor_b32 s19, s19, s24
	s_sub_i32 s19, s19, s24
	s_mul_i32 s1, s19, s1
	s_ashr_i32 s24, s1, 31
	s_add_u32 s10, s10, s1
	s_waitcnt lgkmcnt(0)
	s_mul_hi_u32 s1, s8, s33
	s_mul_i32 s0, s8, s0
	s_addc_u32 s11, s11, s24
	s_add_i32 s0, s1, s0
	s_mul_i32 s1, s9, s33
	s_add_i32 s0, s0, s1
	s_mul_i32 s1, s8, s33
	s_add_u32 s1, s12, s1
	s_mul_i32 s19, s19, s27
	s_addc_u32 s0, s13, s0
	s_ashr_i32 s8, s19, 31
	s_add_u32 s12, s1, s19
	v_lshrrev_b32_e32 v4, 4, v0
	v_and_b32_e32 v13, 60, v15
	s_addc_u32 s13, s0, s8
	v_lshl_add_u32 v4, v1, 1, v4
	v_lshlrev_b32_e32 v5, 2, v13
	s_movk_i32 s0, 0x110
	v_mul_lo_u32 v7, s18, v4
	v_mad_u32_u24 v4, v4, s0, v5
	v_mul_lo_u32 v11, s15, v1
	v_add_u32_e32 v19, 0x4000, v4
	v_add_u32_e32 v20, 0x5100, v4
	v_mov_b32_e32 v4, 0x4000
	v_mad_u32_u24 v21, v0, s0, v4
	v_mad_u64_u32 v[5:6], s[0:1], v2, s26, v[0:1]
	v_mov_b32_e32 v2, 0x6200
	v_lshlrev_b32_e32 v23, 2, v15
	v_lshl_add_u32 v22, v1, 8, v2
	v_lshl_add_u32 v1, v1, 9, v23
	;; [unrolled: 1-line block ×3, first 2 shown]
	v_add_u32_e32 v24, 0x4000, v1
	v_add_u32_e32 v25, 0x5000, v1
	v_lshl_add_u32 v1, s15, 3, v11
	v_ashrrev_i32_e32 v8, 31, v7
	v_ashrrev_i32_e32 v10, 31, v9
	v_ashrrev_i32_e32 v12, 31, v11
	v_ashrrev_i32_e32 v2, 31, v1
	s_add_u32 s0, s4, 0xd0
	v_lshlrev_b64 v[6:7], 2, v[7:8]
	v_lshlrev_b32_e32 v26, 2, v13
	v_lshlrev_b64 v[8:9], 2, v[9:10]
	v_lshlrev_b64 v[10:11], 2, v[11:12]
	;; [unrolled: 1-line block ×3, first 2 shown]
	v_mov_b32_e32 v32, 0
	s_addc_u32 s1, s5, 0
	v_mov_b32_e32 v55, 0xfeffffff
	v_mov_b32_e32 v27, s35
	s_mov_b32 s19, 0x3f200000
	s_mov_b32 s24, 0x3fb8aa3b
	;; [unrolled: 1-line block ×4, first 2 shown]
	v_mov_b32_e32 v28, 0xbd5c1c4e
	v_mov_b32_e32 v29, 0x3e088382
	;; [unrolled: 1-line block ×3, first 2 shown]
	s_brev_b32 s27, -2
	s_mov_b32 s29, 0x10001
	v_mov_b32_e32 v31, 0x7f800000
	v_mbcnt_hi_u32_b32 v18, -1, v3
	v_mov_b32_e32 v33, 0
	v_mov_b32_e32 v35, 0
	;; [unrolled: 1-line block ×22, first 2 shown]
.LBB61_12:                              ; =>This Inner Loop Header: Depth=1
	s_mul_hi_i32 s9, s6, s18
	s_mul_i32 s8, s6, s18
	s_lshl_b64 s[8:9], s[8:9], 2
	s_add_u32 s8, s10, s8
	s_addc_u32 s9, s11, s9
	v_mov_b32_e32 v1, s9
	v_add_co_u32_e32 v2, vcc, s8, v6
	v_addc_co_u32_e32 v3, vcc, v1, v7, vcc
	v_add_co_u32_e32 v1, vcc, v2, v26
	v_addc_co_u32_e32 v2, vcc, 0, v3, vcc
	v_mov_b32_e32 v3, s9
	v_add_co_u32_e32 v4, vcc, s8, v8
	v_addc_co_u32_e32 v56, vcc, v3, v9, vcc
	v_add_co_u32_e32 v3, vcc, v4, v26
	v_addc_co_u32_e32 v4, vcc, 0, v56, vcc
	global_load_dwordx4 v[60:63], v[1:2], off
	global_load_dwordx4 v[64:67], v[3:4], off
	v_mov_b32_e32 v59, 0
	v_mov_b32_e32 v58, 0
	;; [unrolled: 1-line block ×4, first 2 shown]
	s_waitcnt vmcnt(1)
	ds_write_b128 v19, v[60:63]
	s_waitcnt vmcnt(0)
	ds_write_b128 v20, v[64:67]
	s_waitcnt lgkmcnt(0)
	s_barrier
	ds_read_b128 v[60:63], v21
	ds_read_b128 v[64:67], v16
	ds_read_b128 v[68:71], v16 offset:512
	ds_read_b128 v[72:75], v16 offset:1024
	ds_read_b128 v[76:79], v16 offset:1536
	s_waitcnt lgkmcnt(3)
	;;#ASMSTART
	v_dot2_f32_f16 v59, v60, v64, v59
	;;#ASMEND
	;;#ASMSTART
	v_dot2_f32_f16 v59, v61, v65, v59
	;;#ASMEND
	;;#ASMSTART
	v_dot2_f32_f16 v59, v62, v66, v59
	;;#ASMEND
	;;#ASMSTART
	v_dot2_f32_f16 v59, v63, v67, v59
	;;#ASMEND
	s_waitcnt lgkmcnt(2)
	;;#ASMSTART
	v_dot2_f32_f16 v58, v60, v68, v58
	;;#ASMEND
	;;#ASMSTART
	v_dot2_f32_f16 v58, v61, v69, v58
	;;#ASMEND
	;;#ASMSTART
	v_dot2_f32_f16 v58, v62, v70, v58
	;;#ASMEND
	;;#ASMSTART
	v_dot2_f32_f16 v58, v63, v71, v58
	;;#ASMEND
	s_waitcnt lgkmcnt(1)
	;;#ASMSTART
	v_dot2_f32_f16 v57, v60, v72, v57
	;;#ASMEND
	;;#ASMSTART
	v_dot2_f32_f16 v57, v61, v73, v57
	;;#ASMEND
	;;#ASMSTART
	v_dot2_f32_f16 v57, v62, v74, v57
	;;#ASMEND
	;;#ASMSTART
	v_dot2_f32_f16 v57, v63, v75, v57
	;;#ASMEND
	s_waitcnt lgkmcnt(0)
	;;#ASMSTART
	v_dot2_f32_f16 v56, v60, v76, v56
	;;#ASMEND
	;;#ASMSTART
	v_dot2_f32_f16 v56, v61, v77, v56
	;;#ASMEND
	;;#ASMSTART
	v_dot2_f32_f16 v56, v62, v78, v56
	;;#ASMEND
	;;#ASMSTART
	v_dot2_f32_f16 v56, v63, v79, v56
	;;#ASMEND
	ds_read_b128 v[60:63], v21 offset:16
	ds_read_b128 v[64:67], v16 offset:16
	ds_read_b128 v[68:71], v16 offset:528
	ds_read_b128 v[72:75], v16 offset:1040
	ds_read_b128 v[76:79], v16 offset:1552
	s_waitcnt lgkmcnt(3)
	;;#ASMSTART
	v_dot2_f32_f16 v59, v60, v64, v59
	;;#ASMEND
	;;#ASMSTART
	v_dot2_f32_f16 v59, v61, v65, v59
	;;#ASMEND
	;;#ASMSTART
	v_dot2_f32_f16 v59, v62, v66, v59
	;;#ASMEND
	;;#ASMSTART
	v_dot2_f32_f16 v59, v63, v67, v59
	;;#ASMEND
	s_waitcnt lgkmcnt(2)
	;;#ASMSTART
	v_dot2_f32_f16 v58, v60, v68, v58
	;;#ASMEND
	;;#ASMSTART
	v_dot2_f32_f16 v58, v61, v69, v58
	;;#ASMEND
	;;#ASMSTART
	v_dot2_f32_f16 v58, v62, v70, v58
	;;#ASMEND
	;;#ASMSTART
	v_dot2_f32_f16 v58, v63, v71, v58
	;;#ASMEND
	s_waitcnt lgkmcnt(1)
	;;#ASMSTART
	v_dot2_f32_f16 v57, v60, v72, v57
	;;#ASMEND
	;;#ASMSTART
	v_dot2_f32_f16 v57, v61, v73, v57
	;;#ASMEND
	;;#ASMSTART
	v_dot2_f32_f16 v57, v62, v74, v57
	;;#ASMEND
	;;#ASMSTART
	v_dot2_f32_f16 v57, v63, v75, v57
	;;#ASMEND
	s_waitcnt lgkmcnt(0)
	;;#ASMSTART
	v_dot2_f32_f16 v56, v60, v76, v56
	;;#ASMEND
	;;#ASMSTART
	v_dot2_f32_f16 v56, v61, v77, v56
	;;#ASMEND
	;;#ASMSTART
	v_dot2_f32_f16 v56, v62, v78, v56
	;;#ASMEND
	;;#ASMSTART
	v_dot2_f32_f16 v56, v63, v79, v56
	;;#ASMEND
	ds_read_b128 v[60:63], v21 offset:32
	ds_read_b128 v[64:67], v16 offset:32
	;; [unrolled: 57-line block ×15, first 2 shown]
	ds_read_b128 v[68:71], v16 offset:752
	ds_read_b128 v[72:75], v16 offset:1264
	;; [unrolled: 1-line block ×3, first 2 shown]
	s_waitcnt lgkmcnt(3)
	;;#ASMSTART
	v_dot2_f32_f16 v59, v60, v64, v59
	;;#ASMEND
	;;#ASMSTART
	v_dot2_f32_f16 v59, v61, v65, v59
	;;#ASMEND
	;;#ASMSTART
	v_dot2_f32_f16 v59, v62, v66, v59
	;;#ASMEND
	;;#ASMSTART
	v_dot2_f32_f16 v59, v63, v67, v59
	;;#ASMEND
	s_waitcnt lgkmcnt(2)
	;;#ASMSTART
	v_dot2_f32_f16 v58, v60, v68, v58
	;;#ASMEND
	;;#ASMSTART
	v_dot2_f32_f16 v58, v61, v69, v58
	;;#ASMEND
	;;#ASMSTART
	v_dot2_f32_f16 v58, v62, v70, v58
	;;#ASMEND
	;;#ASMSTART
	v_dot2_f32_f16 v58, v63, v71, v58
	;;#ASMEND
	;; [unrolled: 13-line block ×4, first 2 shown]
	s_barrier
	global_load_dwordx4 v[60:63], v[1:2], off offset:256
	s_nop 0
	global_load_dwordx4 v[1:4], v[3:4], off offset:256
	s_waitcnt vmcnt(1)
	ds_write_b128 v19, v[60:63]
	s_waitcnt vmcnt(0)
	ds_write_b128 v20, v[1:4]
	s_waitcnt lgkmcnt(0)
	s_barrier
	ds_read_b128 v[1:4], v21
	ds_read_b128 v[60:63], v16 offset:256
	ds_read_b128 v[64:67], v16 offset:768
	ds_read_b128 v[68:71], v16 offset:1280
	ds_read_b128 v[72:75], v16 offset:1792
	s_waitcnt lgkmcnt(3)
	;;#ASMSTART
	v_dot2_f32_f16 v59, v1, v60, v59
	;;#ASMEND
	;;#ASMSTART
	v_dot2_f32_f16 v59, v2, v61, v59
	;;#ASMEND
	;;#ASMSTART
	v_dot2_f32_f16 v59, v3, v62, v59
	;;#ASMEND
	;;#ASMSTART
	v_dot2_f32_f16 v59, v4, v63, v59
	;;#ASMEND
	s_waitcnt lgkmcnt(2)
	;;#ASMSTART
	v_dot2_f32_f16 v58, v1, v64, v58
	;;#ASMEND
	;;#ASMSTART
	v_dot2_f32_f16 v58, v2, v65, v58
	;;#ASMEND
	;;#ASMSTART
	v_dot2_f32_f16 v58, v3, v66, v58
	;;#ASMEND
	;;#ASMSTART
	v_dot2_f32_f16 v58, v4, v67, v58
	;;#ASMEND
	s_waitcnt lgkmcnt(1)
	;;#ASMSTART
	v_dot2_f32_f16 v57, v1, v68, v57
	;;#ASMEND
	;;#ASMSTART
	v_dot2_f32_f16 v57, v2, v69, v57
	;;#ASMEND
	;;#ASMSTART
	v_dot2_f32_f16 v57, v3, v70, v57
	;;#ASMEND
	;;#ASMSTART
	v_dot2_f32_f16 v57, v4, v71, v57
	;;#ASMEND
	s_waitcnt lgkmcnt(0)
	;;#ASMSTART
	v_dot2_f32_f16 v56, v1, v72, v56
	;;#ASMEND
	;;#ASMSTART
	v_dot2_f32_f16 v56, v2, v73, v56
	;;#ASMEND
	;;#ASMSTART
	v_dot2_f32_f16 v56, v3, v74, v56
	;;#ASMEND
	;;#ASMSTART
	v_dot2_f32_f16 v56, v4, v75, v56
	;;#ASMEND
	ds_read_b128 v[1:4], v21 offset:16
	ds_read_b128 v[60:63], v16 offset:272
	ds_read_b128 v[64:67], v16 offset:784
	ds_read_b128 v[68:71], v16 offset:1296
	ds_read_b128 v[72:75], v16 offset:1808
	s_waitcnt lgkmcnt(3)
	;;#ASMSTART
	v_dot2_f32_f16 v59, v1, v60, v59
	;;#ASMEND
	;;#ASMSTART
	v_dot2_f32_f16 v59, v2, v61, v59
	;;#ASMEND
	;;#ASMSTART
	v_dot2_f32_f16 v59, v3, v62, v59
	;;#ASMEND
	;;#ASMSTART
	v_dot2_f32_f16 v59, v4, v63, v59
	;;#ASMEND
	s_waitcnt lgkmcnt(2)
	;;#ASMSTART
	v_dot2_f32_f16 v58, v1, v64, v58
	;;#ASMEND
	;;#ASMSTART
	v_dot2_f32_f16 v58, v2, v65, v58
	;;#ASMEND
	;;#ASMSTART
	v_dot2_f32_f16 v58, v3, v66, v58
	;;#ASMEND
	;;#ASMSTART
	v_dot2_f32_f16 v58, v4, v67, v58
	;;#ASMEND
	s_waitcnt lgkmcnt(1)
	;;#ASMSTART
	v_dot2_f32_f16 v57, v1, v68, v57
	;;#ASMEND
	;;#ASMSTART
	v_dot2_f32_f16 v57, v2, v69, v57
	;;#ASMEND
	;;#ASMSTART
	v_dot2_f32_f16 v57, v3, v70, v57
	;;#ASMEND
	;;#ASMSTART
	v_dot2_f32_f16 v57, v4, v71, v57
	;;#ASMEND
	s_waitcnt lgkmcnt(0)
	;;#ASMSTART
	v_dot2_f32_f16 v56, v1, v72, v56
	;;#ASMEND
	;;#ASMSTART
	v_dot2_f32_f16 v56, v2, v73, v56
	;;#ASMEND
	;;#ASMSTART
	v_dot2_f32_f16 v56, v3, v74, v56
	;;#ASMEND
	;;#ASMSTART
	v_dot2_f32_f16 v56, v4, v75, v56
	;;#ASMEND
	ds_read_b128 v[1:4], v21 offset:32
	;; [unrolled: 57-line block ×15, first 2 shown]
	ds_read_b128 v[60:63], v16 offset:496
	ds_read_b128 v[64:67], v16 offset:1008
	;; [unrolled: 1-line block ×4, first 2 shown]
	s_waitcnt lgkmcnt(3)
	;;#ASMSTART
	v_dot2_f32_f16 v59, v1, v60, v59
	;;#ASMEND
	;;#ASMSTART
	v_dot2_f32_f16 v59, v2, v61, v59
	;;#ASMEND
	;;#ASMSTART
	v_dot2_f32_f16 v59, v3, v62, v59
	;;#ASMEND
	;;#ASMSTART
	v_dot2_f32_f16 v59, v4, v63, v59
	;;#ASMEND
	s_waitcnt lgkmcnt(2)
	;;#ASMSTART
	v_dot2_f32_f16 v58, v1, v64, v58
	;;#ASMEND
	;;#ASMSTART
	v_dot2_f32_f16 v58, v2, v65, v58
	;;#ASMEND
	;;#ASMSTART
	v_dot2_f32_f16 v58, v3, v66, v58
	;;#ASMEND
	;;#ASMSTART
	v_dot2_f32_f16 v58, v4, v67, v58
	;;#ASMEND
	;; [unrolled: 13-line block ×3, first 2 shown]
	s_waitcnt lgkmcnt(0)
	;;#ASMSTART
	v_dot2_f32_f16 v56, v1, v72, v56
	;;#ASMEND
	v_add_u32_e32 v1, s6, v5
	;;#ASMSTART
	v_dot2_f32_f16 v56, v2, v73, v56
	;;#ASMEND
	v_ashrrev_i32_e32 v2, 31, v1
	v_lshlrev_b64 v[1:2], 1, v[1:2]
	;;#ASMSTART
	v_dot2_f32_f16 v56, v3, v74, v56
	;;#ASMEND
	v_add_co_u32_e32 v1, vcc, s34, v1
	v_addc_co_u32_e32 v2, vcc, v27, v2, vcc
	;;#ASMSTART
	v_dot2_f32_f16 v56, v4, v75, v56
	;;#ASMEND
	global_load_ushort v65, v[1:2], off
	v_cmp_nlt_f32_e64 s[8:9], |v59|, s19
                                        ; implicit-def: $vgpr2
	s_and_saveexec_b64 s[36:37], s[8:9]
	s_xor_b64 s[8:9], exec, s[36:37]
	s_cbranch_execz .LBB61_14
; %bb.13:                               ;   in Loop: Header=BB61_12 Depth=1
	v_add_f32_e64 v1, |v59|, |v59|
	v_mul_f32_e32 v2, 0x3fb8aa3b, v1
	v_rndne_f32_e32 v3, v2
	v_sub_f32_e32 v4, v2, v3
	v_fma_f32 v2, v1, s24, -v2
	v_fmac_f32_e32 v2, 0x32a5705f, v1
	v_add_f32_e32 v2, v4, v2
	v_cvt_i32_f32_e32 v3, v3
	v_exp_f32_e32 v2, v2
	v_cmp_ngt_f32_e32 vcc, s25, v1
	v_ldexp_f32 v2, v2, v3
	v_cndmask_b32_e32 v2, 0, v2, vcc
	v_cmp_nlt_f32_e32 vcc, s26, v1
	v_cndmask_b32_e32 v1, v31, v2, vcc
	v_add_f32_e32 v1, 1.0, v1
	v_rcp_f32_e32 v1, v1
	v_fma_f32 v2, v1, -2.0, 1.0
.LBB61_14:                              ;   in Loop: Header=BB61_12 Depth=1
	s_andn2_saveexec_b64 s[8:9], s[8:9]
; %bb.15:                               ;   in Loop: Header=BB61_12 Depth=1
	v_mul_f32_e32 v1, v59, v59
	v_mov_b32_e32 v2, 0x3ca908c9
	v_fmac_f32_e32 v2, 0xbbbac73d, v1
	v_fma_f32 v2, v1, v2, v28
	v_fma_f32 v2, v1, v2, v29
	;; [unrolled: 1-line block ×3, first 2 shown]
	v_mul_f32_e64 v2, |v59|, v2
	v_fma_f32 v2, v1, v2, |v59|
; %bb.16:                               ;   in Loop: Header=BB61_12 Depth=1
	s_or_b64 exec, exec, s[8:9]
	v_and_b32_e32 v1, 0x60, v18
	v_add_u32_e32 v60, 32, v1
	v_xor_b32_e32 v61, 16, v18
	v_bfi_b32 v2, s27, v2, v59
	v_cmp_lt_i32_e32 vcc, v61, v60
	s_waitcnt vmcnt(0)
	v_fma_mix_f32 v66, s14, v2, v65 op_sel_hi:[0,0,1]
	v_cndmask_b32_e32 v1, v18, v61, vcc
	v_add_f32_e32 v2, 0x40051340, v66
	v_max_f32_e32 v3, v55, v55
	v_lshlrev_b32_e32 v1, 2, v1
	v_max_f32_e32 v2, v3, v2
	ds_bpermute_b32 v4, v1, v2
	v_xor_b32_e32 v59, 8, v18
	v_cmp_lt_i32_e32 vcc, v59, v60
	v_cndmask_b32_e32 v3, v18, v59, vcc
	v_lshlrev_b32_e32 v3, 2, v3
	s_waitcnt lgkmcnt(0)
	v_max_f32_e32 v4, v4, v4
	v_max_f32_e32 v4, v2, v4
	ds_bpermute_b32 v63, v3, v4
	v_xor_b32_e32 v62, 4, v18
	v_cmp_lt_i32_e32 vcc, v62, v60
	v_cndmask_b32_e32 v2, v18, v62, vcc
	v_lshlrev_b32_e32 v2, 2, v2
	s_waitcnt lgkmcnt(0)
	v_max_f32_e32 v63, v63, v63
	;; [unrolled: 8-line block ×4, first 2 shown]
	v_max_f32_e32 v69, v67, v69
	ds_bpermute_b32 v70, v4, v69
	v_cmp_nlt_f32_e64 s[8:9], |v58|, s19
                                        ; implicit-def: $vgpr67
	s_and_saveexec_b64 s[36:37], s[8:9]
	s_xor_b64 s[8:9], exec, s[36:37]
	s_cbranch_execz .LBB61_18
; %bb.17:                               ;   in Loop: Header=BB61_12 Depth=1
	v_add_f32_e64 v67, |v58|, |v58|
	v_mul_f32_e32 v71, 0x3fb8aa3b, v67
	v_rndne_f32_e32 v72, v71
	v_sub_f32_e32 v73, v71, v72
	v_fma_f32 v71, v67, s24, -v71
	v_fmac_f32_e32 v71, 0x32a5705f, v67
	v_add_f32_e32 v71, v73, v71
	v_cvt_i32_f32_e32 v72, v72
	v_exp_f32_e32 v71, v71
	v_cmp_ngt_f32_e32 vcc, s25, v67
	v_ldexp_f32 v71, v71, v72
	v_cndmask_b32_e32 v71, 0, v71, vcc
	v_cmp_nlt_f32_e32 vcc, s26, v67
	v_cndmask_b32_e32 v67, v31, v71, vcc
	v_add_f32_e32 v67, 1.0, v67
	v_rcp_f32_e32 v67, v67
	v_fma_f32 v67, v67, -2.0, 1.0
.LBB61_18:                              ;   in Loop: Header=BB61_12 Depth=1
	s_andn2_saveexec_b64 s[8:9], s[8:9]
; %bb.19:                               ;   in Loop: Header=BB61_12 Depth=1
	v_mul_f32_e32 v67, v58, v58
	v_mov_b32_e32 v71, 0x3ca908c9
	v_fmac_f32_e32 v71, 0xbbbac73d, v67
	v_fma_f32 v71, v67, v71, v28
	v_fma_f32 v71, v67, v71, v29
	;; [unrolled: 1-line block ×3, first 2 shown]
	v_mul_f32_e64 v71, |v58|, v71
	v_fma_f32 v67, v67, v71, |v58|
; %bb.20:                               ;   in Loop: Header=BB61_12 Depth=1
	s_or_b64 exec, exec, s[8:9]
	v_cvt_f32_f16_e32 v65, v65
	v_bfi_b32 v58, s27, v67, v58
	v_max_f32_e32 v71, v53, v53
	v_cmp_nlt_f32_e64 s[8:9], |v57|, s19
	v_fma_f32 v67, s14, v58, v65
	v_add_f32_e32 v58, 0x40051340, v67
	v_max_f32_e32 v58, v71, v58
	ds_bpermute_b32 v71, v1, v58
	s_waitcnt lgkmcnt(0)
	v_max_f32_e32 v71, v71, v71
	v_max_f32_e32 v58, v58, v71
	ds_bpermute_b32 v71, v3, v58
	s_waitcnt lgkmcnt(0)
	v_max_f32_e32 v71, v71, v71
	;; [unrolled: 4-line block ×4, first 2 shown]
	v_max_f32_e32 v71, v58, v71
	ds_bpermute_b32 v72, v4, v71
                                        ; implicit-def: $vgpr58
	s_and_saveexec_b64 s[36:37], s[8:9]
	s_xor_b64 s[8:9], exec, s[36:37]
	s_cbranch_execz .LBB61_22
; %bb.21:                               ;   in Loop: Header=BB61_12 Depth=1
	v_add_f32_e64 v58, |v57|, |v57|
	v_mul_f32_e32 v73, 0x3fb8aa3b, v58
	v_rndne_f32_e32 v74, v73
	v_sub_f32_e32 v75, v73, v74
	v_fma_f32 v73, v58, s24, -v73
	v_fmac_f32_e32 v73, 0x32a5705f, v58
	v_add_f32_e32 v73, v75, v73
	v_cvt_i32_f32_e32 v74, v74
	v_exp_f32_e32 v73, v73
	v_cmp_ngt_f32_e32 vcc, s25, v58
	v_ldexp_f32 v73, v73, v74
	v_cndmask_b32_e32 v73, 0, v73, vcc
	v_cmp_nlt_f32_e32 vcc, s26, v58
	v_cndmask_b32_e32 v58, v31, v73, vcc
	v_add_f32_e32 v58, 1.0, v58
	v_rcp_f32_e32 v58, v58
	v_fma_f32 v58, v58, -2.0, 1.0
.LBB61_22:                              ;   in Loop: Header=BB61_12 Depth=1
	s_andn2_saveexec_b64 s[8:9], s[8:9]
; %bb.23:                               ;   in Loop: Header=BB61_12 Depth=1
	v_mul_f32_e32 v58, v57, v57
	v_mov_b32_e32 v73, 0x3ca908c9
	v_fmac_f32_e32 v73, 0xbbbac73d, v58
	v_fma_f32 v73, v58, v73, v28
	v_fma_f32 v73, v58, v73, v29
	;; [unrolled: 1-line block ×3, first 2 shown]
	v_mul_f32_e64 v73, |v57|, v73
	v_fma_f32 v58, v58, v73, |v57|
; %bb.24:                               ;   in Loop: Header=BB61_12 Depth=1
	s_or_b64 exec, exec, s[8:9]
	v_bfi_b32 v57, s27, v58, v57
	v_fma_f32 v58, s14, v57, v65
	v_add_f32_e32 v57, 0x40051340, v58
	v_max_f32_e32 v73, v51, v51
	v_max_f32_e32 v57, v73, v57
	ds_bpermute_b32 v73, v1, v57
	v_cmp_nlt_f32_e64 s[8:9], |v56|, s19
                                        ; implicit-def: $vgpr74
	s_waitcnt lgkmcnt(0)
	v_max_f32_e32 v73, v73, v73
	v_max_f32_e32 v57, v57, v73
	ds_bpermute_b32 v73, v3, v57
	s_waitcnt lgkmcnt(0)
	v_max_f32_e32 v73, v73, v73
	v_max_f32_e32 v57, v57, v73
	ds_bpermute_b32 v73, v2, v57
	;; [unrolled: 4-line block ×4, first 2 shown]
	s_and_saveexec_b64 s[36:37], s[8:9]
	s_xor_b64 s[8:9], exec, s[36:37]
	s_cbranch_execz .LBB61_26
; %bb.25:                               ;   in Loop: Header=BB61_12 Depth=1
	v_add_f32_e64 v74, |v56|, |v56|
	v_mul_f32_e32 v75, 0x3fb8aa3b, v74
	v_rndne_f32_e32 v76, v75
	v_sub_f32_e32 v77, v75, v76
	v_fma_f32 v75, v74, s24, -v75
	v_fmac_f32_e32 v75, 0x32a5705f, v74
	v_add_f32_e32 v75, v77, v75
	v_cvt_i32_f32_e32 v76, v76
	v_exp_f32_e32 v75, v75
	v_cmp_ngt_f32_e32 vcc, s25, v74
	v_ldexp_f32 v75, v75, v76
	v_cndmask_b32_e32 v75, 0, v75, vcc
	v_cmp_nlt_f32_e32 vcc, s26, v74
	v_cndmask_b32_e32 v74, v31, v75, vcc
	v_add_f32_e32 v74, 1.0, v74
	v_rcp_f32_e32 v74, v74
	v_fma_f32 v74, v74, -2.0, 1.0
.LBB61_26:                              ;   in Loop: Header=BB61_12 Depth=1
	s_andn2_saveexec_b64 s[8:9], s[8:9]
; %bb.27:                               ;   in Loop: Header=BB61_12 Depth=1
	v_mul_f32_e32 v74, v56, v56
	v_mov_b32_e32 v75, 0x3ca908c9
	v_fmac_f32_e32 v75, 0xbbbac73d, v74
	v_fma_f32 v75, v74, v75, v28
	v_fma_f32 v75, v74, v75, v29
	;; [unrolled: 1-line block ×3, first 2 shown]
	v_mul_f32_e64 v75, |v56|, v75
	v_fma_f32 v74, v74, v75, |v56|
; %bb.28:                               ;   in Loop: Header=BB61_12 Depth=1
	s_or_b64 exec, exec, s[8:9]
	v_bfi_b32 v56, s27, v74, v56
	v_fmac_f32_e32 v65, s14, v56
	v_add_f32_e32 v56, 0x40051340, v65
	v_max_f32_e32 v74, v49, v49
	v_max_f32_e32 v56, v74, v56
	ds_bpermute_b32 v1, v1, v56
	v_max_f32_e32 v72, v72, v72
	s_waitcnt lgkmcnt(1)
	v_max_f32_e32 v73, v73, v73
	v_max_f32_e32 v57, v57, v57
	;; [unrolled: 1-line block ×3, first 2 shown]
	s_waitcnt lgkmcnt(0)
	v_max_f32_e32 v1, v1, v1
	v_max_f32_e32 v1, v56, v1
	ds_bpermute_b32 v3, v3, v1
	v_max_f32_e32 v56, v71, v71
	v_max_f32_e32 v69, v69, v69
	s_mul_hi_i32 s9, s6, s15
	s_mul_i32 s8, s6, s15
	s_waitcnt lgkmcnt(0)
	v_max_f32_e32 v3, v3, v3
	v_max_f32_e32 v71, v1, v3
	ds_bpermute_b32 v74, v2, v71
	v_max_f32_e32 v2, v56, v72
	v_max_f32_e32 v3, v57, v73
	;; [unrolled: 1-line block ×3, first 2 shown]
	v_sub_f32_e32 v55, v55, v1
	s_waitcnt lgkmcnt(0)
	v_max_f32_e32 v56, v74, v74
	v_max_f32_e32 v56, v71, v56
	ds_bpermute_b32 v57, v68, v56
	v_mul_f32_e32 v68, 0x3fb8aa3b, v55
	v_fma_f32 v69, v55, s24, -v68
	v_rndne_f32_e32 v70, v68
	v_fmac_f32_e32 v69, 0x32a5705f, v55
	s_waitcnt lgkmcnt(0)
	v_max_f32_e32 v57, v57, v57
	v_max_f32_e32 v56, v56, v57
	ds_bpermute_b32 v4, v4, v56
	v_sub_f32_e32 v57, v68, v70
	v_add_f32_e32 v57, v57, v69
	v_cvt_i32_f32_e32 v68, v70
	v_exp_f32_e32 v57, v57
	s_waitcnt lgkmcnt(0)
	v_max_f32_e32 v4, v4, v4
	v_max_f32_e32 v4, v56, v4
	v_cmp_ngt_f32_e32 vcc, s25, v55
	v_ldexp_f32 v56, v57, v68
	v_sub_f32_e32 v57, v66, v1
	v_mul_f32_e32 v66, 0x3fb8aa3b, v57
	v_fma_f32 v68, v57, s24, -v66
	v_rndne_f32_e32 v69, v66
	v_fmac_f32_e32 v68, 0x32a5705f, v57
	v_sub_f32_e32 v66, v66, v69
	v_add_f32_e32 v66, v66, v68
	v_exp_f32_e32 v66, v66
	v_cvt_i32_f32_e32 v68, v69
	v_cndmask_b32_e32 v56, 0, v56, vcc
	v_cmp_nlt_f32_e32 vcc, s26, v55
	v_cndmask_b32_e32 v55, v31, v56, vcc
	v_ldexp_f32 v56, v66, v68
	v_cmp_ngt_f32_e32 vcc, s25, v57
	v_cvt_f16_f32_e32 v66, v55
	v_cndmask_b32_e32 v56, 0, v56, vcc
	v_cmp_nlt_f32_e32 vcc, s26, v57
	v_cndmask_b32_e32 v56, v31, v56, vcc
	v_sub_f32_e32 v53, v53, v2
	v_cvt_f16_f32_e32 v74, v56
	v_fmac_f32_e32 v56, v54, v55
	v_mul_f32_e32 v55, 0x3fb8aa3b, v53
	v_mul_u32_u24_e32 v54, 0x10001, v66
	v_fma_f32 v57, v53, s24, -v55
	v_rndne_f32_e32 v66, v55
	v_fmac_f32_e32 v57, 0x32a5705f, v53
	v_sub_f32_e32 v55, v55, v66
	v_add_f32_e32 v55, v55, v57
	v_exp_f32_e32 v55, v55
	v_cvt_i32_f32_e32 v57, v66
	v_pk_mul_f16 v78, v47, v54
	v_sub_f32_e32 v47, v67, v2
	v_pk_mul_f16 v79, v45, v54
	v_pk_mul_f16 v45, v46, v54
	v_ldexp_f32 v46, v55, v57
	v_mul_f32_e32 v55, 0x3fb8aa3b, v47
	v_fma_f32 v57, v47, s24, -v55
	v_rndne_f32_e32 v66, v55
	v_fmac_f32_e32 v57, 0x32a5705f, v47
	v_sub_f32_e32 v55, v55, v66
	v_add_f32_e32 v55, v55, v57
	v_exp_f32_e32 v55, v55
	v_cvt_i32_f32_e32 v57, v66
	v_cmp_ngt_f32_e32 vcc, s25, v53
	v_cndmask_b32_e32 v46, 0, v46, vcc
	v_cmp_nlt_f32_e32 vcc, s26, v53
	v_cndmask_b32_e32 v46, v31, v46, vcc
	v_ldexp_f32 v53, v55, v57
	v_cmp_ngt_f32_e32 vcc, s25, v47
	s_lshl_b64 s[8:9], s[8:9], 2
	v_cndmask_b32_e32 v53, 0, v53, vcc
	v_cmp_nlt_f32_e32 vcc, s26, v47
	s_add_u32 s8, s12, s8
	v_cndmask_b32_e32 v57, v31, v53, vcc
	s_addc_u32 s9, s13, s9
	v_cvt_f16_f32_e32 v55, v46
	v_cvt_f16_f32_e32 v75, v57
	v_fmac_f32_e32 v57, v52, v46
	v_mov_b32_e32 v46, s9
	v_add_co_u32_e32 v47, vcc, s8, v10
	v_addc_co_u32_e32 v52, vcc, v46, v11, vcc
	v_add_co_u32_e32 v46, vcc, v47, v23
	v_addc_co_u32_e32 v47, vcc, 0, v52, vcc
	v_mov_b32_e32 v52, s9
	v_add_co_u32_e32 v53, vcc, s8, v12
	v_addc_co_u32_e32 v66, vcc, v52, v13, vcc
	v_add_co_u32_e32 v52, vcc, v53, v23
	s_barrier
	v_addc_co_u32_e32 v53, vcc, 0, v66, vcc
	global_load_dwordx4 v[66:69], v[46:47], off
	global_load_dwordx4 v[70:73], v[52:53], off
	v_sub_f32_e32 v46, v51, v3
	v_mul_f32_e32 v47, 0x3fb8aa3b, v46
	v_fma_f32 v51, v46, s24, -v47
	v_rndne_f32_e32 v52, v47
	v_fmac_f32_e32 v51, 0x32a5705f, v46
	v_sub_f32_e32 v47, v47, v52
	v_add_f32_e32 v47, v47, v51
	v_exp_f32_e32 v47, v47
	v_cvt_i32_f32_e32 v51, v52
	v_cmp_ngt_f32_e32 vcc, s25, v46
	v_mul_u32_u24_e32 v55, 0x10001, v55
	v_pk_mul_f16 v44, v44, v55
	v_ldexp_f32 v47, v47, v51
	v_sub_f32_e32 v51, v58, v3
	v_mul_f32_e32 v52, 0x3fb8aa3b, v51
	v_fma_f32 v53, v51, s24, -v52
	v_rndne_f32_e32 v58, v52
	v_fmac_f32_e32 v53, 0x32a5705f, v51
	v_sub_f32_e32 v52, v52, v58
	v_add_f32_e32 v52, v52, v53
	v_exp_f32_e32 v52, v52
	v_cvt_i32_f32_e32 v53, v58
	v_cndmask_b32_e32 v47, 0, v47, vcc
	v_cmp_nlt_f32_e32 vcc, s26, v46
	v_cndmask_b32_e32 v46, v31, v47, vcc
	v_ldexp_f32 v47, v52, v53
	v_cmp_ngt_f32_e32 vcc, s25, v51
	v_cndmask_b32_e32 v47, 0, v47, vcc
	v_cmp_nlt_f32_e32 vcc, s26, v51
	v_cndmask_b32_e32 v58, v31, v47, vcc
	v_cvt_f16_f32_e32 v52, v46
	v_cvt_f16_f32_e32 v47, v58
	v_fmac_f32_e32 v58, v50, v46
	v_sub_f32_e32 v46, v49, v4
	v_mul_f32_e32 v49, 0x3fb8aa3b, v46
	v_fma_f32 v50, v46, s24, -v49
	v_rndne_f32_e32 v51, v49
	v_fmac_f32_e32 v50, 0x32a5705f, v46
	v_sub_f32_e32 v49, v49, v51
	v_add_f32_e32 v49, v49, v50
	v_exp_f32_e32 v49, v49
	v_cvt_i32_f32_e32 v50, v51
	v_mul_u32_u24_e32 v80, 0x10001, v52
	v_cmp_ngt_f32_e32 vcc, s25, v46
	v_pk_mul_f16 v41, v41, v55
	v_ldexp_f32 v49, v49, v50
	v_sub_f32_e32 v50, v65, v4
	v_mul_f32_e32 v51, 0x3fb8aa3b, v50
	v_fma_f32 v52, v50, s24, -v51
	v_rndne_f32_e32 v53, v51
	v_fmac_f32_e32 v52, 0x32a5705f, v50
	v_sub_f32_e32 v51, v51, v53
	v_add_f32_e32 v51, v51, v52
	v_exp_f32_e32 v51, v51
	v_cvt_i32_f32_e32 v52, v53
	v_cndmask_b32_e32 v49, 0, v49, vcc
	v_cmp_nlt_f32_e32 vcc, s26, v46
	v_cndmask_b32_e32 v46, v31, v49, vcc
	v_ldexp_f32 v49, v51, v52
	v_cmp_ngt_f32_e32 vcc, s25, v50
	v_cndmask_b32_e32 v49, 0, v49, vcc
	v_cmp_nlt_f32_e32 vcc, s26, v50
	v_cvt_f16_f32_e32 v51, v46
	v_cndmask_b32_e32 v65, v31, v49, vcc
	v_cvt_f16_f32_e32 v49, v65
	v_fmac_f32_e32 v65, v48, v46
	v_mul_u32_u24_e32 v46, 0x10001, v51
	v_pk_mul_f16 v81, v34, v46
	v_pk_mul_f16 v82, v33, v46
	;; [unrolled: 1-line block ×3, first 2 shown]
	v_add_u32_e32 v34, v22, v17
	v_pack_b32_f16 v33, v47, v49
	v_pack_b32_f16 v32, v74, v75
	v_pk_mul_f16 v35, v35, v46
	ds_write_b64 v34, v[32:33]
	s_waitcnt vmcnt(1)
	ds_write_b128 v24, v[66:69]
	s_waitcnt vmcnt(0)
	ds_write_b128 v25, v[70:73]
	s_waitcnt lgkmcnt(0)
	s_barrier
	v_add_u32_e32 v34, 0x4000, v17
	ds_read_b128 v[46:49], v22
	ds_read2_b64 v[50:53], v34 offset1:32
	ds_read_b128 v[66:69], v22 offset:16
	ds_read_b128 v[70:73], v22 offset:32
	;; [unrolled: 1-line block ×3, first 2 shown]
	s_waitcnt lgkmcnt(4)
	v_mul_u32_u24_sdwa v32, v46, s29 dst_sel:DWORD dst_unused:UNUSED_PAD src0_sel:WORD_0 src1_sel:DWORD
	v_mul_u32_u24_sdwa v33, v46, s29 dst_sel:DWORD dst_unused:UNUSED_PAD src0_sel:WORD_1 src1_sel:DWORD
	s_waitcnt lgkmcnt(3)
	v_pk_mul_f16 v84, v50, v32
	v_mul_u32_u24_sdwa v46, v47, s29 dst_sel:DWORD dst_unused:UNUSED_PAD src0_sel:WORD_0 src1_sel:DWORD
	v_pk_fma_f16 v43, v43, v54, v84
	v_pk_mul_f16 v54, v50, v33
	v_pk_mul_f16 v42, v42, v55
	;; [unrolled: 1-line block ×5, first 2 shown]
	v_mul_u32_u24_sdwa v47, v47, s29 dst_sel:DWORD dst_unused:UNUSED_PAD src0_sel:WORD_1 src1_sel:DWORD
	v_pk_fma_f16 v40, v40, v55, v54
	v_pk_mul_f16 v54, v50, v46
	v_pk_fma_f16 v54, v36, v80, v54
	v_pk_fma_f16 v55, v51, v32, v78
	;; [unrolled: 1-line block ×10, first 2 shown]
	ds_read2_b64 v[35:38], v34 offset0:64 offset1:96
	v_pk_fma_f16 v50, v50, v47, v81
	v_pk_fma_f16 v52, v52, v47, v82
	;; [unrolled: 1-line block ×4, first 2 shown]
	v_mul_u32_u24_sdwa v46, v48, s29 dst_sel:DWORD dst_unused:UNUSED_PAD src0_sel:WORD_0 src1_sel:DWORD
	v_mul_u32_u24_sdwa v47, v48, s29 dst_sel:DWORD dst_unused:UNUSED_PAD src0_sel:WORD_1 src1_sel:DWORD
	v_mul_u32_u24_sdwa v48, v49, s29 dst_sel:DWORD dst_unused:UNUSED_PAD src0_sel:WORD_0 src1_sel:DWORD
	v_mul_u32_u24_sdwa v49, v49, s29 dst_sel:DWORD dst_unused:UNUSED_PAD src0_sel:WORD_1 src1_sel:DWORD
	s_waitcnt lgkmcnt(0)
	v_pk_fma_f16 v43, v35, v46, v43
	v_pk_fma_f16 v40, v35, v47, v40
	;; [unrolled: 1-line block ×16, first 2 shown]
	ds_read2_b64 v[35:38], v34 offset0:128 offset1:160
	v_mul_u32_u24_sdwa v46, v66, s29 dst_sel:DWORD dst_unused:UNUSED_PAD src0_sel:WORD_0 src1_sel:DWORD
	v_mul_u32_u24_sdwa v47, v66, s29 dst_sel:DWORD dst_unused:UNUSED_PAD src0_sel:WORD_1 src1_sel:DWORD
	v_mul_u32_u24_sdwa v48, v67, s29 dst_sel:DWORD dst_unused:UNUSED_PAD src0_sel:WORD_0 src1_sel:DWORD
	v_mul_u32_u24_sdwa v49, v67, s29 dst_sel:DWORD dst_unused:UNUSED_PAD src0_sel:WORD_1 src1_sel:DWORD
	s_waitcnt lgkmcnt(0)
	v_pk_fma_f16 v43, v35, v46, v43
	v_pk_fma_f16 v40, v35, v47, v40
	v_pk_fma_f16 v53, v35, v48, v53
	v_pk_fma_f16 v50, v35, v49, v50
	v_pk_fma_f16 v54, v36, v46, v54
	v_pk_fma_f16 v44, v36, v47, v44
	v_pk_fma_f16 v39, v36, v48, v39
	v_pk_fma_f16 v51, v36, v49, v51
	v_pk_fma_f16 v55, v37, v46, v55
	v_pk_fma_f16 v41, v37, v47, v41
	v_pk_fma_f16 v66, v37, v48, v78
	v_pk_fma_f16 v52, v37, v49, v52
	v_pk_fma_f16 v32, v38, v46, v32
	v_pk_fma_f16 v33, v38, v47, v33
	v_pk_fma_f16 v42, v38, v48, v42
	v_pk_fma_f16 v45, v38, v49, v45
	ds_read2_b64 v[35:38], v34 offset0:192 offset1:224
	v_mul_u32_u24_sdwa v46, v68, s29 dst_sel:DWORD dst_unused:UNUSED_PAD src0_sel:WORD_0 src1_sel:DWORD
	v_mul_u32_u24_sdwa v47, v68, s29 dst_sel:DWORD dst_unused:UNUSED_PAD src0_sel:WORD_1 src1_sel:DWORD
	v_mul_u32_u24_sdwa v48, v69, s29 dst_sel:DWORD dst_unused:UNUSED_PAD src0_sel:WORD_0 src1_sel:DWORD
	v_mul_u32_u24_sdwa v49, v69, s29 dst_sel:DWORD dst_unused:UNUSED_PAD src0_sel:WORD_1 src1_sel:DWORD
	s_waitcnt lgkmcnt(0)
	v_pk_fma_f16 v43, v35, v46, v43
	v_pk_fma_f16 v40, v35, v47, v40
	;; [unrolled: 1-line block ×4, first 2 shown]
	v_add_u32_e32 v35, 0x4800, v17
	v_pk_fma_f16 v54, v36, v46, v54
	v_pk_fma_f16 v44, v36, v47, v44
	;; [unrolled: 1-line block ×12, first 2 shown]
	ds_read2_b64 v[36:39], v35 offset1:32
	v_mul_u32_u24_sdwa v46, v70, s29 dst_sel:DWORD dst_unused:UNUSED_PAD src0_sel:WORD_0 src1_sel:DWORD
	v_mul_u32_u24_sdwa v47, v70, s29 dst_sel:DWORD dst_unused:UNUSED_PAD src0_sel:WORD_1 src1_sel:DWORD
	v_mul_u32_u24_sdwa v48, v71, s29 dst_sel:DWORD dst_unused:UNUSED_PAD src0_sel:WORD_0 src1_sel:DWORD
	v_mul_u32_u24_sdwa v49, v71, s29 dst_sel:DWORD dst_unused:UNUSED_PAD src0_sel:WORD_1 src1_sel:DWORD
	s_waitcnt lgkmcnt(0)
	v_pk_fma_f16 v43, v36, v46, v43
	v_pk_fma_f16 v40, v36, v47, v40
	v_pk_fma_f16 v53, v36, v48, v53
	v_pk_fma_f16 v50, v36, v49, v50
	v_pk_fma_f16 v54, v37, v46, v54
	v_pk_fma_f16 v44, v37, v47, v44
	v_pk_fma_f16 v67, v37, v48, v67
	v_pk_fma_f16 v51, v37, v49, v51
	v_pk_fma_f16 v55, v38, v46, v55
	v_pk_fma_f16 v41, v38, v47, v41
	v_pk_fma_f16 v66, v38, v48, v66
	v_pk_fma_f16 v52, v38, v49, v52
	v_pk_fma_f16 v32, v39, v46, v32
	v_pk_fma_f16 v33, v39, v47, v33
	v_pk_fma_f16 v42, v39, v48, v42
	v_pk_fma_f16 v45, v39, v49, v45
	ds_read2_b64 v[36:39], v35 offset0:64 offset1:96
	v_mul_u32_u24_sdwa v46, v72, s29 dst_sel:DWORD dst_unused:UNUSED_PAD src0_sel:WORD_0 src1_sel:DWORD
	v_mul_u32_u24_sdwa v47, v72, s29 dst_sel:DWORD dst_unused:UNUSED_PAD src0_sel:WORD_1 src1_sel:DWORD
	v_mul_u32_u24_sdwa v48, v73, s29 dst_sel:DWORD dst_unused:UNUSED_PAD src0_sel:WORD_0 src1_sel:DWORD
	v_mul_u32_u24_sdwa v49, v73, s29 dst_sel:DWORD dst_unused:UNUSED_PAD src0_sel:WORD_1 src1_sel:DWORD
	s_waitcnt lgkmcnt(0)
	v_pk_fma_f16 v43, v36, v46, v43
	v_pk_fma_f16 v40, v36, v47, v40
	v_pk_fma_f16 v53, v36, v48, v53
	v_pk_fma_f16 v50, v36, v49, v50
	v_pk_fma_f16 v54, v37, v46, v54
	v_pk_fma_f16 v44, v37, v47, v44
	v_pk_fma_f16 v67, v37, v48, v67
	v_pk_fma_f16 v51, v37, v49, v51
	v_pk_fma_f16 v55, v38, v46, v55
	v_pk_fma_f16 v41, v38, v47, v41
	v_pk_fma_f16 v66, v38, v48, v66
	v_pk_fma_f16 v52, v38, v49, v52
	v_pk_fma_f16 v32, v39, v46, v32
	v_pk_fma_f16 v33, v39, v47, v33
	v_pk_fma_f16 v42, v39, v48, v42
	v_pk_fma_f16 v45, v39, v49, v45
	ds_read2_b64 v[36:39], v35 offset0:128 offset1:160
	;; [unrolled: 22-line block ×3, first 2 shown]
	v_mul_u32_u24_sdwa v46, v76, s29 dst_sel:DWORD dst_unused:UNUSED_PAD src0_sel:WORD_0 src1_sel:DWORD
	v_mul_u32_u24_sdwa v47, v76, s29 dst_sel:DWORD dst_unused:UNUSED_PAD src0_sel:WORD_1 src1_sel:DWORD
	v_mul_u32_u24_sdwa v48, v77, s29 dst_sel:DWORD dst_unused:UNUSED_PAD src0_sel:WORD_0 src1_sel:DWORD
	v_mul_u32_u24_sdwa v49, v77, s29 dst_sel:DWORD dst_unused:UNUSED_PAD src0_sel:WORD_1 src1_sel:DWORD
	s_waitcnt lgkmcnt(0)
	v_pk_fma_f16 v68, v36, v46, v43
	v_pk_fma_f16 v69, v36, v47, v40
	;; [unrolled: 1-line block ×7, first 2 shown]
	ds_read_b128 v[40:43], v22 offset:64
	v_pk_fma_f16 v72, v39, v46, v32
	v_add_u32_e32 v32, 0x5000, v17
	v_pk_fma_f16 v50, v36, v49, v50
	v_pk_fma_f16 v54, v37, v46, v54
	;; [unrolled: 1-line block ×8, first 2 shown]
	ds_read2_b64 v[36:39], v32 offset1:32
	ds_read_b128 v[44:47], v22 offset:80
	s_waitcnt lgkmcnt(2)
	v_mul_u32_u24_sdwa v73, v40, s29 dst_sel:DWORD dst_unused:UNUSED_PAD src0_sel:WORD_0 src1_sel:DWORD
	v_mul_u32_u24_sdwa v40, v40, s29 dst_sel:DWORD dst_unused:UNUSED_PAD src0_sel:WORD_1 src1_sel:DWORD
	v_mul_u32_u24_sdwa v74, v41, s29 dst_sel:DWORD dst_unused:UNUSED_PAD src0_sel:WORD_0 src1_sel:DWORD
	v_mul_u32_u24_sdwa v41, v41, s29 dst_sel:DWORD dst_unused:UNUSED_PAD src0_sel:WORD_1 src1_sel:DWORD
	s_waitcnt lgkmcnt(1)
	v_pk_fma_f16 v68, v36, v73, v68
	v_pk_fma_f16 v69, v36, v40, v69
	v_pk_fma_f16 v53, v36, v74, v53
	v_pk_fma_f16 v50, v36, v41, v50
	v_pk_fma_f16 v54, v37, v73, v54
	v_pk_fma_f16 v70, v37, v40, v70
	v_pk_fma_f16 v67, v37, v74, v67
	v_pk_fma_f16 v51, v37, v41, v51
	v_pk_fma_f16 v55, v38, v73, v55
	v_pk_fma_f16 v71, v38, v40, v71
	v_pk_fma_f16 v66, v38, v74, v66
	v_pk_fma_f16 v52, v38, v41, v52
	v_pk_fma_f16 v72, v39, v73, v72
	v_pk_fma_f16 v33, v39, v40, v33
	v_pk_fma_f16 v40, v39, v74, v48
	v_pk_fma_f16 v41, v39, v41, v49
	ds_read2_b64 v[36:39], v32 offset0:64 offset1:96
	v_mul_u32_u24_sdwa v48, v42, s29 dst_sel:DWORD dst_unused:UNUSED_PAD src0_sel:WORD_0 src1_sel:DWORD
	v_mul_u32_u24_sdwa v42, v42, s29 dst_sel:DWORD dst_unused:UNUSED_PAD src0_sel:WORD_1 src1_sel:DWORD
	v_mul_u32_u24_sdwa v49, v43, s29 dst_sel:DWORD dst_unused:UNUSED_PAD src0_sel:WORD_0 src1_sel:DWORD
	v_mul_u32_u24_sdwa v43, v43, s29 dst_sel:DWORD dst_unused:UNUSED_PAD src0_sel:WORD_1 src1_sel:DWORD
	s_waitcnt lgkmcnt(0)
	v_pk_fma_f16 v68, v36, v48, v68
	v_pk_fma_f16 v69, v36, v42, v69
	v_pk_fma_f16 v53, v36, v49, v53
	v_pk_fma_f16 v50, v36, v43, v50
	v_pk_fma_f16 v54, v37, v48, v54
	v_pk_fma_f16 v70, v37, v42, v70
	v_pk_fma_f16 v67, v37, v49, v67
	v_pk_fma_f16 v51, v37, v43, v51
	v_pk_fma_f16 v55, v38, v48, v55
	v_pk_fma_f16 v71, v38, v42, v71
	v_pk_fma_f16 v66, v38, v49, v66
	v_pk_fma_f16 v52, v38, v43, v52
	v_pk_fma_f16 v48, v39, v48, v72
	v_pk_fma_f16 v33, v39, v42, v33
	v_pk_fma_f16 v40, v39, v49, v40
	v_pk_fma_f16 v41, v39, v43, v41
	ds_read2_b64 v[36:39], v32 offset0:128 offset1:160
	;; [unrolled: 22-line block ×3, first 2 shown]
	s_or_b32 s8, s6, 16
	s_mul_hi_i32 s9, s8, s15
	s_mul_i32 s8, s8, s15
	s_lshl_b64 s[8:9], s[8:9], 2
	s_add_u32 s8, s12, s8
	v_mul_u32_u24_sdwa v43, v46, s29 dst_sel:DWORD dst_unused:UNUSED_PAD src0_sel:WORD_1 src1_sel:DWORD
	s_addc_u32 s9, s13, s9
	s_waitcnt lgkmcnt(0)
	v_pk_fma_f16 v87, v38, v43, v70
	v_mov_b32_e32 v70, s9
	v_add_co_u32_e32 v71, vcc, s8, v10
	v_addc_co_u32_e32 v72, vcc, v70, v11, vcc
	v_add_co_u32_e32 v70, vcc, v71, v23
	v_addc_co_u32_e32 v71, vcc, 0, v72, vcc
	v_mov_b32_e32 v72, s9
	v_add_co_u32_e32 v73, vcc, s8, v12
	v_addc_co_u32_e32 v72, vcc, v72, v13, vcc
	v_add_co_u32_e32 v74, vcc, v73, v23
	v_mul_u32_u24_sdwa v41, v46, s29 dst_sel:DWORD dst_unused:UNUSED_PAD src0_sel:WORD_0 src1_sel:DWORD
	v_mul_u32_u24_sdwa v45, v47, s29 dst_sel:DWORD dst_unused:UNUSED_PAD src0_sel:WORD_0 src1_sel:DWORD
	v_mul_u32_u24_sdwa v46, v47, s29 dst_sel:DWORD dst_unused:UNUSED_PAD src0_sel:WORD_1 src1_sel:DWORD
	v_pk_fma_f16 v91, v39, v43, v33
	v_add_u32_e32 v33, 0x5800, v17
	v_addc_co_u32_e32 v75, vcc, 0, v72, vcc
	v_pk_fma_f16 v78, v36, v41, v49
	v_pk_fma_f16 v79, v36, v43, v68
	v_pk_fma_f16 v80, v36, v45, v53
	v_pk_fma_f16 v81, v36, v46, v50
	v_pk_fma_f16 v82, v37, v41, v54
	v_pk_fma_f16 v83, v37, v43, v69
	v_pk_fma_f16 v84, v37, v45, v67
	v_pk_fma_f16 v85, v37, v46, v51
	v_pk_fma_f16 v86, v38, v41, v55
	v_pk_fma_f16 v88, v38, v45, v66
	v_pk_fma_f16 v89, v38, v46, v52
	v_pk_fma_f16 v90, v39, v41, v42
	v_pk_fma_f16 v92, v39, v45, v40
	ds_read_b128 v[40:43], v22 offset:96
	v_pk_fma_f16 v93, v39, v46, v44
	ds_read2_b64 v[36:39], v33 offset1:32
	ds_read_b128 v[44:47], v22 offset:112
	ds_read2_b64 v[48:51], v33 offset0:64 offset1:96
	ds_read2_b64 v[52:55], v33 offset0:128 offset1:160
	;; [unrolled: 1-line block ×3, first 2 shown]
	s_waitcnt lgkmcnt(0)
	s_barrier
	global_load_dwordx4 v[70:73], v[70:71], off
	s_nop 0
	global_load_dwordx4 v[74:77], v[74:75], off
	v_mul_u32_u24_sdwa v94, v40, s29 dst_sel:DWORD dst_unused:UNUSED_PAD src0_sel:WORD_0 src1_sel:DWORD
	v_mul_u32_u24_sdwa v40, v40, s29 dst_sel:DWORD dst_unused:UNUSED_PAD src0_sel:WORD_1 src1_sel:DWORD
	v_mul_u32_u24_sdwa v95, v41, s29 dst_sel:DWORD dst_unused:UNUSED_PAD src0_sel:WORD_0 src1_sel:DWORD
	v_mul_u32_u24_sdwa v41, v41, s29 dst_sel:DWORD dst_unused:UNUSED_PAD src0_sel:WORD_1 src1_sel:DWORD
	v_pk_fma_f16 v78, v36, v94, v78
	v_pk_fma_f16 v79, v36, v40, v79
	v_pk_fma_f16 v80, v36, v95, v80
	v_pk_fma_f16 v36, v36, v41, v81
	v_pk_fma_f16 v81, v37, v94, v82
	v_pk_fma_f16 v82, v37, v40, v83
	v_pk_fma_f16 v83, v37, v95, v84
	v_pk_fma_f16 v37, v37, v41, v85
	v_pk_fma_f16 v84, v38, v94, v86
	v_pk_fma_f16 v85, v38, v40, v87
	v_pk_fma_f16 v86, v38, v95, v88
	v_pk_fma_f16 v38, v38, v41, v89
	v_pk_fma_f16 v87, v39, v94, v90
	v_pk_fma_f16 v40, v39, v40, v91
	v_pk_fma_f16 v88, v39, v95, v92
	v_pk_fma_f16 v39, v39, v41, v93
	v_mul_u32_u24_sdwa v41, v42, s29 dst_sel:DWORD dst_unused:UNUSED_PAD src0_sel:WORD_0 src1_sel:DWORD
	v_mul_u32_u24_sdwa v42, v42, s29 dst_sel:DWORD dst_unused:UNUSED_PAD src0_sel:WORD_1 src1_sel:DWORD
	v_mul_u32_u24_sdwa v89, v43, s29 dst_sel:DWORD dst_unused:UNUSED_PAD src0_sel:WORD_0 src1_sel:DWORD
	v_mul_u32_u24_sdwa v43, v43, s29 dst_sel:DWORD dst_unused:UNUSED_PAD src0_sel:WORD_1 src1_sel:DWORD
	v_pk_fma_f16 v78, v48, v41, v78
	v_pk_fma_f16 v79, v48, v42, v79
	v_pk_fma_f16 v80, v48, v89, v80
	v_pk_fma_f16 v36, v48, v43, v36
	v_pk_fma_f16 v48, v49, v41, v81
	v_pk_fma_f16 v81, v49, v42, v82
	v_pk_fma_f16 v82, v49, v89, v83
	v_pk_fma_f16 v37, v49, v43, v37
	v_pk_fma_f16 v49, v50, v41, v84
	v_pk_fma_f16 v83, v50, v42, v85
	v_pk_fma_f16 v84, v50, v89, v86
	v_pk_fma_f16 v38, v50, v43, v38
	v_pk_fma_f16 v41, v51, v41, v87
	v_pk_fma_f16 v40, v51, v42, v40
	v_pk_fma_f16 v42, v51, v89, v88
	v_pk_fma_f16 v39, v51, v43, v39
	;; [unrolled: 20-line block ×4, first 2 shown]
	s_waitcnt vmcnt(1)
	ds_write_b128 v24, v[70:73]
	s_waitcnt vmcnt(0)
	ds_write_b128 v25, v[74:77]
	s_waitcnt lgkmcnt(0)
	s_barrier
	ds_read_b128 v[36:39], v22 offset:128
	ds_read2_b64 v[40:43], v34 offset1:32
	ds_read_b128 v[44:47], v22 offset:144
	ds_read_b128 v[48:51], v22 offset:160
	;; [unrolled: 1-line block ×3, first 2 shown]
	s_waitcnt lgkmcnt(4)
	v_mul_u32_u24_sdwa v70, v36, s29 dst_sel:DWORD dst_unused:UNUSED_PAD src0_sel:WORD_0 src1_sel:DWORD
	v_mul_u32_u24_sdwa v36, v36, s29 dst_sel:DWORD dst_unused:UNUSED_PAD src0_sel:WORD_1 src1_sel:DWORD
	v_mul_u32_u24_sdwa v71, v37, s29 dst_sel:DWORD dst_unused:UNUSED_PAD src0_sel:WORD_0 src1_sel:DWORD
	v_mul_u32_u24_sdwa v37, v37, s29 dst_sel:DWORD dst_unused:UNUSED_PAD src0_sel:WORD_1 src1_sel:DWORD
	s_waitcnt lgkmcnt(3)
	v_pk_fma_f16 v72, v40, v70, v82
	v_pk_fma_f16 v73, v40, v36, v78
	v_pk_fma_f16 v74, v40, v71, v79
	v_pk_fma_f16 v66, v40, v37, v66
	v_pk_fma_f16 v75, v41, v70, v83
	v_pk_fma_f16 v76, v41, v36, v84
	v_pk_fma_f16 v77, v41, v71, v80
	v_pk_fma_f16 v67, v41, v37, v67
	v_pk_fma_f16 v78, v42, v70, v85
	v_pk_fma_f16 v79, v42, v36, v86
	v_pk_fma_f16 v80, v42, v71, v81
	v_pk_fma_f16 v68, v42, v37, v68
	v_pk_fma_f16 v70, v43, v70, v87
	v_pk_fma_f16 v36, v43, v36, v88
	v_pk_fma_f16 v71, v43, v71, v89
	v_pk_fma_f16 v37, v43, v37, v69
	ds_read2_b64 v[40:43], v34 offset0:64 offset1:96
	v_mul_u32_u24_sdwa v69, v38, s29 dst_sel:DWORD dst_unused:UNUSED_PAD src0_sel:WORD_0 src1_sel:DWORD
	v_mul_u32_u24_sdwa v38, v38, s29 dst_sel:DWORD dst_unused:UNUSED_PAD src0_sel:WORD_1 src1_sel:DWORD
	v_mul_u32_u24_sdwa v81, v39, s29 dst_sel:DWORD dst_unused:UNUSED_PAD src0_sel:WORD_0 src1_sel:DWORD
	v_mul_u32_u24_sdwa v39, v39, s29 dst_sel:DWORD dst_unused:UNUSED_PAD src0_sel:WORD_1 src1_sel:DWORD
	s_waitcnt lgkmcnt(0)
	v_pk_fma_f16 v72, v40, v69, v72
	v_pk_fma_f16 v73, v40, v38, v73
	v_pk_fma_f16 v74, v40, v81, v74
	v_pk_fma_f16 v40, v40, v39, v66
	v_pk_fma_f16 v66, v41, v69, v75
	v_pk_fma_f16 v75, v41, v38, v76
	v_pk_fma_f16 v76, v41, v81, v77
	v_pk_fma_f16 v41, v41, v39, v67
	v_pk_fma_f16 v67, v42, v69, v78
	v_pk_fma_f16 v77, v42, v38, v79
	v_pk_fma_f16 v78, v42, v81, v80
	v_pk_fma_f16 v42, v42, v39, v68
	v_pk_fma_f16 v68, v43, v69, v70
	v_pk_fma_f16 v69, v43, v38, v36
	v_pk_fma_f16 v70, v43, v81, v71
	v_pk_fma_f16 v43, v43, v39, v37
	ds_read2_b64 v[36:39], v34 offset0:128 offset1:160
	v_mul_u32_u24_sdwa v71, v44, s29 dst_sel:DWORD dst_unused:UNUSED_PAD src0_sel:WORD_0 src1_sel:DWORD
	v_mul_u32_u24_sdwa v44, v44, s29 dst_sel:DWORD dst_unused:UNUSED_PAD src0_sel:WORD_1 src1_sel:DWORD
	v_mul_u32_u24_sdwa v79, v45, s29 dst_sel:DWORD dst_unused:UNUSED_PAD src0_sel:WORD_0 src1_sel:DWORD
	v_mul_u32_u24_sdwa v45, v45, s29 dst_sel:DWORD dst_unused:UNUSED_PAD src0_sel:WORD_1 src1_sel:DWORD
	s_waitcnt lgkmcnt(0)
	v_pk_fma_f16 v72, v36, v71, v72
	v_pk_fma_f16 v73, v36, v44, v73
	v_pk_fma_f16 v74, v36, v79, v74
	v_pk_fma_f16 v40, v36, v45, v40
	v_pk_fma_f16 v66, v37, v71, v66
	v_pk_fma_f16 v75, v37, v44, v75
	v_pk_fma_f16 v76, v37, v79, v76
	v_pk_fma_f16 v41, v37, v45, v41
	v_pk_fma_f16 v67, v38, v71, v67
	v_pk_fma_f16 v77, v38, v44, v77
	v_pk_fma_f16 v78, v38, v79, v78
	v_pk_fma_f16 v42, v38, v45, v42
	v_pk_fma_f16 v68, v39, v71, v68
	v_pk_fma_f16 v44, v39, v44, v69
	v_pk_fma_f16 v69, v39, v79, v70
	v_pk_fma_f16 v43, v39, v45, v43
	ds_read2_b64 v[36:39], v34 offset0:192 offset1:224
	v_mul_u32_u24_sdwa v34, v46, s29 dst_sel:DWORD dst_unused:UNUSED_PAD src0_sel:WORD_0 src1_sel:DWORD
	v_mul_u32_u24_sdwa v45, v46, s29 dst_sel:DWORD dst_unused:UNUSED_PAD src0_sel:WORD_1 src1_sel:DWORD
	v_mul_u32_u24_sdwa v46, v47, s29 dst_sel:DWORD dst_unused:UNUSED_PAD src0_sel:WORD_0 src1_sel:DWORD
	v_mul_u32_u24_sdwa v47, v47, s29 dst_sel:DWORD dst_unused:UNUSED_PAD src0_sel:WORD_1 src1_sel:DWORD
	s_waitcnt lgkmcnt(0)
	v_pk_fma_f16 v70, v36, v34, v72
	v_pk_fma_f16 v71, v36, v45, v73
	;; [unrolled: 1-line block ×16, first 2 shown]
	ds_read2_b64 v[36:39], v35 offset1:32
	v_mul_u32_u24_sdwa v46, v48, s29 dst_sel:DWORD dst_unused:UNUSED_PAD src0_sel:WORD_0 src1_sel:DWORD
	v_mul_u32_u24_sdwa v47, v48, s29 dst_sel:DWORD dst_unused:UNUSED_PAD src0_sel:WORD_1 src1_sel:DWORD
	v_mul_u32_u24_sdwa v48, v49, s29 dst_sel:DWORD dst_unused:UNUSED_PAD src0_sel:WORD_0 src1_sel:DWORD
	v_mul_u32_u24_sdwa v49, v49, s29 dst_sel:DWORD dst_unused:UNUSED_PAD src0_sel:WORD_1 src1_sel:DWORD
	s_waitcnt lgkmcnt(0)
	v_pk_fma_f16 v68, v36, v46, v70
	v_pk_fma_f16 v69, v36, v47, v71
	;; [unrolled: 1-line block ×16, first 2 shown]
	ds_read2_b64 v[36:39], v35 offset0:64 offset1:96
	v_mul_u32_u24_sdwa v46, v50, s29 dst_sel:DWORD dst_unused:UNUSED_PAD src0_sel:WORD_0 src1_sel:DWORD
	v_mul_u32_u24_sdwa v47, v50, s29 dst_sel:DWORD dst_unused:UNUSED_PAD src0_sel:WORD_1 src1_sel:DWORD
	v_mul_u32_u24_sdwa v48, v51, s29 dst_sel:DWORD dst_unused:UNUSED_PAD src0_sel:WORD_0 src1_sel:DWORD
	v_mul_u32_u24_sdwa v49, v51, s29 dst_sel:DWORD dst_unused:UNUSED_PAD src0_sel:WORD_1 src1_sel:DWORD
	s_waitcnt lgkmcnt(0)
	v_pk_fma_f16 v50, v36, v46, v68
	v_pk_fma_f16 v51, v36, v47, v69
	;; [unrolled: 1-line block ×16, first 2 shown]
	ds_read2_b64 v[36:39], v35 offset0:128 offset1:160
	v_mul_u32_u24_sdwa v46, v52, s29 dst_sel:DWORD dst_unused:UNUSED_PAD src0_sel:WORD_0 src1_sel:DWORD
	v_mul_u32_u24_sdwa v47, v52, s29 dst_sel:DWORD dst_unused:UNUSED_PAD src0_sel:WORD_1 src1_sel:DWORD
	v_mul_u32_u24_sdwa v48, v53, s29 dst_sel:DWORD dst_unused:UNUSED_PAD src0_sel:WORD_0 src1_sel:DWORD
	v_mul_u32_u24_sdwa v49, v53, s29 dst_sel:DWORD dst_unused:UNUSED_PAD src0_sel:WORD_1 src1_sel:DWORD
	s_waitcnt lgkmcnt(0)
	v_pk_fma_f16 v50, v36, v46, v50
	v_pk_fma_f16 v51, v36, v47, v51
	;; [unrolled: 1-line block ×13, first 2 shown]
	ds_read2_b64 v[34:37], v35 offset0:192 offset1:224
	v_pk_fma_f16 v44, v39, v47, v44
	v_pk_fma_f16 v45, v39, v48, v45
	;; [unrolled: 1-line block ×3, first 2 shown]
	v_mul_u32_u24_sdwa v39, v54, s29 dst_sel:DWORD dst_unused:UNUSED_PAD src0_sel:WORD_0 src1_sel:DWORD
	v_mul_u32_u24_sdwa v46, v54, s29 dst_sel:DWORD dst_unused:UNUSED_PAD src0_sel:WORD_1 src1_sel:DWORD
	v_mul_u32_u24_sdwa v47, v55, s29 dst_sel:DWORD dst_unused:UNUSED_PAD src0_sel:WORD_0 src1_sel:DWORD
	v_mul_u32_u24_sdwa v48, v55, s29 dst_sel:DWORD dst_unused:UNUSED_PAD src0_sel:WORD_1 src1_sel:DWORD
	s_waitcnt lgkmcnt(0)
	v_pk_fma_f16 v49, v34, v39, v50
	v_pk_fma_f16 v50, v34, v46, v51
	;; [unrolled: 1-line block ×13, first 2 shown]
	ds_read_b128 v[38:41], v22 offset:192
	v_pk_fma_f16 v46, v37, v46, v44
	v_pk_fma_f16 v47, v37, v47, v45
	;; [unrolled: 1-line block ×3, first 2 shown]
	ds_read2_b64 v[34:37], v32 offset1:32
	ds_read_b128 v[42:45], v22 offset:208
	s_waitcnt lgkmcnt(2)
	v_mul_u32_u24_sdwa v72, v38, s29 dst_sel:DWORD dst_unused:UNUSED_PAD src0_sel:WORD_0 src1_sel:DWORD
	v_mul_u32_u24_sdwa v38, v38, s29 dst_sel:DWORD dst_unused:UNUSED_PAD src0_sel:WORD_1 src1_sel:DWORD
	v_mul_u32_u24_sdwa v73, v39, s29 dst_sel:DWORD dst_unused:UNUSED_PAD src0_sel:WORD_0 src1_sel:DWORD
	v_mul_u32_u24_sdwa v39, v39, s29 dst_sel:DWORD dst_unused:UNUSED_PAD src0_sel:WORD_1 src1_sel:DWORD
	s_waitcnt lgkmcnt(1)
	v_pk_fma_f16 v49, v34, v72, v49
	v_pk_fma_f16 v50, v34, v38, v50
	v_pk_fma_f16 v51, v34, v73, v51
	v_pk_fma_f16 v52, v34, v39, v52
	v_pk_fma_f16 v53, v35, v72, v53
	v_pk_fma_f16 v54, v35, v38, v54
	v_pk_fma_f16 v55, v35, v73, v55
	v_pk_fma_f16 v66, v35, v39, v66
	v_pk_fma_f16 v67, v36, v72, v67
	v_pk_fma_f16 v68, v36, v38, v68
	v_pk_fma_f16 v69, v36, v73, v69
	v_pk_fma_f16 v70, v36, v39, v70
	v_pk_fma_f16 v71, v37, v72, v71
	v_pk_fma_f16 v38, v37, v38, v46
	v_pk_fma_f16 v46, v37, v73, v47
	v_pk_fma_f16 v39, v37, v39, v48
	ds_read2_b64 v[34:37], v32 offset0:64 offset1:96
	v_mul_u32_u24_sdwa v47, v40, s29 dst_sel:DWORD dst_unused:UNUSED_PAD src0_sel:WORD_0 src1_sel:DWORD
	v_mul_u32_u24_sdwa v40, v40, s29 dst_sel:DWORD dst_unused:UNUSED_PAD src0_sel:WORD_1 src1_sel:DWORD
	v_mul_u32_u24_sdwa v48, v41, s29 dst_sel:DWORD dst_unused:UNUSED_PAD src0_sel:WORD_0 src1_sel:DWORD
	v_mul_u32_u24_sdwa v41, v41, s29 dst_sel:DWORD dst_unused:UNUSED_PAD src0_sel:WORD_1 src1_sel:DWORD
	s_waitcnt lgkmcnt(0)
	v_pk_fma_f16 v49, v34, v47, v49
	v_pk_fma_f16 v50, v34, v40, v50
	v_pk_fma_f16 v51, v34, v48, v51
	v_pk_fma_f16 v52, v34, v41, v52
	v_pk_fma_f16 v53, v35, v47, v53
	v_pk_fma_f16 v54, v35, v40, v54
	v_pk_fma_f16 v55, v35, v48, v55
	v_pk_fma_f16 v66, v35, v41, v66
	v_pk_fma_f16 v67, v36, v47, v67
	v_pk_fma_f16 v68, v36, v40, v68
	v_pk_fma_f16 v69, v36, v48, v69
	v_pk_fma_f16 v70, v36, v41, v70
	v_pk_fma_f16 v47, v37, v47, v71
	v_pk_fma_f16 v38, v37, v40, v38
	v_pk_fma_f16 v40, v37, v48, v46
	v_pk_fma_f16 v39, v37, v41, v39
	ds_read2_b64 v[34:37], v32 offset0:128 offset1:160
	v_mul_u32_u24_sdwa v41, v42, s29 dst_sel:DWORD dst_unused:UNUSED_PAD src0_sel:WORD_0 src1_sel:DWORD
	v_mul_u32_u24_sdwa v42, v42, s29 dst_sel:DWORD dst_unused:UNUSED_PAD src0_sel:WORD_1 src1_sel:DWORD
	v_mul_u32_u24_sdwa v46, v43, s29 dst_sel:DWORD dst_unused:UNUSED_PAD src0_sel:WORD_0 src1_sel:DWORD
	v_mul_u32_u24_sdwa v43, v43, s29 dst_sel:DWORD dst_unused:UNUSED_PAD src0_sel:WORD_1 src1_sel:DWORD
	s_waitcnt lgkmcnt(0)
	v_pk_fma_f16 v48, v34, v41, v49
	v_pk_fma_f16 v49, v34, v42, v50
	v_pk_fma_f16 v50, v34, v46, v51
	v_pk_fma_f16 v51, v34, v43, v52
	v_pk_fma_f16 v52, v35, v41, v53
	v_pk_fma_f16 v53, v35, v42, v54
	v_pk_fma_f16 v54, v35, v46, v55
	v_pk_fma_f16 v55, v35, v43, v66
	v_pk_fma_f16 v66, v36, v41, v67
	v_pk_fma_f16 v67, v36, v42, v68
	v_pk_fma_f16 v68, v36, v46, v69
	v_pk_fma_f16 v69, v36, v43, v70
	v_pk_fma_f16 v41, v37, v41, v47
	v_pk_fma_f16 v38, v37, v42, v38
	v_pk_fma_f16 v42, v37, v46, v40
	v_pk_fma_f16 v43, v37, v43, v39
	ds_read2_b64 v[34:37], v32 offset0:192 offset1:224
	v_mul_u32_u24_sdwa v32, v44, s29 dst_sel:DWORD dst_unused:UNUSED_PAD src0_sel:WORD_0 src1_sel:DWORD
	v_mul_u32_u24_sdwa v39, v44, s29 dst_sel:DWORD dst_unused:UNUSED_PAD src0_sel:WORD_1 src1_sel:DWORD
	v_mul_u32_u24_sdwa v44, v45, s29 dst_sel:DWORD dst_unused:UNUSED_PAD src0_sel:WORD_0 src1_sel:DWORD
	v_mul_u32_u24_sdwa v45, v45, s29 dst_sel:DWORD dst_unused:UNUSED_PAD src0_sel:WORD_1 src1_sel:DWORD
	s_waitcnt lgkmcnt(0)
	v_pk_fma_f16 v46, v34, v32, v48
	v_pk_fma_f16 v47, v34, v39, v49
	;; [unrolled: 1-line block ×13, first 2 shown]
	ds_read_b128 v[38:41], v22 offset:224
	v_pk_fma_f16 v67, v36, v45, v69
	v_pk_fma_f16 v69, v37, v44, v42
	;; [unrolled: 1-line block ×3, first 2 shown]
	ds_read2_b64 v[34:37], v33 offset1:32
	ds_read_b128 v[42:45], v22 offset:240
	s_waitcnt lgkmcnt(2)
	v_mul_u32_u24_sdwa v71, v38, s29 dst_sel:DWORD dst_unused:UNUSED_PAD src0_sel:WORD_0 src1_sel:DWORD
	v_mul_u32_u24_sdwa v38, v38, s29 dst_sel:DWORD dst_unused:UNUSED_PAD src0_sel:WORD_1 src1_sel:DWORD
	v_mul_u32_u24_sdwa v72, v39, s29 dst_sel:DWORD dst_unused:UNUSED_PAD src0_sel:WORD_0 src1_sel:DWORD
	v_mul_u32_u24_sdwa v39, v39, s29 dst_sel:DWORD dst_unused:UNUSED_PAD src0_sel:WORD_1 src1_sel:DWORD
	s_waitcnt lgkmcnt(1)
	v_pk_fma_f16 v46, v34, v71, v46
	v_pk_fma_f16 v47, v34, v38, v47
	;; [unrolled: 1-line block ×16, first 2 shown]
	ds_read2_b64 v[34:37], v33 offset0:64 offset1:96
	v_mul_u32_u24_sdwa v69, v40, s29 dst_sel:DWORD dst_unused:UNUSED_PAD src0_sel:WORD_0 src1_sel:DWORD
	v_mul_u32_u24_sdwa v40, v40, s29 dst_sel:DWORD dst_unused:UNUSED_PAD src0_sel:WORD_1 src1_sel:DWORD
	v_mul_u32_u24_sdwa v70, v41, s29 dst_sel:DWORD dst_unused:UNUSED_PAD src0_sel:WORD_0 src1_sel:DWORD
	v_mul_u32_u24_sdwa v41, v41, s29 dst_sel:DWORD dst_unused:UNUSED_PAD src0_sel:WORD_1 src1_sel:DWORD
	s_waitcnt lgkmcnt(0)
	v_pk_fma_f16 v46, v34, v69, v46
	v_pk_fma_f16 v47, v34, v40, v47
	;; [unrolled: 1-line block ×16, first 2 shown]
	ds_read2_b64 v[34:37], v33 offset0:128 offset1:160
	v_mul_u32_u24_sdwa v41, v42, s29 dst_sel:DWORD dst_unused:UNUSED_PAD src0_sel:WORD_0 src1_sel:DWORD
	v_mul_u32_u24_sdwa v42, v42, s29 dst_sel:DWORD dst_unused:UNUSED_PAD src0_sel:WORD_1 src1_sel:DWORD
	v_mul_u32_u24_sdwa v68, v43, s29 dst_sel:DWORD dst_unused:UNUSED_PAD src0_sel:WORD_0 src1_sel:DWORD
	v_mul_u32_u24_sdwa v43, v43, s29 dst_sel:DWORD dst_unused:UNUSED_PAD src0_sel:WORD_1 src1_sel:DWORD
	s_waitcnt lgkmcnt(0)
	v_pk_fma_f16 v46, v34, v41, v46
	v_pk_fma_f16 v69, v34, v42, v47
	;; [unrolled: 1-line block ×5, first 2 shown]
	ds_read2_b64 v[47:50], v33 offset0:192 offset1:224
	s_waitcnt lgkmcnt(0)
	s_barrier
	s_load_dword s8, s[0:1], 0x4
	v_pk_fma_f16 v51, v35, v42, v51
	v_pk_fma_f16 v52, v35, v68, v52
	;; [unrolled: 1-line block ×4, first 2 shown]
	s_waitcnt lgkmcnt(0)
	s_lshl_b32 s8, s8, 5
	v_pk_fma_f16 v54, v36, v42, v55
	v_pk_fma_f16 v55, v36, v68, v66
	;; [unrolled: 1-line block ×7, first 2 shown]
	v_mul_u32_u24_sdwa v42, v44, s29 dst_sel:DWORD dst_unused:UNUSED_PAD src0_sel:WORD_0 src1_sel:DWORD
	v_mul_u32_u24_sdwa v72, v44, s29 dst_sel:DWORD dst_unused:UNUSED_PAD src0_sel:WORD_1 src1_sel:DWORD
	v_mul_u32_u24_sdwa v73, v45, s29 dst_sel:DWORD dst_unused:UNUSED_PAD src0_sel:WORD_0 src1_sel:DWORD
	v_mul_u32_u24_sdwa v74, v45, s29 dst_sel:DWORD dst_unused:UNUSED_PAD src0_sel:WORD_1 src1_sel:DWORD
	s_add_i32 s6, s8, s6
	v_pk_fma_f16 v43, v47, v42, v46
	v_pk_fma_f16 v40, v47, v72, v69
	;; [unrolled: 1-line block ×15, first 2 shown]
	s_cmp_ge_i32 s6, s30
	v_pk_fma_f16 v32, v50, v74, v68
	s_cbranch_scc1 .LBB61_7
; %bb.29:                               ;   in Loop: Header=BB61_12 Depth=1
	v_mov_b32_e32 v55, v1
	v_mov_b32_e32 v53, v2
	;; [unrolled: 1-line block ×8, first 2 shown]
	s_branch .LBB61_12
.LBB61_30:
	v_mov_b32_e32 v12, v8
	v_mov_b32_e32 v11, v7
	v_mov_b32_e32 v10, v6
	v_mov_b32_e32 v9, v5
	v_cmp_gt_i32_e32 vcc, s2, v14
	s_and_saveexec_b64 s[0:1], vcc
	s_cbranch_execz .LBB61_9
.LBB61_31:
	s_load_dword s6, s[4:5], 0xd4
	v_mov_b32_e32 v16, 1.0
	s_waitcnt lgkmcnt(0)
	s_cmp_lg_u32 s6, 1
	s_cselect_b64 s[0:1], -1, 0
	s_cmp_eq_u32 s6, 1
	s_cselect_b64 s[4:5], -1, 0
	s_and_b64 vcc, exec, s[0:1]
	s_cbranch_vccnz .LBB61_33
; %bb.32:
	v_div_scale_f32 v13, s[8:9], v5, v5, 1.0
	v_div_scale_f32 v16, vcc, 1.0, v5, 1.0
	v_rcp_f32_e32 v17, v13
	v_fma_f32 v18, -v13, v17, 1.0
	v_fmac_f32_e32 v17, v18, v17
	v_mul_f32_e32 v18, v16, v17
	v_fma_f32 v19, -v13, v18, v16
	v_fmac_f32_e32 v18, v19, v17
	v_fma_f32 v13, -v13, v18, v16
	v_div_fmas_f32 v13, v13, v17, v18
	v_div_fixup_f32 v16, v13, v5, 1.0
.LBB61_33:
	s_mul_i32 s33, s33, s2
	v_add_u32_e32 v5, s33, v14
	v_mul_lo_u32 v5, v5, s3
	v_cvt_f32_f16_sdwa v17, v43 dst_sel:DWORD dst_unused:UNUSED_PAD src0_sel:WORD_1
	v_cvt_f32_f16_e32 v22, v43
	v_cmp_eq_u32_e32 vcc, 0, v0
	v_add_u32_e32 v5, s28, v5
	v_mul_lo_u32 v5, s6, v5
	v_cvt_f32_f16_sdwa v0, v47 dst_sel:DWORD dst_unused:UNUSED_PAD src0_sel:WORD_1
	v_cvt_f32_f16_e32 v14, v47
	v_mul_f32_e32 v18, v16, v17
	v_add_u32_e32 v13, s7, v5
	v_lshl_add_u32 v21, v13, 8, v15
	v_mul_f32_e32 v17, v16, v22
	v_mov_b32_e32 v22, 0
	v_lshlrev_b64 v[23:24], 2, v[21:22]
	s_and_b64 s[2:3], vcc, s[0:1]
	v_mul_f32_e32 v20, v16, v0
	v_mov_b32_e32 v0, s21
	v_add_co_u32_e32 v23, vcc, s20, v23
	v_mul_f32_e32 v19, v16, v14
	v_addc_co_u32_e32 v24, vcc, v0, v24, vcc
	global_store_dwordx4 v[23:24], v[17:20], off
	v_cvt_f32_f16_sdwa v0, v46 dst_sel:DWORD dst_unused:UNUSED_PAD src0_sel:WORD_1
	v_cvt_f32_f16_e32 v5, v46
	v_cvt_f32_f16_sdwa v14, v45 dst_sel:DWORD dst_unused:UNUSED_PAD src0_sel:WORD_1
	v_cvt_f32_f16_e32 v20, v45
	v_add_u32_e32 v21, 0x80, v21
	v_mul_f32_e32 v19, v16, v0
	v_mul_f32_e32 v18, v16, v5
	;; [unrolled: 1-line block ×4, first 2 shown]
	v_lshlrev_b64 v[20:21], 2, v[21:22]
	v_mov_b32_e32 v0, s21
	v_add_co_u32_e32 v20, vcc, s20, v20
	v_addc_co_u32_e32 v21, vcc, v0, v21, vcc
	global_store_dwordx4 v[20:21], v[16:19], off
	s_and_saveexec_b64 s[0:1], s[2:3]
	s_cbranch_execz .LBB61_35
; %bb.34:
	v_ashrrev_i32_e32 v14, 31, v13
	v_lshlrev_b64 v[16:17], 3, v[13:14]
	v_mov_b32_e32 v0, s23
	v_add_co_u32_e32 v16, vcc, s22, v16
	v_addc_co_u32_e32 v17, vcc, v0, v17, vcc
	v_mov_b32_e32 v0, v1
	v_mov_b32_e32 v1, v9
	global_store_dwordx2 v[16:17], v[0:1], off
.LBB61_35:
	s_or_b64 exec, exec, s[0:1]
	v_cndmask_b32_e64 v0, 0, 1, s[4:5]
	v_cmp_ne_u32_e64 s[0:1], 1, v0
	s_andn2_b64 vcc, exec, s[4:5]
	v_mov_b32_e32 v1, 1.0
	s_cbranch_vccnz .LBB61_37
; %bb.36:
	v_div_scale_f32 v0, s[4:5], v6, v6, 1.0
	v_div_scale_f32 v1, vcc, 1.0, v6, 1.0
	v_rcp_f32_e32 v5, v0
	v_fma_f32 v9, -v0, v5, 1.0
	v_fmac_f32_e32 v5, v9, v5
	v_mul_f32_e32 v9, v1, v5
	v_fma_f32 v14, -v0, v9, v1
	v_fmac_f32_e32 v9, v14, v5
	v_fma_f32 v0, -v0, v9, v1
	v_div_fmas_f32 v0, v0, v5, v9
	v_div_fixup_f32 v1, v0, v6, 1.0
.LBB61_37:
	v_cvt_f32_f16_sdwa v6, v44 dst_sel:DWORD dst_unused:UNUSED_PAD src0_sel:WORD_1
	v_add_u32_e32 v0, s6, v13
	v_cvt_f32_f16_sdwa v13, v40 dst_sel:DWORD dst_unused:UNUSED_PAD src0_sel:WORD_1
	v_cvt_f32_f16_e32 v14, v40
	v_cvt_f32_f16_e32 v9, v44
	v_lshl_add_u32 v5, v0, 8, v15
	v_mul_f32_e32 v19, v1, v6
	v_mov_b32_e32 v6, 0
	v_mul_f32_e32 v17, v1, v13
	v_mul_f32_e32 v16, v1, v14
	v_lshlrev_b64 v[13:14], 2, v[5:6]
	v_mul_f32_e32 v18, v1, v9
	v_mov_b32_e32 v9, s21
	v_add_co_u32_e32 v13, vcc, s20, v13
	v_addc_co_u32_e32 v14, vcc, v9, v14, vcc
	global_store_dwordx4 v[13:14], v[16:19], off
	v_cvt_f32_f16_sdwa v9, v42 dst_sel:DWORD dst_unused:UNUSED_PAD src0_sel:WORD_1
	v_cvt_f32_f16_e32 v13, v42
	v_cvt_f32_f16_sdwa v14, v41 dst_sel:DWORD dst_unused:UNUSED_PAD src0_sel:WORD_1
	v_cvt_f32_f16_e32 v16, v41
	v_add_u32_e32 v5, 0x80, v5
	v_lshlrev_b64 v[5:6], 2, v[5:6]
	v_mul_f32_e32 v19, v1, v9
	v_mul_f32_e32 v18, v1, v13
	;; [unrolled: 1-line block ×4, first 2 shown]
	v_mov_b32_e32 v1, s21
	v_add_co_u32_e32 v5, vcc, s20, v5
	v_addc_co_u32_e32 v6, vcc, v1, v6, vcc
	global_store_dwordx4 v[5:6], v[16:19], off
	s_and_saveexec_b64 s[4:5], s[2:3]
	s_cbranch_execz .LBB61_39
; %bb.38:
	v_ashrrev_i32_e32 v1, 31, v0
	v_lshlrev_b64 v[5:6], 3, v[0:1]
	v_mov_b32_e32 v1, s23
	v_add_co_u32_e32 v5, vcc, s22, v5
	v_addc_co_u32_e32 v6, vcc, v1, v6, vcc
	v_mov_b32_e32 v9, v2
	global_store_dwordx2 v[5:6], v[9:10], off
.LBB61_39:
	s_or_b64 exec, exec, s[4:5]
	s_and_b64 vcc, exec, s[0:1]
	v_mov_b32_e32 v1, 1.0
	s_cbranch_vccnz .LBB61_41
; %bb.40:
	v_div_scale_f32 v1, s[4:5], v7, v7, 1.0
	v_div_scale_f32 v2, vcc, 1.0, v7, 1.0
	v_rcp_f32_e32 v5, v1
	v_fma_f32 v6, -v1, v5, 1.0
	v_fmac_f32_e32 v5, v6, v5
	v_mul_f32_e32 v6, v2, v5
	v_fma_f32 v9, -v1, v6, v2
	v_fmac_f32_e32 v6, v9, v5
	v_fma_f32 v1, -v1, v6, v2
	v_div_fmas_f32 v1, v1, v5, v6
	v_div_fixup_f32 v1, v1, v7, 1.0
.LBB61_41:
	v_cvt_f32_f16_e32 v6, v39
	v_cvt_f32_f16_e32 v9, v36
	v_add_u32_e32 v0, s6, v0
	v_cvt_f32_f16_sdwa v2, v39 dst_sel:DWORD dst_unused:UNUSED_PAD src0_sel:WORD_1
	v_lshl_add_u32 v5, v0, 8, v15
	v_cvt_f32_f16_sdwa v7, v36 dst_sel:DWORD dst_unused:UNUSED_PAD src0_sel:WORD_1
	v_mul_f32_e32 v18, v1, v6
	v_mov_b32_e32 v6, 0
	v_mul_f32_e32 v16, v1, v9
	v_lshlrev_b64 v[9:10], 2, v[5:6]
	v_mul_f32_e32 v19, v1, v2
	v_mov_b32_e32 v2, s21
	v_add_co_u32_e32 v9, vcc, s20, v9
	v_mul_f32_e32 v17, v1, v7
	v_addc_co_u32_e32 v10, vcc, v2, v10, vcc
	global_store_dwordx4 v[9:10], v[16:19], off
	v_cvt_f32_f16_sdwa v2, v38 dst_sel:DWORD dst_unused:UNUSED_PAD src0_sel:WORD_1
	v_cvt_f32_f16_e32 v7, v38
	v_cvt_f32_f16_sdwa v9, v37 dst_sel:DWORD dst_unused:UNUSED_PAD src0_sel:WORD_1
	v_cvt_f32_f16_e32 v10, v37
	v_add_u32_e32 v5, 0x80, v5
	v_mul_f32_e32 v19, v1, v2
	v_mul_f32_e32 v18, v1, v7
	;; [unrolled: 1-line block ×4, first 2 shown]
	v_lshlrev_b64 v[1:2], 2, v[5:6]
	v_mov_b32_e32 v5, s21
	v_add_co_u32_e32 v1, vcc, s20, v1
	v_addc_co_u32_e32 v2, vcc, v5, v2, vcc
	global_store_dwordx4 v[1:2], v[16:19], off
	s_and_saveexec_b64 s[4:5], s[2:3]
	s_cbranch_execz .LBB61_43
; %bb.42:
	v_ashrrev_i32_e32 v1, 31, v0
	v_lshlrev_b64 v[1:2], 3, v[0:1]
	v_mov_b32_e32 v5, s23
	v_add_co_u32_e32 v1, vcc, s22, v1
	v_addc_co_u32_e32 v2, vcc, v5, v2, vcc
	v_mov_b32_e32 v10, v3
	global_store_dwordx2 v[1:2], v[10:11], off
.LBB61_43:
	s_or_b64 exec, exec, s[4:5]
	s_and_b64 vcc, exec, s[0:1]
	v_mov_b32_e32 v1, 1.0
	s_cbranch_vccnz .LBB61_45
; %bb.44:
	v_div_scale_f32 v1, s[0:1], v8, v8, 1.0
	v_div_scale_f32 v2, vcc, 1.0, v8, 1.0
	v_rcp_f32_e32 v3, v1
	v_fma_f32 v5, -v1, v3, 1.0
	v_fmac_f32_e32 v3, v5, v3
	v_mul_f32_e32 v5, v2, v3
	v_fma_f32 v6, -v1, v5, v2
	v_fmac_f32_e32 v5, v6, v3
	v_fma_f32 v1, -v1, v5, v2
	v_div_fmas_f32 v1, v1, v3, v5
	v_div_fixup_f32 v1, v1, v8, 1.0
.LBB61_45:
	v_cvt_f32_f16_sdwa v3, v35 dst_sel:DWORD dst_unused:UNUSED_PAD src0_sel:WORD_1
	v_cvt_f32_f16_e32 v5, v35
	v_cvt_f32_f16_e32 v9, v34
	v_add_u32_e32 v0, s6, v0
	v_lshl_add_u32 v2, v0, 8, v15
	v_cvt_f32_f16_sdwa v6, v34 dst_sel:DWORD dst_unused:UNUSED_PAD src0_sel:WORD_1
	v_mul_f32_e32 v8, v1, v3
	v_mov_b32_e32 v3, 0
	v_mul_f32_e32 v7, v1, v5
	v_mul_f32_e32 v5, v1, v9
	v_lshlrev_b64 v[9:10], 2, v[2:3]
	v_mov_b32_e32 v11, s21
	v_add_co_u32_e32 v9, vcc, s20, v9
	v_mul_f32_e32 v6, v1, v6
	v_addc_co_u32_e32 v10, vcc, v11, v10, vcc
	global_store_dwordx4 v[9:10], v[5:8], off
	v_cvt_f32_f16_sdwa v9, v33 dst_sel:DWORD dst_unused:UNUSED_PAD src0_sel:WORD_1
	v_cvt_f32_f16_sdwa v5, v32 dst_sel:DWORD dst_unused:UNUSED_PAD src0_sel:WORD_1
	v_cvt_f32_f16_e32 v6, v32
	v_cvt_f32_f16_e32 v10, v33
	v_add_u32_e32 v2, 0x80, v2
	v_mul_f32_e32 v8, v1, v5
	v_mul_f32_e32 v7, v1, v6
	;; [unrolled: 1-line block ×4, first 2 shown]
	v_lshlrev_b64 v[1:2], 2, v[2:3]
	v_mov_b32_e32 v3, s21
	v_add_co_u32_e32 v1, vcc, s20, v1
	v_addc_co_u32_e32 v2, vcc, v3, v2, vcc
	global_store_dwordx4 v[1:2], v[5:8], off
	s_and_b64 exec, exec, s[2:3]
	s_cbranch_execz .LBB61_9
; %bb.46:
	v_ashrrev_i32_e32 v1, 31, v0
	v_lshlrev_b64 v[0:1], 3, v[0:1]
	v_mov_b32_e32 v2, s23
	v_add_co_u32_e32 v0, vcc, s22, v0
	v_addc_co_u32_e32 v1, vcc, v2, v1, vcc
	v_mov_b32_e32 v11, v4
	global_store_dwordx2 v[0:1], v[11:12], off
	s_endpgm
	.section	.rodata,"a",@progbits
	.p2align	6, 0x0
	.amdhsa_kernel _ZL15flash_attn_tileILi256ELi256ELi8ELi4ELb1EEvPKcS1_S1_S1_S1_PKiPfP15HIP_vector_typeIfLj2EEffffjfiS5_IjLj3EEiiiiiiiiiiiliiliiiiil
		.amdhsa_group_segment_fixed_size 27136
		.amdhsa_private_segment_fixed_size 0
		.amdhsa_kernarg_size 464
		.amdhsa_user_sgpr_count 6
		.amdhsa_user_sgpr_private_segment_buffer 1
		.amdhsa_user_sgpr_dispatch_ptr 0
		.amdhsa_user_sgpr_queue_ptr 0
		.amdhsa_user_sgpr_kernarg_segment_ptr 1
		.amdhsa_user_sgpr_dispatch_id 0
		.amdhsa_user_sgpr_flat_scratch_init 0
		.amdhsa_user_sgpr_private_segment_size 0
		.amdhsa_uses_dynamic_stack 0
		.amdhsa_system_sgpr_private_segment_wavefront_offset 0
		.amdhsa_system_sgpr_workgroup_id_x 1
		.amdhsa_system_sgpr_workgroup_id_y 1
		.amdhsa_system_sgpr_workgroup_id_z 1
		.amdhsa_system_sgpr_workgroup_info 0
		.amdhsa_system_vgpr_workitem_id 1
		.amdhsa_next_free_vgpr 96
		.amdhsa_next_free_sgpr 98
		.amdhsa_reserve_vcc 1
		.amdhsa_reserve_flat_scratch 0
		.amdhsa_float_round_mode_32 0
		.amdhsa_float_round_mode_16_64 0
		.amdhsa_float_denorm_mode_32 3
		.amdhsa_float_denorm_mode_16_64 3
		.amdhsa_dx10_clamp 1
		.amdhsa_ieee_mode 1
		.amdhsa_fp16_overflow 0
		.amdhsa_exception_fp_ieee_invalid_op 0
		.amdhsa_exception_fp_denorm_src 0
		.amdhsa_exception_fp_ieee_div_zero 0
		.amdhsa_exception_fp_ieee_overflow 0
		.amdhsa_exception_fp_ieee_underflow 0
		.amdhsa_exception_fp_ieee_inexact 0
		.amdhsa_exception_int_div_zero 0
	.end_amdhsa_kernel
	.section	.text._ZL15flash_attn_tileILi256ELi256ELi8ELi4ELb1EEvPKcS1_S1_S1_S1_PKiPfP15HIP_vector_typeIfLj2EEffffjfiS5_IjLj3EEiiiiiiiiiiiliiliiiiil,"axG",@progbits,_ZL15flash_attn_tileILi256ELi256ELi8ELi4ELb1EEvPKcS1_S1_S1_S1_PKiPfP15HIP_vector_typeIfLj2EEffffjfiS5_IjLj3EEiiiiiiiiiiiliiliiiiil,comdat
.Lfunc_end61:
	.size	_ZL15flash_attn_tileILi256ELi256ELi8ELi4ELb1EEvPKcS1_S1_S1_S1_PKiPfP15HIP_vector_typeIfLj2EEffffjfiS5_IjLj3EEiiiiiiiiiiiliiliiiiil, .Lfunc_end61-_ZL15flash_attn_tileILi256ELi256ELi8ELi4ELb1EEvPKcS1_S1_S1_S1_PKiPfP15HIP_vector_typeIfLj2EEffffjfiS5_IjLj3EEiiiiiiiiiiiliiliiiiil
                                        ; -- End function
	.set _ZL15flash_attn_tileILi256ELi256ELi8ELi4ELb1EEvPKcS1_S1_S1_S1_PKiPfP15HIP_vector_typeIfLj2EEffffjfiS5_IjLj3EEiiiiiiiiiiiliiliiiiil.num_vgpr, 96
	.set _ZL15flash_attn_tileILi256ELi256ELi8ELi4ELb1EEvPKcS1_S1_S1_S1_PKiPfP15HIP_vector_typeIfLj2EEffffjfiS5_IjLj3EEiiiiiiiiiiiliiliiiiil.num_agpr, 0
	.set _ZL15flash_attn_tileILi256ELi256ELi8ELi4ELb1EEvPKcS1_S1_S1_S1_PKiPfP15HIP_vector_typeIfLj2EEffffjfiS5_IjLj3EEiiiiiiiiiiiliiliiiiil.numbered_sgpr, 40
	.set _ZL15flash_attn_tileILi256ELi256ELi8ELi4ELb1EEvPKcS1_S1_S1_S1_PKiPfP15HIP_vector_typeIfLj2EEffffjfiS5_IjLj3EEiiiiiiiiiiiliiliiiiil.num_named_barrier, 0
	.set _ZL15flash_attn_tileILi256ELi256ELi8ELi4ELb1EEvPKcS1_S1_S1_S1_PKiPfP15HIP_vector_typeIfLj2EEffffjfiS5_IjLj3EEiiiiiiiiiiiliiliiiiil.private_seg_size, 0
	.set _ZL15flash_attn_tileILi256ELi256ELi8ELi4ELb1EEvPKcS1_S1_S1_S1_PKiPfP15HIP_vector_typeIfLj2EEffffjfiS5_IjLj3EEiiiiiiiiiiiliiliiiiil.uses_vcc, 1
	.set _ZL15flash_attn_tileILi256ELi256ELi8ELi4ELb1EEvPKcS1_S1_S1_S1_PKiPfP15HIP_vector_typeIfLj2EEffffjfiS5_IjLj3EEiiiiiiiiiiiliiliiiiil.uses_flat_scratch, 0
	.set _ZL15flash_attn_tileILi256ELi256ELi8ELi4ELb1EEvPKcS1_S1_S1_S1_PKiPfP15HIP_vector_typeIfLj2EEffffjfiS5_IjLj3EEiiiiiiiiiiiliiliiiiil.has_dyn_sized_stack, 0
	.set _ZL15flash_attn_tileILi256ELi256ELi8ELi4ELb1EEvPKcS1_S1_S1_S1_PKiPfP15HIP_vector_typeIfLj2EEffffjfiS5_IjLj3EEiiiiiiiiiiiliiliiiiil.has_recursion, 0
	.set _ZL15flash_attn_tileILi256ELi256ELi8ELi4ELb1EEvPKcS1_S1_S1_S1_PKiPfP15HIP_vector_typeIfLj2EEffffjfiS5_IjLj3EEiiiiiiiiiiiliiliiiiil.has_indirect_call, 0
	.section	.AMDGPU.csdata,"",@progbits
; Kernel info:
; codeLenInByte = 19144
; TotalNumSgprs: 44
; NumVgprs: 96
; ScratchSize: 0
; MemoryBound: 0
; FloatMode: 240
; IeeeMode: 1
; LDSByteSize: 27136 bytes/workgroup (compile time only)
; SGPRBlocks: 12
; VGPRBlocks: 23
; NumSGPRsForWavesPerEU: 102
; NumVGPRsForWavesPerEU: 96
; Occupancy: 2
; WaveLimiterHint : 1
; COMPUTE_PGM_RSRC2:SCRATCH_EN: 0
; COMPUTE_PGM_RSRC2:USER_SGPR: 6
; COMPUTE_PGM_RSRC2:TRAP_HANDLER: 0
; COMPUTE_PGM_RSRC2:TGID_X_EN: 1
; COMPUTE_PGM_RSRC2:TGID_Y_EN: 1
; COMPUTE_PGM_RSRC2:TGID_Z_EN: 1
; COMPUTE_PGM_RSRC2:TIDIG_COMP_CNT: 1
	.section	.text._ZL15flash_attn_tileILi256ELi256ELi4ELi4ELb1EEvPKcS1_S1_S1_S1_PKiPfP15HIP_vector_typeIfLj2EEffffjfiS5_IjLj3EEiiiiiiiiiiiliiliiiiil,"axG",@progbits,_ZL15flash_attn_tileILi256ELi256ELi4ELi4ELb1EEvPKcS1_S1_S1_S1_PKiPfP15HIP_vector_typeIfLj2EEffffjfiS5_IjLj3EEiiiiiiiiiiiliiliiiiil,comdat
	.globl	_ZL15flash_attn_tileILi256ELi256ELi4ELi4ELb1EEvPKcS1_S1_S1_S1_PKiPfP15HIP_vector_typeIfLj2EEffffjfiS5_IjLj3EEiiiiiiiiiiiliiliiiiil ; -- Begin function _ZL15flash_attn_tileILi256ELi256ELi4ELi4ELb1EEvPKcS1_S1_S1_S1_PKiPfP15HIP_vector_typeIfLj2EEffffjfiS5_IjLj3EEiiiiiiiiiiiliiliiiiil
	.p2align	8
	.type	_ZL15flash_attn_tileILi256ELi256ELi4ELi4ELb1EEvPKcS1_S1_S1_S1_PKiPfP15HIP_vector_typeIfLj2EEffffjfiS5_IjLj3EEiiiiiiiiiiiliiliiiiil,@function
_ZL15flash_attn_tileILi256ELi256ELi4ELi4ELb1EEvPKcS1_S1_S1_S1_PKiPfP15HIP_vector_typeIfLj2EEffffjfiS5_IjLj3EEiiiiiiiiiiiliiliiiiil: ; @_ZL15flash_attn_tileILi256ELi256ELi4ELi4ELb1EEvPKcS1_S1_S1_S1_PKiPfP15HIP_vector_typeIfLj2EEffffjfiS5_IjLj3EEiiiiiiiiiiiliiliiiiil
; %bb.0:
	s_load_dwordx4 s[0:3], s[4:5], 0x5c
	s_load_dwordx2 s[28:29], s[4:5], 0x80
	s_load_dwordx2 s[34:35], s[4:5], 0xb8
	s_mov_b64 s[30:31], 0
	s_waitcnt lgkmcnt(0)
	s_ashr_i32 s9, s3, 31
	s_lshr_b32 s9, s9, 30
	s_add_i32 s9, s3, s9
	s_ashr_i32 s9, s9, 2
	v_cvt_f32_u32_e32 v2, s9
	s_sub_i32 s10, 0, s9
	v_rcp_iflag_f32_e32 v2, v2
	v_mul_f32_e32 v2, 0x4f7ffffe, v2
	v_cvt_u32_f32_e32 v2, v2
	v_readfirstlane_b32 s11, v2
	s_mul_i32 s10, s10, s11
	s_mul_hi_u32 s10, s11, s10
	s_add_i32 s11, s11, s10
	s_mul_hi_u32 s10, s8, s11
	s_mul_i32 s11, s10, s9
	s_sub_i32 s11, s8, s11
	s_add_i32 s12, s10, 1
	s_sub_i32 s13, s11, s9
	s_cmp_ge_u32 s11, s9
	s_cselect_b32 s10, s12, s10
	s_cselect_b32 s11, s13, s11
	s_add_i32 s12, s10, 1
	s_cmp_ge_u32 s11, s9
	s_cselect_b32 s33, s12, s10
	s_abs_i32 s9, s29
	v_cvt_f32_u32_e32 v2, s9
	s_lshl_b32 s8, s8, 2
	s_mul_i32 s12, s33, s3
	s_xor_b32 s10, s3, s29
	v_rcp_iflag_f32_e32 v2, v2
	s_sub_i32 s13, 0, s9
	s_sub_i32 s29, s8, s12
	s_abs_i32 s11, s3
	v_mul_f32_e32 v2, 0x4f7ffffe, v2
	v_cvt_u32_f32_e32 v2, v2
	s_ashr_i32 s10, s10, 31
	v_readfirstlane_b32 s8, v2
	s_mul_i32 s13, s13, s8
	s_mul_hi_u32 s12, s8, s13
	s_add_i32 s8, s8, s12
	s_mul_hi_u32 s8, s11, s8
	s_mul_i32 s12, s8, s9
	s_sub_i32 s11, s11, s12
	s_add_i32 s13, s8, 1
	s_sub_i32 s12, s11, s9
	s_cmp_ge_u32 s11, s9
	s_cselect_b32 s8, s13, s8
	s_cselect_b32 s11, s12, s11
	s_add_i32 s12, s8, 1
	s_cmp_ge_u32 s11, s9
	s_cselect_b32 s8, s12, s8
	s_xor_b32 s8, s8, s10
	s_sub_i32 s37, s8, s10
	s_abs_i32 s36, s37
	v_cvt_f32_u32_e32 v2, s36
	s_load_dwordx16 s[8:23], s[4:5], 0x0
	v_rcp_iflag_f32_e32 v2, v2
	s_waitcnt lgkmcnt(0)
	s_cmp_eq_u64 s[14:15], 0
	v_mul_f32_e32 v2, 0x4f7ffffe, v2
	v_cvt_u32_f32_e32 v2, v2
	v_readfirstlane_b32 s24, v2
	s_cbranch_scc1 .LBB62_2
; %bb.1:
	s_abs_i32 s25, s34
	v_cvt_f32_u32_e32 v2, s25
	s_sub_i32 s34, 0, s25
	s_abs_i32 s31, s33
	s_ashr_i32 s30, s33, 31
	v_rcp_iflag_f32_e32 v2, v2
	s_load_dwordx2 s[26:27], s[4:5], 0xc8
	v_mul_f32_e32 v2, 0x4f7ffffe, v2
	v_cvt_u32_f32_e32 v2, v2
	v_readfirstlane_b32 s38, v2
	s_mul_i32 s34, s34, s38
	s_mul_hi_u32 s34, s38, s34
	s_add_i32 s38, s38, s34
	s_mul_hi_u32 s34, s31, s38
	s_mul_i32 s34, s34, s25
	s_sub_i32 s31, s31, s34
	s_sub_i32 s34, s31, s25
	s_cmp_ge_u32 s31, s25
	s_cselect_b32 s31, s34, s31
	s_sub_i32 s34, s31, s25
	s_cmp_ge_u32 s31, s25
	s_cselect_b32 s25, s34, s31
	s_xor_b32 s25, s25, s30
	s_sub_i32 s25, s25, s30
	s_ashr_i32 s30, s25, 31
	s_waitcnt lgkmcnt(0)
	s_mul_hi_u32 s31, s26, s25
	s_mul_i32 s30, s26, s30
	s_mul_i32 s27, s27, s25
	s_add_i32 s30, s31, s30
	s_add_i32 s27, s30, s27
	s_mul_i32 s25, s26, s25
	s_add_u32 s30, s14, s25
	s_addc_u32 s31, s15, s27
.LBB62_2:
	v_lshrrev_b32_e32 v2, 1, v1
	s_load_dwordx4 s[40:43], s[4:5], 0x70
	v_lshl_add_u32 v16, s6, 2, v2
	v_mul_hi_u32 v2, s0, v16
	v_lshlrev_b32_e32 v8, 4, v0
	s_waitcnt lgkmcnt(0)
	s_mul_i32 s0, s33, s42
	v_add_u32_e32 v2, v16, v2
	s_ashr_i32 s15, s0, 31
	v_lshrrev_b32_e32 v2, s1, v2
	s_mul_i32 s14, s29, s41
	s_add_u32 s0, s8, s0
	v_mul_lo_u32 v2, v2, s2
	s_addc_u32 s8, s9, s15
	s_ashr_i32 s9, s14, 31
	s_add_u32 s14, s0, s14
	s_addc_u32 s15, s8, s9
	s_ashr_i32 s1, s41, 31
	s_mov_b32 s0, s41
	s_ashr_i32 s41, s40, 31
	v_sub_u32_e32 v2, v16, v2
	s_lshr_b64 s[8:9], s[40:41], 2
	v_mad_u64_u32 v[4:5], s[8:9], s8, v2, 0
	s_lshr_b32 s8, s41, 2
	v_mov_b32_e32 v3, v5
	v_mad_u64_u32 v[5:6], s[8:9], s8, v2, v[3:4]
	v_lshlrev_b32_e32 v3, 1, v1
	v_or_b32_e32 v28, 1, v3
	v_lshlrev_b64 v[4:5], 2, v[4:5]
	s_lshr_b64 s[8:9], s[0:1], 2
	v_and_b32_e32 v10, 3, v28
	v_mov_b32_e32 v6, s15
	v_add_co_u32_e32 v7, vcc, s14, v4
	v_and_b32_e32 v17, 2, v3
	s_lshr_b32 s9, s1, 2
	v_mad_u64_u32 v[13:14], s[0:1], s8, v10, 0
	v_addc_co_u32_e32 v6, vcc, v6, v5, vcc
	v_mul_lo_u32 v9, s9, v17
	v_mad_u64_u32 v[4:5], s[0:1], s8, v17, 0
	v_add_co_u32_e32 v20, vcc, v7, v8
	v_addc_co_u32_e32 v21, vcc, 0, v6, vcc
	v_mov_b32_e32 v6, v14
	v_or_b32_e32 v5, v5, v9
	v_mad_u64_u32 v[14:15], s[0:1], s9, v10, v[6:7]
	v_lshlrev_b64 v[4:5], 2, v[4:5]
	s_load_dword s0, s[4:5], 0x40
	v_add_co_u32_e32 v18, vcc, v20, v4
	v_addc_co_u32_e32 v19, vcc, v21, v5, vcc
	v_lshlrev_b64 v[13:14], 2, v[13:14]
	global_load_dwordx4 v[5:8], v[18:19], off
	global_load_dwordx4 v[9:12], v[18:19], off offset:512
	v_add_co_u32_e32 v13, vcc, v20, v13
	v_addc_co_u32_e32 v14, vcc, v21, v14, vcc
	global_load_dwordx4 v[20:23], v[13:14], off
	global_load_dwordx4 v[24:27], v[13:14], off offset:512
	v_lshlrev_b32_e32 v19, 3, v0
	v_lshlrev_b32_e32 v4, 10, v1
	v_add_u32_e32 v13, 0x2200, v19
	v_add_u32_e32 v14, v13, v4
	v_lshl_add_u32 v13, v28, 9, v13
	s_cmp_eq_u64 s[18:19], 0
	s_waitcnt vmcnt(3) lgkmcnt(0)
	v_fma_mixlo_f16 v5, s0, v5, 0
	v_fma_mixlo_f16 v6, s0, v6, 0
	;; [unrolled: 1-line block ×4, first 2 shown]
	s_waitcnt vmcnt(2)
	v_fma_mixlo_f16 v9, s0, v9, 0
	v_fma_mixlo_f16 v10, s0, v10, 0
	v_fma_mixlo_f16 v11, s0, v11, 0
	v_fma_mixlo_f16 v12, s0, v12, 0
	v_lshlrev_b32_e32 v6, 16, v6
	v_and_b32_e32 v5, 0xffff, v5
	v_lshlrev_b32_e32 v8, 16, v8
	v_and_b32_e32 v7, 0xffff, v7
	;; [unrolled: 2-line block ×4, first 2 shown]
	v_or_b32_e32 v5, v6, v5
	v_or3_b32 v6, v8, v7, 0
	v_or_b32_e32 v7, v10, v9
	s_waitcnt vmcnt(1)
	v_fma_mixlo_f16 v15, s0, v20, 0
	v_fma_mixlo_f16 v18, s0, v21, 0
	v_fma_mixlo_f16 v20, s0, v22, 0
	v_fma_mixlo_f16 v21, s0, v23, 0
	s_waitcnt vmcnt(0)
	v_fma_mixlo_f16 v22, s0, v24, 0
	v_fma_mixlo_f16 v23, s0, v25, 0
	v_or3_b32 v8, v12, v11, 0
	v_or3_b32 v5, 0, 0, v5
	v_or3_b32 v7, 0, 0, v7
	v_lshlrev_b32_e32 v18, 16, v18
	v_and_b32_e32 v15, 0xffff, v15
	v_lshlrev_b32_e32 v23, 16, v23
	v_and_b32_e32 v22, 0xffff, v22
	ds_write2_b64 v14, v[5:6], v[7:8] offset1:32
	v_fma_mixlo_f16 v5, s0, v26, 0
	v_fma_mixlo_f16 v6, s0, v27, 0
	v_lshlrev_b32_e32 v21, 16, v21
	v_and_b32_e32 v20, 0xffff, v20
	v_or_b32_e32 v9, v18, v15
	v_or_b32_e32 v11, v23, v22
	v_lshlrev_b32_e32 v6, 16, v6
	v_and_b32_e32 v5, 0xffff, v5
	v_or3_b32 v10, v21, v20, 0
	v_or3_b32 v9, 0, 0, v9
	v_or3_b32 v6, v6, v5, 0
	v_or3_b32 v5, 0, 0, v11
	ds_write2_b64 v13, v[9:10], v[5:6] offset1:32
	s_waitcnt lgkmcnt(0)
	s_barrier
	s_cbranch_scc1 .LBB62_4
; %bb.3:
	s_load_dword s0, s[4:5], 0xd0
	s_mov_b32 s1, 0
	s_waitcnt lgkmcnt(0)
	s_mul_i32 s0, s0, s33
	s_add_i32 s0, s0, s6
	s_lshl_b64 s[0:1], s[0:1], 2
	s_add_u32 s0, s18, s0
	s_addc_u32 s1, s19, s1
	s_load_dword s28, s[0:1], 0x0
.LBB62_4:
	s_lshl_b32 s6, s7, 5
	v_lshlrev_b32_e32 v18, 2, v0
	s_waitcnt lgkmcnt(0)
	s_cmp_lt_i32 s6, s28
	v_mbcnt_lo_u32_b32 v14, -1, 0
	s_cbranch_scc1 .LBB62_10
; %bb.5:
	v_mbcnt_hi_u32_b32 v20, -1, v14
	v_and_b32_e32 v5, 0x60, v20
	v_add_u32_e32 v47, 32, v5
	v_xor_b32_e32 v48, 16, v20
	v_xor_b32_e32 v49, 8, v20
	;; [unrolled: 1-line block ×5, first 2 shown]
	s_cbranch_execz .LBB62_11
; %bb.6:
	v_mov_b32_e32 v36, 0
	v_mov_b32_e32 v54, 0
	;; [unrolled: 1-line block ×12, first 2 shown]
.LBB62_7:
	v_cmp_lt_i32_e32 vcc, v48, v47
	v_cndmask_b32_e32 v1, v20, v48, vcc
	v_lshlrev_b32_e32 v1, 2, v1
	ds_bpermute_b32 v2, v1, v53
	ds_bpermute_b32 v1, v1, v54
	v_cmp_lt_i32_e32 vcc, v49, v47
	v_cndmask_b32_e32 v3, v20, v49, vcc
	v_lshlrev_b32_e32 v3, 2, v3
	s_waitcnt lgkmcnt(1)
	v_add_f32_e32 v2, v53, v2
	s_waitcnt lgkmcnt(0)
	v_add_f32_e32 v1, v54, v1
	ds_bpermute_b32 v4, v3, v2
	ds_bpermute_b32 v3, v3, v1
	v_cmp_lt_i32_e32 vcc, v50, v47
	v_cndmask_b32_e32 v5, v20, v50, vcc
	v_lshlrev_b32_e32 v5, 2, v5
	s_waitcnt lgkmcnt(1)
	v_add_f32_e32 v2, v2, v4
	s_waitcnt lgkmcnt(0)
	v_add_f32_e32 v1, v1, v3
	;; [unrolled: 9-line block ×4, first 2 shown]
	ds_bpermute_b32 v4, v5, v2
	ds_bpermute_b32 v5, v5, v3
	s_cmp_lg_u64 s[16:17], 0
	s_cselect_b64 s[0:1], -1, 0
	s_cmp_eq_u32 s7, 0
	s_cselect_b64 s[8:9], -1, 0
	s_and_b64 s[0:1], s[8:9], s[0:1]
	s_waitcnt lgkmcnt(1)
	v_add_f32_e32 v1, v2, v4
	s_waitcnt lgkmcnt(0)
	v_add_f32_e32 v2, v3, v5
	s_and_b64 vcc, exec, s[0:1]
	s_cbranch_vccz .LBB62_22
; %bb.8:
	v_add_u32_e32 v3, s29, v17
	v_ashrrev_i32_e32 v4, 31, v3
	v_lshlrev_b64 v[3:4], 2, v[3:4]
	v_mov_b32_e32 v5, s17
	v_add_co_u32_e32 v3, vcc, s16, v3
	v_addc_co_u32_e32 v4, vcc, v5, v4, vcc
	global_load_dwordx2 v[3:4], v[3:4], off
	v_max_f32_e32 v5, v14, v14
	v_max_f32_e32 v6, v15, v15
	s_mov_b32 s0, 0x3fb8aa3b
	s_mov_b32 s1, 0xc2ce8ed0
	;; [unrolled: 1-line block ×3, first 2 shown]
	v_mov_b32_e32 v7, 0x7f800000
	s_waitcnt vmcnt(0)
	v_max_f32_e32 v8, v3, v3
	v_max_f32_e32 v9, v4, v4
	;; [unrolled: 1-line block ×4, first 2 shown]
	v_sub_f32_e32 v8, v14, v5
	v_sub_f32_e32 v9, v15, v6
	v_mov_b32_e32 v15, v6
	v_sub_f32_e32 v3, v3, v5
	v_mov_b32_e32 v14, v5
	v_mul_f32_e32 v5, 0x3fb8aa3b, v8
	v_sub_f32_e32 v4, v4, v6
	v_mul_f32_e32 v6, 0x3fb8aa3b, v3
	v_fma_f32 v12, v8, s0, -v5
	v_rndne_f32_e32 v13, v5
	v_mul_f32_e32 v10, 0x3fb8aa3b, v9
	v_fma_f32 v19, v3, s0, -v6
	v_rndne_f32_e32 v20, v6
	v_fmac_f32_e32 v12, 0x32a5705f, v8
	v_sub_f32_e32 v5, v5, v13
	v_mul_f32_e32 v11, 0x3fb8aa3b, v4
	v_fma_f32 v21, v9, s0, -v10
	v_rndne_f32_e32 v22, v10
	v_fmac_f32_e32 v19, 0x32a5705f, v3
	v_sub_f32_e32 v6, v6, v20
	v_add_f32_e32 v5, v5, v12
	v_fma_f32 v23, v4, s0, -v11
	v_rndne_f32_e32 v24, v11
	v_cvt_i32_f32_e32 v13, v13
	v_fmac_f32_e32 v21, 0x32a5705f, v9
	v_sub_f32_e32 v10, v10, v22
	v_add_f32_e32 v6, v6, v19
	v_exp_f32_e32 v5, v5
	v_cvt_i32_f32_e32 v20, v20
	v_fmac_f32_e32 v23, 0x32a5705f, v4
	v_sub_f32_e32 v11, v11, v24
	v_add_f32_e32 v10, v10, v21
	v_exp_f32_e32 v6, v6
	v_cvt_i32_f32_e32 v22, v22
	v_add_f32_e32 v11, v11, v23
	v_exp_f32_e32 v10, v10
	v_cvt_i32_f32_e32 v24, v24
	v_exp_f32_e32 v11, v11
	v_ldexp_f32 v5, v5, v13
	v_cmp_ngt_f32_e32 vcc, s1, v8
	v_ldexp_f32 v6, v6, v20
	v_cndmask_b32_e32 v5, 0, v5, vcc
	v_cmp_ngt_f32_e32 vcc, s1, v3
	v_ldexp_f32 v10, v10, v22
	v_cndmask_b32_e32 v6, 0, v6, vcc
	;; [unrolled: 3-line block ×3, first 2 shown]
	v_cmp_ngt_f32_e32 vcc, s1, v4
	v_cndmask_b32_e32 v11, 0, v11, vcc
	v_cmp_nlt_f32_e32 vcc, s6, v8
	v_cndmask_b32_e32 v5, v7, v5, vcc
	v_cmp_nlt_f32_e32 vcc, s6, v3
	;; [unrolled: 2-line block ×4, first 2 shown]
	v_cndmask_b32_e32 v4, v7, v11, vcc
	v_fmac_f32_e32 v3, v1, v5
	v_cvt_f16_f32_e32 v5, v5
	v_cvt_f16_f32_e32 v7, v6
	v_fmac_f32_e32 v4, v2, v6
	v_mov_b32_e32 v1, v3
	v_mul_u32_u24_e32 v2, 0x10001, v5
	v_mul_u32_u24_e32 v5, 0x10001, v7
	v_pk_mul_f16 v36, v36, v2
	v_pk_mul_f16 v42, v42, v2
	;; [unrolled: 1-line block ×8, first 2 shown]
	v_mov_b32_e32 v2, v4
	v_cmp_gt_i32_e32 vcc, s2, v16
	s_and_saveexec_b64 s[0:1], vcc
	s_cbranch_execnz .LBB62_23
.LBB62_9:
	s_endpgm
.LBB62_10:
                                        ; implicit-def: $vgpr20
                                        ; implicit-def: $vgpr47
                                        ; implicit-def: $vgpr48
                                        ; implicit-def: $vgpr49
                                        ; implicit-def: $vgpr50
                                        ; implicit-def: $vgpr51
                                        ; implicit-def: $vgpr52
.LBB62_11:
	s_sub_i32 s0, 0, s36
	s_mul_i32 s0, s0, s24
	s_mul_hi_u32 s0, s24, s0
	s_abs_i32 s19, s29
	s_add_i32 s24, s24, s0
	s_mul_hi_u32 s34, s19, s24
	s_load_dwordx4 s[24:27], s[4:5], 0x98
	s_load_dword s14, s[4:5], 0x54
	s_load_dwordx2 s[0:1], s[4:5], 0x8c
	s_ashr_i32 s38, s29, 31
	s_ashr_i32 s37, s37, 31
	s_waitcnt lgkmcnt(0)
	s_ashr_i32 s15, s26, 2
	s_ashr_i32 s26, s35, 1
	s_ashr_i32 s18, s0, 2
	s_ashr_i32 s0, s33, 31
	s_mul_hi_u32 s35, s24, s33
	s_mul_i32 s39, s24, s0
	s_add_i32 s35, s35, s39
	s_mul_i32 s25, s25, s33
	s_add_i32 s35, s35, s25
	s_mul_i32 s24, s24, s33
	s_add_u32 s10, s10, s24
	s_mul_i32 s25, s34, s36
	s_addc_u32 s11, s11, s35
	s_sub_i32 s19, s19, s25
	s_xor_b32 s24, s38, s37
	s_add_i32 s25, s34, 1
	s_sub_i32 s35, s19, s36
	s_cmp_ge_u32 s19, s36
	s_cselect_b32 s25, s25, s34
	s_cselect_b32 s19, s35, s19
	s_add_i32 s34, s25, 1
	s_cmp_ge_u32 s19, s36
	s_load_dwordx2 s[8:9], s[4:5], 0xa8
	s_cselect_b32 s19, s34, s25
	s_xor_b32 s19, s19, s24
	s_sub_i32 s19, s19, s24
	s_mul_i32 s1, s19, s1
	s_ashr_i32 s24, s1, 31
	s_add_u32 s10, s10, s1
	s_waitcnt lgkmcnt(0)
	s_mul_hi_u32 s1, s8, s33
	s_mul_i32 s0, s8, s0
	s_addc_u32 s11, s11, s24
	s_add_i32 s0, s1, s0
	s_mul_i32 s1, s9, s33
	s_add_i32 s0, s0, s1
	s_mul_i32 s1, s8, s33
	s_add_u32 s1, s12, s1
	s_mul_i32 s19, s19, s27
	s_addc_u32 s0, s13, s0
	s_ashr_i32 s8, s19, 31
	s_add_u32 s12, s1, s19
	v_lshrrev_b32_e32 v5, 4, v0
	v_and_b32_e32 v11, 60, v18
	s_addc_u32 s13, s0, s8
	v_add_u32_e32 v3, v5, v3
	v_lshlrev_b32_e32 v5, 2, v11
	s_movk_i32 s0, 0x110
	v_mul_lo_u32 v7, s18, v3
	v_mad_u32_u24 v21, v3, s0, v5
	v_mad_u64_u32 v[5:6], s[0:1], v2, s26, v[0:1]
	v_mul_lo_u32 v2, s15, v1
	v_lshl_add_u32 v9, s18, 4, v7
	v_mov_b32_e32 v3, 0x4200
	v_ashrrev_i32_e32 v8, 31, v7
	v_lshl_add_u32 v12, s15, 3, v2
	v_ashrrev_i32_e32 v10, 31, v9
	v_lshl_add_u32 v25, v1, 7, v3
	v_lshlrev_b32_e32 v26, 2, v18
	v_ashrrev_i32_e32 v3, 31, v2
	v_ashrrev_i32_e32 v13, 31, v12
	v_lshl_add_u32 v27, v1, 9, v26
	s_add_u32 s0, s4, 0xd0
	v_lshlrev_b64 v[6:7], 2, v[7:8]
	v_lshlrev_b32_e32 v29, 2, v11
	v_lshlrev_b64 v[8:9], 2, v[9:10]
	v_lshlrev_b64 v[10:11], 2, v[2:3]
	;; [unrolled: 1-line block ×3, first 2 shown]
	v_mov_b32_e32 v37, 0
	v_add_u32_e32 v22, 0x1100, v21
	v_mul_u32_u24_e32 v23, 0x110, v0
	v_add_u32_e32 v24, 0x2200, v4
	v_add_u32_e32 v28, 0x1000, v27
	s_addc_u32 s1, s5, 0
	v_mov_b32_e32 v45, 0xfeffffff
	v_mov_b32_e32 v30, s31
	s_mov_b32 s19, 0x3f200000
	s_mov_b32 s24, 0x3fb8aa3b
	;; [unrolled: 1-line block ×4, first 2 shown]
	v_mov_b32_e32 v31, 0xbd5c1c4e
	v_mov_b32_e32 v32, 0x3e088382
	v_mov_b32_e32 v33, 0xbeaaaa99
	s_brev_b32 s27, -2
	s_mov_b32 s31, 0x10001
	v_mov_b32_e32 v34, 0x7f800000
	v_mbcnt_hi_u32_b32 v20, -1, v14
	v_mov_b32_e32 v38, 0
	v_mov_b32_e32 v39, 0
	;; [unrolled: 1-line block ×10, first 2 shown]
.LBB62_12:                              ; =>This Inner Loop Header: Depth=1
	s_mul_hi_i32 s9, s6, s18
	s_mul_i32 s8, s6, s18
	s_lshl_b64 s[8:9], s[8:9], 2
	s_add_u32 s8, s10, s8
	s_addc_u32 s9, s11, s9
	v_mov_b32_e32 v1, s9
	v_add_co_u32_e32 v2, vcc, s8, v6
	v_addc_co_u32_e32 v3, vcc, v1, v7, vcc
	v_add_co_u32_e32 v1, vcc, v2, v29
	v_addc_co_u32_e32 v2, vcc, 0, v3, vcc
	v_mov_b32_e32 v3, s9
	v_add_co_u32_e32 v4, vcc, s8, v8
	v_addc_co_u32_e32 v14, vcc, v3, v9, vcc
	v_add_co_u32_e32 v3, vcc, v4, v29
	v_addc_co_u32_e32 v4, vcc, 0, v14, vcc
	global_load_dwordx4 v[47:50], v[1:2], off
	global_load_dwordx4 v[51:54], v[3:4], off
	v_mov_b32_e32 v14, 0
	v_mov_b32_e32 v15, 0
	s_waitcnt vmcnt(1)
	ds_write_b128 v21, v[47:50]
	s_waitcnt vmcnt(0)
	ds_write_b128 v22, v[51:54]
	s_waitcnt lgkmcnt(0)
	s_barrier
	ds_read_b128 v[47:50], v23
	ds_read_b128 v[51:54], v24
	ds_read_b128 v[55:58], v24 offset:512
	s_waitcnt lgkmcnt(1)
	;;#ASMSTART
	v_dot2_f32_f16 v14, v47, v51, v14
	;;#ASMEND
	;;#ASMSTART
	v_dot2_f32_f16 v14, v48, v52, v14
	;;#ASMEND
	;;#ASMSTART
	v_dot2_f32_f16 v14, v49, v53, v14
	;;#ASMEND
	;;#ASMSTART
	v_dot2_f32_f16 v14, v50, v54, v14
	;;#ASMEND
	s_waitcnt lgkmcnt(0)
	;;#ASMSTART
	v_dot2_f32_f16 v15, v47, v55, v15
	;;#ASMEND
	;;#ASMSTART
	v_dot2_f32_f16 v15, v48, v56, v15
	;;#ASMEND
	;;#ASMSTART
	v_dot2_f32_f16 v15, v49, v57, v15
	;;#ASMEND
	;;#ASMSTART
	v_dot2_f32_f16 v15, v50, v58, v15
	;;#ASMEND
	ds_read_b128 v[47:50], v23 offset:16
	ds_read_b128 v[51:54], v24 offset:16
	ds_read_b128 v[55:58], v24 offset:528
	s_waitcnt lgkmcnt(1)
	;;#ASMSTART
	v_dot2_f32_f16 v14, v47, v51, v14
	;;#ASMEND
	;;#ASMSTART
	v_dot2_f32_f16 v14, v48, v52, v14
	;;#ASMEND
	;;#ASMSTART
	v_dot2_f32_f16 v14, v49, v53, v14
	;;#ASMEND
	;;#ASMSTART
	v_dot2_f32_f16 v14, v50, v54, v14
	;;#ASMEND
	s_waitcnt lgkmcnt(0)
	;;#ASMSTART
	v_dot2_f32_f16 v15, v47, v55, v15
	;;#ASMEND
	;;#ASMSTART
	v_dot2_f32_f16 v15, v48, v56, v15
	;;#ASMEND
	;;#ASMSTART
	v_dot2_f32_f16 v15, v49, v57, v15
	;;#ASMEND
	;;#ASMSTART
	v_dot2_f32_f16 v15, v50, v58, v15
	;;#ASMEND
	ds_read_b128 v[47:50], v23 offset:32
	ds_read_b128 v[51:54], v24 offset:32
	;; [unrolled: 29-line block ×15, first 2 shown]
	ds_read_b128 v[55:58], v24 offset:752
	s_waitcnt lgkmcnt(1)
	;;#ASMSTART
	v_dot2_f32_f16 v14, v47, v51, v14
	;;#ASMEND
	;;#ASMSTART
	v_dot2_f32_f16 v14, v48, v52, v14
	;;#ASMEND
	;; [unrolled: 3-line block ×4, first 2 shown]
	s_waitcnt lgkmcnt(0)
	;;#ASMSTART
	v_dot2_f32_f16 v15, v47, v55, v15
	;;#ASMEND
	;;#ASMSTART
	v_dot2_f32_f16 v15, v48, v56, v15
	;;#ASMEND
	;; [unrolled: 3-line block ×4, first 2 shown]
	s_barrier
	global_load_dwordx4 v[47:50], v[1:2], off offset:256
	global_load_dwordx4 v[51:54], v[3:4], off offset:256
	s_waitcnt vmcnt(1)
	ds_write_b128 v21, v[47:50]
	s_waitcnt vmcnt(0)
	ds_write_b128 v22, v[51:54]
	s_waitcnt lgkmcnt(0)
	s_barrier
	ds_read_b128 v[1:4], v23
	ds_read_b128 v[47:50], v24 offset:256
	ds_read_b128 v[51:54], v24 offset:768
	s_waitcnt lgkmcnt(1)
	;;#ASMSTART
	v_dot2_f32_f16 v14, v1, v47, v14
	;;#ASMEND
	;;#ASMSTART
	v_dot2_f32_f16 v14, v2, v48, v14
	;;#ASMEND
	;;#ASMSTART
	v_dot2_f32_f16 v14, v3, v49, v14
	;;#ASMEND
	;;#ASMSTART
	v_dot2_f32_f16 v14, v4, v50, v14
	;;#ASMEND
	s_waitcnt lgkmcnt(0)
	;;#ASMSTART
	v_dot2_f32_f16 v15, v1, v51, v15
	;;#ASMEND
	;;#ASMSTART
	v_dot2_f32_f16 v15, v2, v52, v15
	;;#ASMEND
	;;#ASMSTART
	v_dot2_f32_f16 v15, v3, v53, v15
	;;#ASMEND
	;;#ASMSTART
	v_dot2_f32_f16 v15, v4, v54, v15
	;;#ASMEND
	ds_read_b128 v[1:4], v23 offset:16
	ds_read_b128 v[47:50], v24 offset:272
	ds_read_b128 v[51:54], v24 offset:784
	s_waitcnt lgkmcnt(1)
	;;#ASMSTART
	v_dot2_f32_f16 v14, v1, v47, v14
	;;#ASMEND
	;;#ASMSTART
	v_dot2_f32_f16 v14, v2, v48, v14
	;;#ASMEND
	;;#ASMSTART
	v_dot2_f32_f16 v14, v3, v49, v14
	;;#ASMEND
	;;#ASMSTART
	v_dot2_f32_f16 v14, v4, v50, v14
	;;#ASMEND
	s_waitcnt lgkmcnt(0)
	;;#ASMSTART
	v_dot2_f32_f16 v15, v1, v51, v15
	;;#ASMEND
	;;#ASMSTART
	v_dot2_f32_f16 v15, v2, v52, v15
	;;#ASMEND
	;;#ASMSTART
	v_dot2_f32_f16 v15, v3, v53, v15
	;;#ASMEND
	;;#ASMSTART
	v_dot2_f32_f16 v15, v4, v54, v15
	;;#ASMEND
	ds_read_b128 v[1:4], v23 offset:32
	ds_read_b128 v[47:50], v24 offset:288
	ds_read_b128 v[51:54], v24 offset:800
	s_waitcnt lgkmcnt(1)
	;;#ASMSTART
	v_dot2_f32_f16 v14, v1, v47, v14
	;;#ASMEND
	;;#ASMSTART
	v_dot2_f32_f16 v14, v2, v48, v14
	;;#ASMEND
	;;#ASMSTART
	v_dot2_f32_f16 v14, v3, v49, v14
	;;#ASMEND
	;;#ASMSTART
	v_dot2_f32_f16 v14, v4, v50, v14
	;;#ASMEND
	s_waitcnt lgkmcnt(0)
	;;#ASMSTART
	v_dot2_f32_f16 v15, v1, v51, v15
	;;#ASMEND
	;;#ASMSTART
	v_dot2_f32_f16 v15, v2, v52, v15
	;;#ASMEND
	;;#ASMSTART
	v_dot2_f32_f16 v15, v3, v53, v15
	;;#ASMEND
	;;#ASMSTART
	v_dot2_f32_f16 v15, v4, v54, v15
	;;#ASMEND
	ds_read_b128 v[1:4], v23 offset:48
	ds_read_b128 v[47:50], v24 offset:304
	ds_read_b128 v[51:54], v24 offset:816
	s_waitcnt lgkmcnt(1)
	;;#ASMSTART
	v_dot2_f32_f16 v14, v1, v47, v14
	;;#ASMEND
	;;#ASMSTART
	v_dot2_f32_f16 v14, v2, v48, v14
	;;#ASMEND
	;;#ASMSTART
	v_dot2_f32_f16 v14, v3, v49, v14
	;;#ASMEND
	;;#ASMSTART
	v_dot2_f32_f16 v14, v4, v50, v14
	;;#ASMEND
	s_waitcnt lgkmcnt(0)
	;;#ASMSTART
	v_dot2_f32_f16 v15, v1, v51, v15
	;;#ASMEND
	;;#ASMSTART
	v_dot2_f32_f16 v15, v2, v52, v15
	;;#ASMEND
	;;#ASMSTART
	v_dot2_f32_f16 v15, v3, v53, v15
	;;#ASMEND
	;;#ASMSTART
	v_dot2_f32_f16 v15, v4, v54, v15
	;;#ASMEND
	ds_read_b128 v[1:4], v23 offset:64
	ds_read_b128 v[47:50], v24 offset:320
	ds_read_b128 v[51:54], v24 offset:832
	s_waitcnt lgkmcnt(1)
	;;#ASMSTART
	v_dot2_f32_f16 v14, v1, v47, v14
	;;#ASMEND
	;;#ASMSTART
	v_dot2_f32_f16 v14, v2, v48, v14
	;;#ASMEND
	;;#ASMSTART
	v_dot2_f32_f16 v14, v3, v49, v14
	;;#ASMEND
	;;#ASMSTART
	v_dot2_f32_f16 v14, v4, v50, v14
	;;#ASMEND
	s_waitcnt lgkmcnt(0)
	;;#ASMSTART
	v_dot2_f32_f16 v15, v1, v51, v15
	;;#ASMEND
	;;#ASMSTART
	v_dot2_f32_f16 v15, v2, v52, v15
	;;#ASMEND
	;;#ASMSTART
	v_dot2_f32_f16 v15, v3, v53, v15
	;;#ASMEND
	;;#ASMSTART
	v_dot2_f32_f16 v15, v4, v54, v15
	;;#ASMEND
	ds_read_b128 v[1:4], v23 offset:80
	ds_read_b128 v[47:50], v24 offset:336
	ds_read_b128 v[51:54], v24 offset:848
	s_waitcnt lgkmcnt(1)
	;;#ASMSTART
	v_dot2_f32_f16 v14, v1, v47, v14
	;;#ASMEND
	;;#ASMSTART
	v_dot2_f32_f16 v14, v2, v48, v14
	;;#ASMEND
	;;#ASMSTART
	v_dot2_f32_f16 v14, v3, v49, v14
	;;#ASMEND
	;;#ASMSTART
	v_dot2_f32_f16 v14, v4, v50, v14
	;;#ASMEND
	s_waitcnt lgkmcnt(0)
	;;#ASMSTART
	v_dot2_f32_f16 v15, v1, v51, v15
	;;#ASMEND
	;;#ASMSTART
	v_dot2_f32_f16 v15, v2, v52, v15
	;;#ASMEND
	;;#ASMSTART
	v_dot2_f32_f16 v15, v3, v53, v15
	;;#ASMEND
	;;#ASMSTART
	v_dot2_f32_f16 v15, v4, v54, v15
	;;#ASMEND
	ds_read_b128 v[1:4], v23 offset:96
	ds_read_b128 v[47:50], v24 offset:352
	ds_read_b128 v[51:54], v24 offset:864
	s_waitcnt lgkmcnt(1)
	;;#ASMSTART
	v_dot2_f32_f16 v14, v1, v47, v14
	;;#ASMEND
	;;#ASMSTART
	v_dot2_f32_f16 v14, v2, v48, v14
	;;#ASMEND
	;;#ASMSTART
	v_dot2_f32_f16 v14, v3, v49, v14
	;;#ASMEND
	;;#ASMSTART
	v_dot2_f32_f16 v14, v4, v50, v14
	;;#ASMEND
	s_waitcnt lgkmcnt(0)
	;;#ASMSTART
	v_dot2_f32_f16 v15, v1, v51, v15
	;;#ASMEND
	;;#ASMSTART
	v_dot2_f32_f16 v15, v2, v52, v15
	;;#ASMEND
	;;#ASMSTART
	v_dot2_f32_f16 v15, v3, v53, v15
	;;#ASMEND
	;;#ASMSTART
	v_dot2_f32_f16 v15, v4, v54, v15
	;;#ASMEND
	ds_read_b128 v[1:4], v23 offset:112
	ds_read_b128 v[47:50], v24 offset:368
	ds_read_b128 v[51:54], v24 offset:880
	s_waitcnt lgkmcnt(1)
	;;#ASMSTART
	v_dot2_f32_f16 v14, v1, v47, v14
	;;#ASMEND
	;;#ASMSTART
	v_dot2_f32_f16 v14, v2, v48, v14
	;;#ASMEND
	;;#ASMSTART
	v_dot2_f32_f16 v14, v3, v49, v14
	;;#ASMEND
	;;#ASMSTART
	v_dot2_f32_f16 v14, v4, v50, v14
	;;#ASMEND
	s_waitcnt lgkmcnt(0)
	;;#ASMSTART
	v_dot2_f32_f16 v15, v1, v51, v15
	;;#ASMEND
	;;#ASMSTART
	v_dot2_f32_f16 v15, v2, v52, v15
	;;#ASMEND
	;;#ASMSTART
	v_dot2_f32_f16 v15, v3, v53, v15
	;;#ASMEND
	;;#ASMSTART
	v_dot2_f32_f16 v15, v4, v54, v15
	;;#ASMEND
	ds_read_b128 v[1:4], v23 offset:128
	ds_read_b128 v[47:50], v24 offset:384
	ds_read_b128 v[51:54], v24 offset:896
	s_waitcnt lgkmcnt(1)
	;;#ASMSTART
	v_dot2_f32_f16 v14, v1, v47, v14
	;;#ASMEND
	;;#ASMSTART
	v_dot2_f32_f16 v14, v2, v48, v14
	;;#ASMEND
	;;#ASMSTART
	v_dot2_f32_f16 v14, v3, v49, v14
	;;#ASMEND
	;;#ASMSTART
	v_dot2_f32_f16 v14, v4, v50, v14
	;;#ASMEND
	s_waitcnt lgkmcnt(0)
	;;#ASMSTART
	v_dot2_f32_f16 v15, v1, v51, v15
	;;#ASMEND
	;;#ASMSTART
	v_dot2_f32_f16 v15, v2, v52, v15
	;;#ASMEND
	;;#ASMSTART
	v_dot2_f32_f16 v15, v3, v53, v15
	;;#ASMEND
	;;#ASMSTART
	v_dot2_f32_f16 v15, v4, v54, v15
	;;#ASMEND
	ds_read_b128 v[1:4], v23 offset:144
	ds_read_b128 v[47:50], v24 offset:400
	ds_read_b128 v[51:54], v24 offset:912
	s_waitcnt lgkmcnt(1)
	;;#ASMSTART
	v_dot2_f32_f16 v14, v1, v47, v14
	;;#ASMEND
	;;#ASMSTART
	v_dot2_f32_f16 v14, v2, v48, v14
	;;#ASMEND
	;;#ASMSTART
	v_dot2_f32_f16 v14, v3, v49, v14
	;;#ASMEND
	;;#ASMSTART
	v_dot2_f32_f16 v14, v4, v50, v14
	;;#ASMEND
	s_waitcnt lgkmcnt(0)
	;;#ASMSTART
	v_dot2_f32_f16 v15, v1, v51, v15
	;;#ASMEND
	;;#ASMSTART
	v_dot2_f32_f16 v15, v2, v52, v15
	;;#ASMEND
	;;#ASMSTART
	v_dot2_f32_f16 v15, v3, v53, v15
	;;#ASMEND
	;;#ASMSTART
	v_dot2_f32_f16 v15, v4, v54, v15
	;;#ASMEND
	ds_read_b128 v[1:4], v23 offset:160
	ds_read_b128 v[47:50], v24 offset:416
	ds_read_b128 v[51:54], v24 offset:928
	s_waitcnt lgkmcnt(1)
	;;#ASMSTART
	v_dot2_f32_f16 v14, v1, v47, v14
	;;#ASMEND
	;;#ASMSTART
	v_dot2_f32_f16 v14, v2, v48, v14
	;;#ASMEND
	;;#ASMSTART
	v_dot2_f32_f16 v14, v3, v49, v14
	;;#ASMEND
	;;#ASMSTART
	v_dot2_f32_f16 v14, v4, v50, v14
	;;#ASMEND
	s_waitcnt lgkmcnt(0)
	;;#ASMSTART
	v_dot2_f32_f16 v15, v1, v51, v15
	;;#ASMEND
	;;#ASMSTART
	v_dot2_f32_f16 v15, v2, v52, v15
	;;#ASMEND
	;;#ASMSTART
	v_dot2_f32_f16 v15, v3, v53, v15
	;;#ASMEND
	;;#ASMSTART
	v_dot2_f32_f16 v15, v4, v54, v15
	;;#ASMEND
	ds_read_b128 v[1:4], v23 offset:176
	ds_read_b128 v[47:50], v24 offset:432
	ds_read_b128 v[51:54], v24 offset:944
	s_waitcnt lgkmcnt(1)
	;;#ASMSTART
	v_dot2_f32_f16 v14, v1, v47, v14
	;;#ASMEND
	;;#ASMSTART
	v_dot2_f32_f16 v14, v2, v48, v14
	;;#ASMEND
	;;#ASMSTART
	v_dot2_f32_f16 v14, v3, v49, v14
	;;#ASMEND
	;;#ASMSTART
	v_dot2_f32_f16 v14, v4, v50, v14
	;;#ASMEND
	s_waitcnt lgkmcnt(0)
	;;#ASMSTART
	v_dot2_f32_f16 v15, v1, v51, v15
	;;#ASMEND
	;;#ASMSTART
	v_dot2_f32_f16 v15, v2, v52, v15
	;;#ASMEND
	;;#ASMSTART
	v_dot2_f32_f16 v15, v3, v53, v15
	;;#ASMEND
	;;#ASMSTART
	v_dot2_f32_f16 v15, v4, v54, v15
	;;#ASMEND
	ds_read_b128 v[1:4], v23 offset:192
	ds_read_b128 v[47:50], v24 offset:448
	ds_read_b128 v[51:54], v24 offset:960
	s_waitcnt lgkmcnt(1)
	;;#ASMSTART
	v_dot2_f32_f16 v14, v1, v47, v14
	;;#ASMEND
	;;#ASMSTART
	v_dot2_f32_f16 v14, v2, v48, v14
	;;#ASMEND
	;;#ASMSTART
	v_dot2_f32_f16 v14, v3, v49, v14
	;;#ASMEND
	;;#ASMSTART
	v_dot2_f32_f16 v14, v4, v50, v14
	;;#ASMEND
	s_waitcnt lgkmcnt(0)
	;;#ASMSTART
	v_dot2_f32_f16 v15, v1, v51, v15
	;;#ASMEND
	;;#ASMSTART
	v_dot2_f32_f16 v15, v2, v52, v15
	;;#ASMEND
	;;#ASMSTART
	v_dot2_f32_f16 v15, v3, v53, v15
	;;#ASMEND
	;;#ASMSTART
	v_dot2_f32_f16 v15, v4, v54, v15
	;;#ASMEND
	ds_read_b128 v[1:4], v23 offset:208
	ds_read_b128 v[47:50], v24 offset:464
	ds_read_b128 v[51:54], v24 offset:976
	s_waitcnt lgkmcnt(1)
	;;#ASMSTART
	v_dot2_f32_f16 v14, v1, v47, v14
	;;#ASMEND
	;;#ASMSTART
	v_dot2_f32_f16 v14, v2, v48, v14
	;;#ASMEND
	;;#ASMSTART
	v_dot2_f32_f16 v14, v3, v49, v14
	;;#ASMEND
	;;#ASMSTART
	v_dot2_f32_f16 v14, v4, v50, v14
	;;#ASMEND
	s_waitcnt lgkmcnt(0)
	;;#ASMSTART
	v_dot2_f32_f16 v15, v1, v51, v15
	;;#ASMEND
	;;#ASMSTART
	v_dot2_f32_f16 v15, v2, v52, v15
	;;#ASMEND
	;;#ASMSTART
	v_dot2_f32_f16 v15, v3, v53, v15
	;;#ASMEND
	;;#ASMSTART
	v_dot2_f32_f16 v15, v4, v54, v15
	;;#ASMEND
	ds_read_b128 v[1:4], v23 offset:224
	ds_read_b128 v[47:50], v24 offset:480
	v_add_u32_e32 v51, s6, v5
	v_ashrrev_i32_e32 v52, 31, v51
	v_lshlrev_b64 v[55:56], 1, v[51:52]
	ds_read_b128 v[51:54], v24 offset:992
	s_waitcnt lgkmcnt(1)
	;;#ASMSTART
	v_dot2_f32_f16 v14, v1, v47, v14
	;;#ASMEND
	;;#ASMSTART
	v_dot2_f32_f16 v14, v2, v48, v14
	;;#ASMEND
	;; [unrolled: 3-line block ×4, first 2 shown]
	s_waitcnt lgkmcnt(0)
	;;#ASMSTART
	v_dot2_f32_f16 v15, v1, v51, v15
	;;#ASMEND
	;;#ASMSTART
	v_dot2_f32_f16 v15, v2, v52, v15
	;;#ASMEND
	;; [unrolled: 3-line block ×4, first 2 shown]
	ds_read_b128 v[1:4], v23 offset:240
	ds_read_b128 v[47:50], v24 offset:496
	;; [unrolled: 1-line block ×3, first 2 shown]
	s_waitcnt lgkmcnt(1)
	;;#ASMSTART
	v_dot2_f32_f16 v14, v1, v47, v14
	;;#ASMEND
	;;#ASMSTART
	v_dot2_f32_f16 v14, v2, v48, v14
	;;#ASMEND
	;; [unrolled: 3-line block ×4, first 2 shown]
	s_waitcnt lgkmcnt(0)
	;;#ASMSTART
	v_dot2_f32_f16 v15, v1, v51, v15
	;;#ASMEND
	v_add_co_u32_e32 v55, vcc, s30, v55
	;;#ASMSTART
	v_dot2_f32_f16 v15, v2, v52, v15
	;;#ASMEND
	v_addc_co_u32_e32 v56, vcc, v30, v56, vcc
	;;#ASMSTART
	v_dot2_f32_f16 v15, v3, v53, v15
	;;#ASMEND
	;;#ASMSTART
	v_dot2_f32_f16 v15, v4, v54, v15
	;;#ASMEND
	global_load_ushort v1, v[55:56], off
	v_cmp_nlt_f32_e64 s[8:9], |v14|, s19
                                        ; implicit-def: $vgpr2
	s_and_saveexec_b64 s[34:35], s[8:9]
	s_xor_b64 s[8:9], exec, s[34:35]
	s_cbranch_execz .LBB62_14
; %bb.13:                               ;   in Loop: Header=BB62_12 Depth=1
	v_add_f32_e64 v2, |v14|, |v14|
	v_mul_f32_e32 v3, 0x3fb8aa3b, v2
	v_rndne_f32_e32 v4, v3
	v_sub_f32_e32 v47, v3, v4
	v_fma_f32 v3, v2, s24, -v3
	v_fmac_f32_e32 v3, 0x32a5705f, v2
	v_add_f32_e32 v3, v47, v3
	v_cvt_i32_f32_e32 v4, v4
	v_exp_f32_e32 v3, v3
	v_cmp_ngt_f32_e32 vcc, s25, v2
	v_ldexp_f32 v3, v3, v4
	v_cndmask_b32_e32 v3, 0, v3, vcc
	v_cmp_nlt_f32_e32 vcc, s26, v2
	v_cndmask_b32_e32 v2, v34, v3, vcc
	v_add_f32_e32 v2, 1.0, v2
	v_rcp_f32_e32 v2, v2
	v_fma_f32 v2, v2, -2.0, 1.0
.LBB62_14:                              ;   in Loop: Header=BB62_12 Depth=1
	s_andn2_saveexec_b64 s[8:9], s[8:9]
; %bb.15:                               ;   in Loop: Header=BB62_12 Depth=1
	v_mul_f32_e32 v2, v14, v14
	v_mov_b32_e32 v3, 0x3ca908c9
	v_fmac_f32_e32 v3, 0xbbbac73d, v2
	v_fma_f32 v3, v2, v3, v31
	v_fma_f32 v3, v2, v3, v32
	;; [unrolled: 1-line block ×3, first 2 shown]
	v_mul_f32_e64 v3, |v14|, v3
	v_fma_f32 v2, v2, v3, |v14|
; %bb.16:                               ;   in Loop: Header=BB62_12 Depth=1
	s_or_b64 exec, exec, s[8:9]
	v_and_b32_e32 v3, 0x60, v20
	v_add_u32_e32 v47, 32, v3
	v_xor_b32_e32 v48, 16, v20
	v_bfi_b32 v2, s27, v2, v14
	v_cmp_lt_i32_e32 vcc, v48, v47
	s_waitcnt vmcnt(0)
	v_fma_mix_f32 v2, s14, v2, v1 op_sel_hi:[0,0,1]
	v_cndmask_b32_e32 v3, v20, v48, vcc
	v_add_f32_e32 v4, 0x40051340, v2
	v_max_f32_e32 v14, v45, v45
	v_lshlrev_b32_e32 v3, 2, v3
	v_max_f32_e32 v14, v14, v4
	ds_bpermute_b32 v50, v3, v14
	v_xor_b32_e32 v49, 8, v20
	v_cmp_lt_i32_e32 vcc, v49, v47
	v_cndmask_b32_e32 v4, v20, v49, vcc
	v_lshlrev_b32_e32 v4, 2, v4
	s_waitcnt lgkmcnt(0)
	v_max_f32_e32 v50, v50, v50
	v_max_f32_e32 v14, v14, v50
	ds_bpermute_b32 v51, v4, v14
	v_xor_b32_e32 v50, 4, v20
	v_cmp_lt_i32_e32 vcc, v50, v47
	v_cndmask_b32_e32 v52, v20, v50, vcc
	v_lshlrev_b32_e32 v53, 2, v52
	s_waitcnt lgkmcnt(0)
	v_max_f32_e32 v51, v51, v51
	;; [unrolled: 8-line block ×4, first 2 shown]
	v_max_f32_e32 v14, v14, v56
	ds_bpermute_b32 v56, v55, v14
	v_cmp_nlt_f32_e64 s[8:9], |v15|, s19
                                        ; implicit-def: $vgpr57
	s_and_saveexec_b64 s[34:35], s[8:9]
	s_xor_b64 s[8:9], exec, s[34:35]
	s_cbranch_execz .LBB62_18
; %bb.17:                               ;   in Loop: Header=BB62_12 Depth=1
	v_add_f32_e64 v57, |v15|, |v15|
	v_mul_f32_e32 v58, 0x3fb8aa3b, v57
	v_rndne_f32_e32 v59, v58
	v_sub_f32_e32 v60, v58, v59
	v_fma_f32 v58, v57, s24, -v58
	v_fmac_f32_e32 v58, 0x32a5705f, v57
	v_add_f32_e32 v58, v60, v58
	v_cvt_i32_f32_e32 v59, v59
	v_exp_f32_e32 v58, v58
	v_cmp_ngt_f32_e32 vcc, s25, v57
	v_ldexp_f32 v58, v58, v59
	v_cndmask_b32_e32 v58, 0, v58, vcc
	v_cmp_nlt_f32_e32 vcc, s26, v57
	v_cndmask_b32_e32 v57, v34, v58, vcc
	v_add_f32_e32 v57, 1.0, v57
	v_rcp_f32_e32 v57, v57
	v_fma_f32 v57, v57, -2.0, 1.0
.LBB62_18:                              ;   in Loop: Header=BB62_12 Depth=1
	s_andn2_saveexec_b64 s[8:9], s[8:9]
; %bb.19:                               ;   in Loop: Header=BB62_12 Depth=1
	v_mul_f32_e32 v57, v15, v15
	v_mov_b32_e32 v58, 0x3ca908c9
	v_fmac_f32_e32 v58, 0xbbbac73d, v57
	v_fma_f32 v58, v57, v58, v31
	v_fma_f32 v58, v57, v58, v32
	;; [unrolled: 1-line block ×3, first 2 shown]
	v_mul_f32_e64 v58, |v15|, v58
	v_fma_f32 v57, v57, v58, |v15|
; %bb.20:                               ;   in Loop: Header=BB62_12 Depth=1
	s_or_b64 exec, exec, s[8:9]
	v_cvt_f32_f16_e32 v1, v1
	v_bfi_b32 v15, s27, v57, v15
	s_waitcnt lgkmcnt(0)
	v_max_f32_e32 v56, v56, v56
	v_max_f32_e32 v14, v14, v14
	v_fmac_f32_e32 v1, s14, v15
	v_max_f32_e32 v14, v14, v56
	v_add_f32_e32 v15, 0x40051340, v1
	v_max_f32_e32 v56, v44, v44
	v_max_f32_e32 v15, v56, v15
	ds_bpermute_b32 v3, v3, v15
	v_sub_f32_e32 v2, v2, v14
	s_mul_hi_i32 s9, s6, s15
	s_mul_i32 s8, s6, s15
	s_lshl_b64 s[8:9], s[8:9], 2
	s_waitcnt lgkmcnt(0)
	v_max_f32_e32 v3, v3, v3
	v_max_f32_e32 v3, v15, v3
	ds_bpermute_b32 v4, v4, v3
	s_add_u32 s8, s12, s8
	s_addc_u32 s9, s13, s9
	s_waitcnt lgkmcnt(0)
	s_barrier
	v_max_f32_e32 v4, v4, v4
	v_max_f32_e32 v3, v3, v4
	ds_bpermute_b32 v4, v53, v3
	s_waitcnt lgkmcnt(0)
	v_max_f32_e32 v4, v4, v4
	v_max_f32_e32 v3, v3, v4
	ds_bpermute_b32 v4, v54, v3
	s_waitcnt lgkmcnt(0)
	;; [unrolled: 4-line block ×3, first 2 shown]
	v_max_f32_e32 v4, v4, v4
	v_max_f32_e32 v15, v3, v4
	v_sub_f32_e32 v3, v45, v14
	v_mul_f32_e32 v4, 0x3fb8aa3b, v3
	v_fma_f32 v45, v3, s24, -v4
	v_rndne_f32_e32 v53, v4
	v_fmac_f32_e32 v45, 0x32a5705f, v3
	v_sub_f32_e32 v4, v4, v53
	v_add_f32_e32 v4, v4, v45
	v_exp_f32_e32 v4, v4
	v_cvt_i32_f32_e32 v45, v53
	v_cmp_ngt_f32_e32 vcc, s25, v3
	v_sub_f32_e32 v1, v1, v15
	v_ldexp_f32 v4, v4, v45
	v_cndmask_b32_e32 v4, 0, v4, vcc
	v_cmp_nlt_f32_e32 vcc, s26, v3
	v_cndmask_b32_e32 v3, v34, v4, vcc
	v_mul_f32_e32 v4, 0x3fb8aa3b, v2
	v_fma_f32 v45, v2, s24, -v4
	v_rndne_f32_e32 v53, v4
	v_fmac_f32_e32 v45, 0x32a5705f, v2
	v_sub_f32_e32 v4, v4, v53
	v_add_f32_e32 v4, v4, v45
	v_exp_f32_e32 v4, v4
	v_cvt_i32_f32_e32 v45, v53
	v_cmp_ngt_f32_e32 vcc, s25, v2
	v_ldexp_f32 v4, v4, v45
	v_cndmask_b32_e32 v4, 0, v4, vcc
	v_cmp_nlt_f32_e32 vcc, s26, v2
	v_cndmask_b32_e32 v53, v34, v4, vcc
	v_cvt_f16_f32_e32 v2, v53
	v_fmac_f32_e32 v53, v46, v3
	v_cvt_f16_f32_e32 v3, v3
	v_mul_u32_u24_e32 v67, 0x10001, v3
	v_sub_f32_e32 v3, v44, v15
	v_mul_f32_e32 v4, 0x3fb8aa3b, v3
	v_pk_mul_f16 v68, v42, v67
	v_pk_mul_f16 v42, v40, v67
	;; [unrolled: 1-line block ×3, first 2 shown]
	v_fma_f32 v41, v3, s24, -v4
	v_rndne_f32_e32 v44, v4
	v_fmac_f32_e32 v41, 0x32a5705f, v3
	v_sub_f32_e32 v4, v4, v44
	v_add_f32_e32 v4, v4, v41
	v_exp_f32_e32 v4, v4
	v_cvt_i32_f32_e32 v41, v44
	v_cmp_ngt_f32_e32 vcc, s25, v3
	v_ldexp_f32 v4, v4, v41
	v_cndmask_b32_e32 v4, 0, v4, vcc
	v_cmp_nlt_f32_e32 vcc, s26, v3
	v_cndmask_b32_e32 v3, v34, v4, vcc
	v_mul_f32_e32 v4, 0x3fb8aa3b, v1
	v_fma_f32 v41, v1, s24, -v4
	v_rndne_f32_e32 v44, v4
	v_fmac_f32_e32 v41, 0x32a5705f, v1
	v_sub_f32_e32 v4, v4, v44
	v_add_f32_e32 v4, v4, v41
	v_exp_f32_e32 v4, v4
	v_cvt_i32_f32_e32 v41, v44
	v_cmp_ngt_f32_e32 vcc, s25, v1
	v_ldexp_f32 v4, v4, v41
	v_cndmask_b32_e32 v4, 0, v4, vcc
	v_cmp_nlt_f32_e32 vcc, s26, v1
	v_cndmask_b32_e32 v54, v34, v4, vcc
	v_cvt_f16_f32_e32 v1, v54
	v_fmac_f32_e32 v54, v43, v3
	v_cvt_f16_f32_e32 v3, v3
	v_pack_b32_f16 v1, v2, v1
	v_mov_b32_e32 v2, s9
	v_mul_u32_u24_e32 v41, 0x10001, v3
	v_add_u32_e32 v3, v25, v18
	ds_write_b32 v3, v1
	v_add_co_u32_e32 v1, vcc, s8, v10
	v_addc_co_u32_e32 v2, vcc, v2, v11, vcc
	v_add_co_u32_e32 v1, vcc, v1, v26
	v_addc_co_u32_e32 v2, vcc, 0, v2, vcc
	global_load_dwordx4 v[1:4], v[1:2], off
	v_pk_mul_f16 v39, v39, v41
	v_pk_mul_f16 v38, v38, v41
	;; [unrolled: 1-line block ×3, first 2 shown]
	s_waitcnt vmcnt(0)
	ds_write_b128 v27, v[1:4]
	v_add_co_u32_e32 v1, vcc, s8, v12
	v_mov_b32_e32 v2, s9
	v_addc_co_u32_e32 v2, vcc, v2, v13, vcc
	v_add_co_u32_e32 v1, vcc, v1, v26
	v_addc_co_u32_e32 v2, vcc, 0, v2, vcc
	global_load_dwordx4 v[1:4], v[1:2], off
	s_or_b32 s8, s6, 16
	s_mul_hi_i32 s9, s8, s15
	s_mul_i32 s8, s8, s15
	s_lshl_b64 s[8:9], s[8:9], 2
	s_add_u32 s8, s12, s8
	s_addc_u32 s9, s13, s9
	s_waitcnt vmcnt(0)
	ds_write_b128 v28, v[1:4]
	s_waitcnt lgkmcnt(0)
	s_barrier
	ds_read2_b64 v[43:46], v19 offset1:32
	ds_read_b128 v[55:58], v25
	ds_read_b128 v[59:62], v25 offset:16
	ds_read_b128 v[63:66], v25 offset:32
	;; [unrolled: 1-line block ×3, first 2 shown]
	s_waitcnt lgkmcnt(3)
	v_mul_u32_u24_sdwa v69, v55, s31 dst_sel:DWORD dst_unused:UNUSED_PAD src0_sel:WORD_0 src1_sel:DWORD
	v_mul_u32_u24_sdwa v55, v55, s31 dst_sel:DWORD dst_unused:UNUSED_PAD src0_sel:WORD_1 src1_sel:DWORD
	v_pk_mul_f16 v70, v43, v69
	v_pk_fma_f16 v67, v36, v67, v70
	v_pk_mul_f16 v36, v43, v55
	v_pk_fma_f16 v41, v35, v41, v36
	v_pk_fma_f16 v43, v44, v69, v68
	;; [unrolled: 1-line block ×6, first 2 shown]
	ds_read2_b64 v[35:38], v19 offset0:64 offset1:96
	v_pk_fma_f16 v40, v46, v69, v40
	v_mul_u32_u24_sdwa v46, v56, s31 dst_sel:DWORD dst_unused:UNUSED_PAD src0_sel:WORD_0 src1_sel:DWORD
	v_mul_u32_u24_sdwa v55, v56, s31 dst_sel:DWORD dst_unused:UNUSED_PAD src0_sel:WORD_1 src1_sel:DWORD
	s_waitcnt lgkmcnt(0)
	v_pk_fma_f16 v56, v35, v46, v67
	v_pk_fma_f16 v41, v35, v55, v41
	;; [unrolled: 1-line block ×8, first 2 shown]
	ds_read2_b64 v[35:38], v19 offset0:128 offset1:160
	v_mul_u32_u24_sdwa v46, v57, s31 dst_sel:DWORD dst_unused:UNUSED_PAD src0_sel:WORD_0 src1_sel:DWORD
	v_mul_u32_u24_sdwa v55, v57, s31 dst_sel:DWORD dst_unused:UNUSED_PAD src0_sel:WORD_1 src1_sel:DWORD
	v_mul_u32_u24_sdwa v57, v59, s31 dst_sel:DWORD dst_unused:UNUSED_PAD src0_sel:WORD_1 src1_sel:DWORD
	s_waitcnt lgkmcnt(0)
	v_pk_fma_f16 v56, v35, v46, v56
	v_pk_fma_f16 v41, v35, v55, v41
	;; [unrolled: 1-line block ×8, first 2 shown]
	ds_read2_b64 v[35:38], v19 offset0:192 offset1:224
	v_mul_u32_u24_sdwa v46, v58, s31 dst_sel:DWORD dst_unused:UNUSED_PAD src0_sel:WORD_0 src1_sel:DWORD
	v_mul_u32_u24_sdwa v55, v58, s31 dst_sel:DWORD dst_unused:UNUSED_PAD src0_sel:WORD_1 src1_sel:DWORD
	s_waitcnt lgkmcnt(0)
	v_pk_fma_f16 v56, v35, v46, v56
	v_pk_fma_f16 v35, v35, v55, v41
	;; [unrolled: 1-line block ×4, first 2 shown]
	v_add_u32_e32 v36, 0x800, v19
	v_pk_fma_f16 v42, v37, v46, v42
	v_pk_fma_f16 v44, v37, v55, v44
	;; [unrolled: 1-line block ×4, first 2 shown]
	ds_read2_b64 v[37:40], v36 offset1:32
	v_mul_u32_u24_sdwa v55, v59, s31 dst_sel:DWORD dst_unused:UNUSED_PAD src0_sel:WORD_0 src1_sel:DWORD
	s_waitcnt lgkmcnt(0)
	v_pk_fma_f16 v56, v37, v55, v56
	v_pk_fma_f16 v35, v37, v57, v35
	;; [unrolled: 1-line block ×8, first 2 shown]
	ds_read2_b64 v[37:40], v36 offset0:64 offset1:96
	v_mul_u32_u24_sdwa v55, v60, s31 dst_sel:DWORD dst_unused:UNUSED_PAD src0_sel:WORD_0 src1_sel:DWORD
	v_mul_u32_u24_sdwa v57, v60, s31 dst_sel:DWORD dst_unused:UNUSED_PAD src0_sel:WORD_1 src1_sel:DWORD
	s_waitcnt lgkmcnt(0)
	v_pk_fma_f16 v56, v37, v55, v56
	v_pk_fma_f16 v35, v37, v57, v35
	;; [unrolled: 1-line block ×8, first 2 shown]
	ds_read2_b64 v[37:40], v36 offset0:128 offset1:160
	v_mul_u32_u24_sdwa v55, v61, s31 dst_sel:DWORD dst_unused:UNUSED_PAD src0_sel:WORD_0 src1_sel:DWORD
	v_mul_u32_u24_sdwa v57, v61, s31 dst_sel:DWORD dst_unused:UNUSED_PAD src0_sel:WORD_1 src1_sel:DWORD
	s_waitcnt lgkmcnt(0)
	v_pk_fma_f16 v56, v37, v55, v56
	v_pk_fma_f16 v35, v37, v57, v35
	;; [unrolled: 1-line block ×8, first 2 shown]
	ds_read2_b64 v[37:40], v36 offset0:192 offset1:224
	v_mul_u32_u24_sdwa v57, v62, s31 dst_sel:DWORD dst_unused:UNUSED_PAD src0_sel:WORD_1 src1_sel:DWORD
	v_mul_u32_u24_sdwa v55, v62, s31 dst_sel:DWORD dst_unused:UNUSED_PAD src0_sel:WORD_0 src1_sel:DWORD
	s_waitcnt lgkmcnt(0)
	v_pk_fma_f16 v58, v37, v57, v35
	v_add_u32_e32 v35, 0x1000, v19
	v_pk_fma_f16 v56, v37, v55, v56
	v_pk_fma_f16 v41, v38, v55, v41
	;; [unrolled: 1-line block ×7, first 2 shown]
	ds_read2_b64 v[37:40], v35 offset1:32
	v_mul_u32_u24_sdwa v55, v63, s31 dst_sel:DWORD dst_unused:UNUSED_PAD src0_sel:WORD_0 src1_sel:DWORD
	v_mul_u32_u24_sdwa v57, v63, s31 dst_sel:DWORD dst_unused:UNUSED_PAD src0_sel:WORD_1 src1_sel:DWORD
	s_waitcnt lgkmcnt(0)
	v_pk_fma_f16 v56, v37, v55, v56
	v_pk_fma_f16 v58, v37, v57, v58
	v_pk_fma_f16 v41, v38, v55, v41
	v_pk_fma_f16 v43, v38, v57, v43
	v_pk_fma_f16 v42, v39, v55, v42
	v_pk_fma_f16 v44, v39, v57, v44
	v_pk_fma_f16 v46, v40, v55, v46
	v_pk_fma_f16 v45, v40, v57, v45
	ds_read2_b64 v[37:40], v35 offset0:64 offset1:96
	v_mul_u32_u24_sdwa v55, v64, s31 dst_sel:DWORD dst_unused:UNUSED_PAD src0_sel:WORD_0 src1_sel:DWORD
	v_mul_u32_u24_sdwa v57, v64, s31 dst_sel:DWORD dst_unused:UNUSED_PAD src0_sel:WORD_1 src1_sel:DWORD
	s_waitcnt lgkmcnt(0)
	v_pk_fma_f16 v56, v37, v55, v56
	v_pk_fma_f16 v58, v37, v57, v58
	v_pk_fma_f16 v41, v38, v55, v41
	v_pk_fma_f16 v43, v38, v57, v43
	v_pk_fma_f16 v42, v39, v55, v42
	v_pk_fma_f16 v44, v39, v57, v44
	v_pk_fma_f16 v46, v40, v55, v46
	v_pk_fma_f16 v45, v40, v57, v45
	ds_read2_b64 v[37:40], v35 offset0:128 offset1:160
	;; [unrolled: 12-line block ×3, first 2 shown]
	v_mul_u32_u24_sdwa v55, v66, s31 dst_sel:DWORD dst_unused:UNUSED_PAD src0_sel:WORD_0 src1_sel:DWORD
	v_mul_u32_u24_sdwa v57, v66, s31 dst_sel:DWORD dst_unused:UNUSED_PAD src0_sel:WORD_1 src1_sel:DWORD
	s_waitcnt lgkmcnt(0)
	v_pk_fma_f16 v56, v37, v55, v56
	v_pk_fma_f16 v58, v37, v57, v58
	v_add_u32_e32 v37, 0x1800, v19
	v_pk_fma_f16 v59, v38, v55, v41
	v_pk_fma_f16 v43, v38, v57, v43
	;; [unrolled: 1-line block ×6, first 2 shown]
	ds_read2_b64 v[38:41], v37 offset1:32
	v_mul_u32_u24_sdwa v55, v1, s31 dst_sel:DWORD dst_unused:UNUSED_PAD src0_sel:WORD_0 src1_sel:DWORD
	v_mul_u32_u24_sdwa v1, v1, s31 dst_sel:DWORD dst_unused:UNUSED_PAD src0_sel:WORD_1 src1_sel:DWORD
	s_waitcnt lgkmcnt(0)
	v_pk_fma_f16 v56, v38, v55, v56
	v_pk_fma_f16 v57, v38, v1, v58
	v_pk_fma_f16 v58, v39, v55, v59
	v_pk_fma_f16 v43, v39, v1, v43
	v_pk_fma_f16 v42, v40, v55, v42
	v_pk_fma_f16 v44, v40, v1, v44
	v_pk_fma_f16 v46, v41, v55, v46
	v_pk_fma_f16 v1, v41, v1, v45
	ds_read2_b64 v[38:41], v37 offset0:64 offset1:96
	v_mul_u32_u24_sdwa v45, v2, s31 dst_sel:DWORD dst_unused:UNUSED_PAD src0_sel:WORD_0 src1_sel:DWORD
	v_mul_u32_u24_sdwa v2, v2, s31 dst_sel:DWORD dst_unused:UNUSED_PAD src0_sel:WORD_1 src1_sel:DWORD
	s_waitcnt lgkmcnt(0)
	v_pk_fma_f16 v55, v38, v45, v56
	v_pk_fma_f16 v56, v38, v2, v57
	v_pk_fma_f16 v57, v39, v45, v58
	v_pk_fma_f16 v43, v39, v2, v43
	v_pk_fma_f16 v42, v40, v45, v42
	v_pk_fma_f16 v44, v40, v2, v44
	v_pk_fma_f16 v45, v41, v45, v46
	v_pk_fma_f16 v1, v41, v2, v1
	ds_read2_b64 v[38:41], v37 offset0:128 offset1:160
	;; [unrolled: 12-line block ×3, first 2 shown]
	v_mul_u32_u24_sdwa v3, v4, s31 dst_sel:DWORD dst_unused:UNUSED_PAD src0_sel:WORD_0 src1_sel:DWORD
	v_mul_u32_u24_sdwa v4, v4, s31 dst_sel:DWORD dst_unused:UNUSED_PAD src0_sel:WORD_1 src1_sel:DWORD
	s_waitcnt lgkmcnt(0)
	s_barrier
	v_pk_fma_f16 v68, v41, v3, v2
	v_pk_fma_f16 v69, v41, v4, v1
	v_add_co_u32_e32 v1, vcc, s8, v10
	v_mov_b32_e32 v2, s9
	v_addc_co_u32_e32 v2, vcc, v2, v11, vcc
	v_add_co_u32_e32 v1, vcc, v1, v26
	v_addc_co_u32_e32 v2, vcc, 0, v2, vcc
	v_pk_fma_f16 v46, v38, v3, v46
	v_pk_fma_f16 v63, v38, v4, v55
	;; [unrolled: 1-line block ×6, first 2 shown]
	global_load_dwordx4 v[1:4], v[1:2], off
	s_waitcnt vmcnt(0)
	ds_write_b128 v27, v[1:4]
	v_add_co_u32_e32 v1, vcc, s8, v12
	v_mov_b32_e32 v2, s9
	v_addc_co_u32_e32 v2, vcc, v2, v13, vcc
	v_add_co_u32_e32 v1, vcc, v1, v26
	v_addc_co_u32_e32 v2, vcc, 0, v2, vcc
	global_load_dwordx4 v[1:4], v[1:2], off
	s_waitcnt vmcnt(0)
	ds_write_b128 v28, v[1:4]
	s_waitcnt lgkmcnt(0)
	s_barrier
	ds_read2_b64 v[38:41], v19 offset1:32
	ds_read_b128 v[42:45], v25 offset:64
	ds_read_b128 v[55:58], v25 offset:80
	;; [unrolled: 1-line block ×4, first 2 shown]
	s_waitcnt lgkmcnt(3)
	v_mul_u32_u24_sdwa v70, v42, s31 dst_sel:DWORD dst_unused:UNUSED_PAD src0_sel:WORD_0 src1_sel:DWORD
	v_mul_u32_u24_sdwa v42, v42, s31 dst_sel:DWORD dst_unused:UNUSED_PAD src0_sel:WORD_1 src1_sel:DWORD
	v_pk_fma_f16 v46, v38, v70, v46
	v_pk_fma_f16 v63, v38, v42, v63
	v_pk_fma_f16 v64, v39, v70, v64
	v_pk_fma_f16 v65, v39, v42, v65
	v_pk_fma_f16 v66, v40, v70, v66
	v_pk_fma_f16 v67, v40, v42, v67
	v_pk_fma_f16 v68, v41, v70, v68
	v_pk_fma_f16 v42, v41, v42, v69
	ds_read2_b64 v[38:41], v19 offset0:64 offset1:96
	v_mul_u32_u24_sdwa v69, v43, s31 dst_sel:DWORD dst_unused:UNUSED_PAD src0_sel:WORD_0 src1_sel:DWORD
	v_mul_u32_u24_sdwa v43, v43, s31 dst_sel:DWORD dst_unused:UNUSED_PAD src0_sel:WORD_1 src1_sel:DWORD
	s_waitcnt lgkmcnt(0)
	v_pk_fma_f16 v46, v38, v69, v46
	v_pk_fma_f16 v63, v38, v43, v63
	v_pk_fma_f16 v64, v39, v69, v64
	v_pk_fma_f16 v65, v39, v43, v65
	v_pk_fma_f16 v66, v40, v69, v66
	v_pk_fma_f16 v67, v40, v43, v67
	v_pk_fma_f16 v68, v41, v69, v68
	v_pk_fma_f16 v42, v41, v43, v42
	ds_read2_b64 v[38:41], v19 offset0:128 offset1:160
	v_mul_u32_u24_sdwa v43, v44, s31 dst_sel:DWORD dst_unused:UNUSED_PAD src0_sel:WORD_0 src1_sel:DWORD
	v_mul_u32_u24_sdwa v44, v44, s31 dst_sel:DWORD dst_unused:UNUSED_PAD src0_sel:WORD_1 src1_sel:DWORD
	s_waitcnt lgkmcnt(0)
	v_pk_fma_f16 v46, v38, v43, v46
	v_pk_fma_f16 v63, v38, v44, v63
	v_pk_fma_f16 v64, v39, v43, v64
	v_pk_fma_f16 v65, v39, v44, v65
	v_pk_fma_f16 v66, v40, v43, v66
	v_pk_fma_f16 v67, v40, v44, v67
	v_pk_fma_f16 v43, v41, v43, v68
	v_pk_fma_f16 v42, v41, v44, v42
	ds_read2_b64 v[38:41], v19 offset0:192 offset1:224
	v_mul_u32_u24_sdwa v44, v45, s31 dst_sel:DWORD dst_unused:UNUSED_PAD src0_sel:WORD_0 src1_sel:DWORD
	v_mul_u32_u24_sdwa v45, v45, s31 dst_sel:DWORD dst_unused:UNUSED_PAD src0_sel:WORD_1 src1_sel:DWORD
	s_waitcnt lgkmcnt(0)
	v_pk_fma_f16 v46, v38, v44, v46
	v_pk_fma_f16 v63, v38, v45, v63
	v_pk_fma_f16 v64, v39, v44, v64
	v_pk_fma_f16 v65, v39, v45, v65
	v_pk_fma_f16 v66, v40, v44, v66
	v_pk_fma_f16 v67, v40, v45, v67
	v_pk_fma_f16 v43, v41, v44, v43
	v_pk_fma_f16 v42, v41, v45, v42
	ds_read2_b64 v[38:41], v36 offset1:32
	v_mul_u32_u24_sdwa v44, v55, s31 dst_sel:DWORD dst_unused:UNUSED_PAD src0_sel:WORD_0 src1_sel:DWORD
	v_mul_u32_u24_sdwa v45, v55, s31 dst_sel:DWORD dst_unused:UNUSED_PAD src0_sel:WORD_1 src1_sel:DWORD
	s_waitcnt lgkmcnt(0)
	v_pk_fma_f16 v46, v38, v44, v46
	v_pk_fma_f16 v55, v38, v45, v63
	v_pk_fma_f16 v63, v39, v44, v64
	v_pk_fma_f16 v64, v39, v45, v65
	v_pk_fma_f16 v65, v40, v44, v66
	v_pk_fma_f16 v66, v40, v45, v67
	v_pk_fma_f16 v43, v41, v44, v43
	v_pk_fma_f16 v42, v41, v45, v42
	ds_read2_b64 v[38:41], v36 offset0:64 offset1:96
	v_mul_u32_u24_sdwa v44, v56, s31 dst_sel:DWORD dst_unused:UNUSED_PAD src0_sel:WORD_0 src1_sel:DWORD
	v_mul_u32_u24_sdwa v45, v56, s31 dst_sel:DWORD dst_unused:UNUSED_PAD src0_sel:WORD_1 src1_sel:DWORD
	s_waitcnt lgkmcnt(0)
	v_pk_fma_f16 v46, v38, v44, v46
	v_pk_fma_f16 v55, v38, v45, v55
	v_pk_fma_f16 v56, v39, v44, v63
	v_pk_fma_f16 v63, v39, v45, v64
	v_pk_fma_f16 v64, v40, v44, v65
	v_pk_fma_f16 v65, v40, v45, v66
	v_pk_fma_f16 v43, v41, v44, v43
	v_pk_fma_f16 v42, v41, v45, v42
	ds_read2_b64 v[38:41], v36 offset0:128 offset1:160
	v_mul_u32_u24_sdwa v44, v57, s31 dst_sel:DWORD dst_unused:UNUSED_PAD src0_sel:WORD_0 src1_sel:DWORD
	v_mul_u32_u24_sdwa v45, v57, s31 dst_sel:DWORD dst_unused:UNUSED_PAD src0_sel:WORD_1 src1_sel:DWORD
	s_waitcnt lgkmcnt(0)
	v_pk_fma_f16 v46, v38, v44, v46
	v_pk_fma_f16 v55, v38, v45, v55
	v_pk_fma_f16 v56, v39, v44, v56
	v_pk_fma_f16 v57, v39, v45, v63
	v_pk_fma_f16 v63, v40, v44, v64
	v_pk_fma_f16 v64, v40, v45, v65
	v_pk_fma_f16 v43, v41, v44, v43
	v_pk_fma_f16 v42, v41, v45, v42
	ds_read2_b64 v[38:41], v36 offset0:192 offset1:224
	v_mul_u32_u24_sdwa v36, v58, s31 dst_sel:DWORD dst_unused:UNUSED_PAD src0_sel:WORD_0 src1_sel:DWORD
	v_mul_u32_u24_sdwa v44, v58, s31 dst_sel:DWORD dst_unused:UNUSED_PAD src0_sel:WORD_1 src1_sel:DWORD
	s_waitcnt lgkmcnt(0)
	v_pk_fma_f16 v45, v38, v36, v46
	v_pk_fma_f16 v46, v38, v44, v55
	v_pk_fma_f16 v55, v39, v36, v56
	v_pk_fma_f16 v56, v39, v44, v57
	v_pk_fma_f16 v57, v40, v36, v63
	v_pk_fma_f16 v58, v40, v44, v64
	v_pk_fma_f16 v36, v41, v36, v43
	v_pk_fma_f16 v42, v41, v44, v42
	ds_read2_b64 v[38:41], v35 offset1:32
	v_mul_u32_u24_sdwa v43, v59, s31 dst_sel:DWORD dst_unused:UNUSED_PAD src0_sel:WORD_0 src1_sel:DWORD
	v_mul_u32_u24_sdwa v44, v59, s31 dst_sel:DWORD dst_unused:UNUSED_PAD src0_sel:WORD_1 src1_sel:DWORD
	s_waitcnt lgkmcnt(0)
	;; [unrolled: 48-line block ×3, first 2 shown]
	v_pk_fma_f16 v43, v38, v42, v44
	v_pk_fma_f16 v44, v38, v1, v45
	;; [unrolled: 1-line block ×8, first 2 shown]
	ds_read2_b64 v[38:41], v37 offset0:64 offset1:96
	v_mul_u32_u24_sdwa v36, v2, s31 dst_sel:DWORD dst_unused:UNUSED_PAD src0_sel:WORD_0 src1_sel:DWORD
	v_mul_u32_u24_sdwa v2, v2, s31 dst_sel:DWORD dst_unused:UNUSED_PAD src0_sel:WORD_1 src1_sel:DWORD
	s_waitcnt lgkmcnt(0)
	v_pk_fma_f16 v42, v38, v36, v43
	v_pk_fma_f16 v43, v38, v2, v44
	;; [unrolled: 1-line block ×8, first 2 shown]
	ds_read2_b64 v[38:41], v37 offset0:128 offset1:160
	v_mul_u32_u24_sdwa v2, v3, s31 dst_sel:DWORD dst_unused:UNUSED_PAD src0_sel:WORD_0 src1_sel:DWORD
	v_mul_u32_u24_sdwa v3, v3, s31 dst_sel:DWORD dst_unused:UNUSED_PAD src0_sel:WORD_1 src1_sel:DWORD
	s_waitcnt lgkmcnt(0)
	v_pk_fma_f16 v36, v38, v2, v42
	v_pk_fma_f16 v38, v38, v3, v43
	;; [unrolled: 1-line block ×4, first 2 shown]
	ds_read2_b64 v[42:45], v37 offset0:192 offset1:224
	s_waitcnt lgkmcnt(0)
	s_barrier
	s_load_dword s8, s[0:1], 0x4
	v_pk_fma_f16 v46, v40, v2, v46
	v_pk_fma_f16 v55, v40, v3, v55
	;; [unrolled: 1-line block ×4, first 2 shown]
	s_waitcnt lgkmcnt(0)
	s_lshl_b32 s8, s8, 5
	v_mul_u32_u24_sdwa v3, v4, s31 dst_sel:DWORD dst_unused:UNUSED_PAD src0_sel:WORD_0 src1_sel:DWORD
	v_mul_u32_u24_sdwa v4, v4, s31 dst_sel:DWORD dst_unused:UNUSED_PAD src0_sel:WORD_1 src1_sel:DWORD
	s_add_i32 s6, s8, s6
	v_pk_fma_f16 v36, v42, v3, v36
	v_pk_fma_f16 v35, v42, v4, v38
	;; [unrolled: 1-line block ×8, first 2 shown]
	s_cmp_ge_i32 s6, s28
	s_cbranch_scc1 .LBB62_7
; %bb.21:                               ;   in Loop: Header=BB62_12 Depth=1
	v_mov_b32_e32 v45, v14
	v_mov_b32_e32 v44, v15
	;; [unrolled: 1-line block ×4, first 2 shown]
	s_branch .LBB62_12
.LBB62_22:
	v_mov_b32_e32 v4, v2
	v_mov_b32_e32 v3, v1
	v_cmp_gt_i32_e32 vcc, s2, v16
	s_and_saveexec_b64 s[0:1], vcc
	s_cbranch_execz .LBB62_9
.LBB62_23:
	s_load_dword s6, s[4:5], 0xd4
	v_mov_b32_e32 v5, 1.0
	s_waitcnt lgkmcnt(0)
	s_cmp_lg_u32 s6, 1
	s_cselect_b64 s[0:1], -1, 0
	s_cmp_eq_u32 s6, 1
	s_cselect_b64 s[4:5], -1, 0
	s_and_b64 vcc, exec, s[0:1]
	s_cbranch_vccnz .LBB62_25
; %bb.24:
	v_div_scale_f32 v5, s[8:9], v1, v1, 1.0
	v_div_scale_f32 v6, vcc, 1.0, v1, 1.0
	v_rcp_f32_e32 v7, v5
	v_fma_f32 v8, -v5, v7, 1.0
	v_fmac_f32_e32 v7, v8, v7
	v_mul_f32_e32 v8, v6, v7
	v_fma_f32 v9, -v5, v8, v6
	v_fmac_f32_e32 v8, v9, v7
	v_fma_f32 v5, -v5, v8, v6
	v_div_fmas_f32 v5, v5, v7, v8
	v_div_fixup_f32 v5, v5, v1, 1.0
.LBB62_25:
	s_mul_i32 s33, s33, s2
	v_add_u32_e32 v1, s33, v16
	v_mul_lo_u32 v1, v1, s3
	v_cmp_eq_u32_e32 vcc, 0, v0
	v_cvt_f32_f16_sdwa v6, v42 dst_sel:DWORD dst_unused:UNUSED_PAD src0_sel:WORD_1
	v_cvt_f32_f16_e32 v11, v36
	v_add3_u32 v0, s29, v17, v1
	v_mul_lo_u32 v0, s6, v0
	v_cvt_f32_f16_e32 v7, v42
	v_cvt_f32_f16_sdwa v1, v36 dst_sel:DWORD dst_unused:UNUSED_PAD src0_sel:WORD_1
	v_mul_f32_e32 v9, v5, v6
	v_add_u32_e32 v0, s7, v0
	v_lshl_add_u32 v10, v0, 8, v18
	v_mul_f32_e32 v6, v5, v11
	v_mov_b32_e32 v11, 0
	v_lshlrev_b64 v[12:13], 2, v[10:11]
	s_and_b64 s[0:1], vcc, s[0:1]
	v_mul_f32_e32 v8, v5, v7
	v_mul_f32_e32 v7, v5, v1
	v_mov_b32_e32 v1, s21
	v_add_co_u32_e32 v12, vcc, s20, v12
	v_addc_co_u32_e32 v13, vcc, v1, v13, vcc
	global_store_dwordx4 v[12:13], v[6:9], off
	v_cvt_f32_f16_sdwa v1, v41 dst_sel:DWORD dst_unused:UNUSED_PAD src0_sel:WORD_1
	v_cvt_f32_f16_e32 v6, v41
	v_cvt_f32_f16_sdwa v9, v40 dst_sel:DWORD dst_unused:UNUSED_PAD src0_sel:WORD_1
	v_cvt_f32_f16_e32 v12, v40
	v_add_u32_e32 v10, 0x80, v10
	v_mul_f32_e32 v7, v5, v6
	v_mul_f32_e32 v6, v5, v9
	v_lshlrev_b64 v[9:10], 2, v[10:11]
	v_mul_f32_e32 v8, v5, v1
	v_mov_b32_e32 v1, s21
	v_add_co_u32_e32 v9, vcc, s20, v9
	v_mul_f32_e32 v5, v5, v12
	v_addc_co_u32_e32 v10, vcc, v1, v10, vcc
	global_store_dwordx4 v[9:10], v[5:8], off
	s_and_saveexec_b64 s[2:3], s[0:1]
	s_cbranch_execz .LBB62_27
; %bb.26:
	v_ashrrev_i32_e32 v1, 31, v0
	v_lshlrev_b64 v[5:6], 3, v[0:1]
	v_mov_b32_e32 v1, s23
	v_add_co_u32_e32 v5, vcc, s22, v5
	v_addc_co_u32_e32 v6, vcc, v1, v6, vcc
	v_mov_b32_e32 v7, v14
	v_mov_b32_e32 v8, v3
	global_store_dwordx2 v[5:6], v[7:8], off
.LBB62_27:
	s_or_b64 exec, exec, s[2:3]
	s_andn2_b64 vcc, exec, s[4:5]
	v_mov_b32_e32 v1, 1.0
	s_cbranch_vccnz .LBB62_29
; %bb.28:
	v_div_scale_f32 v1, s[2:3], v2, v2, 1.0
	v_div_scale_f32 v3, vcc, 1.0, v2, 1.0
	v_rcp_f32_e32 v5, v1
	v_fma_f32 v6, -v1, v5, 1.0
	v_fmac_f32_e32 v5, v6, v5
	v_mul_f32_e32 v6, v3, v5
	v_fma_f32 v7, -v1, v6, v3
	v_fmac_f32_e32 v6, v7, v5
	v_fma_f32 v1, -v1, v6, v3
	v_div_fmas_f32 v1, v1, v5, v6
	v_div_fixup_f32 v1, v1, v2, 1.0
.LBB62_29:
	v_cvt_f32_f16_sdwa v3, v39 dst_sel:DWORD dst_unused:UNUSED_PAD src0_sel:WORD_1
	v_cvt_f32_f16_e32 v5, v39
	v_cvt_f32_f16_e32 v9, v35
	v_add_u32_e32 v0, s6, v0
	v_lshl_add_u32 v2, v0, 8, v18
	v_cvt_f32_f16_sdwa v6, v35 dst_sel:DWORD dst_unused:UNUSED_PAD src0_sel:WORD_1
	v_mul_f32_e32 v8, v1, v3
	v_mov_b32_e32 v3, 0
	v_mul_f32_e32 v7, v1, v5
	v_mul_f32_e32 v5, v1, v9
	v_lshlrev_b64 v[9:10], 2, v[2:3]
	v_mov_b32_e32 v11, s21
	v_add_co_u32_e32 v9, vcc, s20, v9
	v_mul_f32_e32 v6, v1, v6
	v_addc_co_u32_e32 v10, vcc, v11, v10, vcc
	global_store_dwordx4 v[9:10], v[5:8], off
	v_cvt_f32_f16_sdwa v9, v38 dst_sel:DWORD dst_unused:UNUSED_PAD src0_sel:WORD_1
	v_cvt_f32_f16_sdwa v5, v37 dst_sel:DWORD dst_unused:UNUSED_PAD src0_sel:WORD_1
	v_cvt_f32_f16_e32 v6, v37
	v_cvt_f32_f16_e32 v10, v38
	v_add_u32_e32 v2, 0x80, v2
	v_mul_f32_e32 v8, v1, v5
	v_mul_f32_e32 v7, v1, v6
	;; [unrolled: 1-line block ×4, first 2 shown]
	v_lshlrev_b64 v[1:2], 2, v[2:3]
	v_mov_b32_e32 v3, s21
	v_add_co_u32_e32 v1, vcc, s20, v1
	v_addc_co_u32_e32 v2, vcc, v3, v2, vcc
	global_store_dwordx4 v[1:2], v[5:8], off
	s_and_b64 exec, exec, s[0:1]
	s_cbranch_execz .LBB62_9
; %bb.30:
	v_ashrrev_i32_e32 v1, 31, v0
	v_lshlrev_b64 v[0:1], 3, v[0:1]
	v_mov_b32_e32 v2, s23
	v_add_co_u32_e32 v0, vcc, s22, v0
	v_addc_co_u32_e32 v1, vcc, v2, v1, vcc
	v_mov_b32_e32 v3, v15
	global_store_dwordx2 v[0:1], v[3:4], off
	s_endpgm
	.section	.rodata,"a",@progbits
	.p2align	6, 0x0
	.amdhsa_kernel _ZL15flash_attn_tileILi256ELi256ELi4ELi4ELb1EEvPKcS1_S1_S1_S1_PKiPfP15HIP_vector_typeIfLj2EEffffjfiS5_IjLj3EEiiiiiiiiiiiliiliiiiil
		.amdhsa_group_segment_fixed_size 17920
		.amdhsa_private_segment_fixed_size 0
		.amdhsa_kernarg_size 464
		.amdhsa_user_sgpr_count 6
		.amdhsa_user_sgpr_private_segment_buffer 1
		.amdhsa_user_sgpr_dispatch_ptr 0
		.amdhsa_user_sgpr_queue_ptr 0
		.amdhsa_user_sgpr_kernarg_segment_ptr 1
		.amdhsa_user_sgpr_dispatch_id 0
		.amdhsa_user_sgpr_flat_scratch_init 0
		.amdhsa_user_sgpr_private_segment_size 0
		.amdhsa_uses_dynamic_stack 0
		.amdhsa_system_sgpr_private_segment_wavefront_offset 0
		.amdhsa_system_sgpr_workgroup_id_x 1
		.amdhsa_system_sgpr_workgroup_id_y 1
		.amdhsa_system_sgpr_workgroup_id_z 1
		.amdhsa_system_sgpr_workgroup_info 0
		.amdhsa_system_vgpr_workitem_id 1
		.amdhsa_next_free_vgpr 71
		.amdhsa_next_free_sgpr 98
		.amdhsa_reserve_vcc 1
		.amdhsa_reserve_flat_scratch 0
		.amdhsa_float_round_mode_32 0
		.amdhsa_float_round_mode_16_64 0
		.amdhsa_float_denorm_mode_32 3
		.amdhsa_float_denorm_mode_16_64 3
		.amdhsa_dx10_clamp 1
		.amdhsa_ieee_mode 1
		.amdhsa_fp16_overflow 0
		.amdhsa_exception_fp_ieee_invalid_op 0
		.amdhsa_exception_fp_denorm_src 0
		.amdhsa_exception_fp_ieee_div_zero 0
		.amdhsa_exception_fp_ieee_overflow 0
		.amdhsa_exception_fp_ieee_underflow 0
		.amdhsa_exception_fp_ieee_inexact 0
		.amdhsa_exception_int_div_zero 0
	.end_amdhsa_kernel
	.section	.text._ZL15flash_attn_tileILi256ELi256ELi4ELi4ELb1EEvPKcS1_S1_S1_S1_PKiPfP15HIP_vector_typeIfLj2EEffffjfiS5_IjLj3EEiiiiiiiiiiiliiliiiiil,"axG",@progbits,_ZL15flash_attn_tileILi256ELi256ELi4ELi4ELb1EEvPKcS1_S1_S1_S1_PKiPfP15HIP_vector_typeIfLj2EEffffjfiS5_IjLj3EEiiiiiiiiiiiliiliiiiil,comdat
.Lfunc_end62:
	.size	_ZL15flash_attn_tileILi256ELi256ELi4ELi4ELb1EEvPKcS1_S1_S1_S1_PKiPfP15HIP_vector_typeIfLj2EEffffjfiS5_IjLj3EEiiiiiiiiiiiliiliiiiil, .Lfunc_end62-_ZL15flash_attn_tileILi256ELi256ELi4ELi4ELb1EEvPKcS1_S1_S1_S1_PKiPfP15HIP_vector_typeIfLj2EEffffjfiS5_IjLj3EEiiiiiiiiiiiliiliiiiil
                                        ; -- End function
	.set _ZL15flash_attn_tileILi256ELi256ELi4ELi4ELb1EEvPKcS1_S1_S1_S1_PKiPfP15HIP_vector_typeIfLj2EEffffjfiS5_IjLj3EEiiiiiiiiiiiliiliiiiil.num_vgpr, 71
	.set _ZL15flash_attn_tileILi256ELi256ELi4ELi4ELb1EEvPKcS1_S1_S1_S1_PKiPfP15HIP_vector_typeIfLj2EEffffjfiS5_IjLj3EEiiiiiiiiiiiliiliiiiil.num_agpr, 0
	.set _ZL15flash_attn_tileILi256ELi256ELi4ELi4ELb1EEvPKcS1_S1_S1_S1_PKiPfP15HIP_vector_typeIfLj2EEffffjfiS5_IjLj3EEiiiiiiiiiiiliiliiiiil.numbered_sgpr, 44
	.set _ZL15flash_attn_tileILi256ELi256ELi4ELi4ELb1EEvPKcS1_S1_S1_S1_PKiPfP15HIP_vector_typeIfLj2EEffffjfiS5_IjLj3EEiiiiiiiiiiiliiliiiiil.num_named_barrier, 0
	.set _ZL15flash_attn_tileILi256ELi256ELi4ELi4ELb1EEvPKcS1_S1_S1_S1_PKiPfP15HIP_vector_typeIfLj2EEffffjfiS5_IjLj3EEiiiiiiiiiiiliiliiiiil.private_seg_size, 0
	.set _ZL15flash_attn_tileILi256ELi256ELi4ELi4ELb1EEvPKcS1_S1_S1_S1_PKiPfP15HIP_vector_typeIfLj2EEffffjfiS5_IjLj3EEiiiiiiiiiiiliiliiiiil.uses_vcc, 1
	.set _ZL15flash_attn_tileILi256ELi256ELi4ELi4ELb1EEvPKcS1_S1_S1_S1_PKiPfP15HIP_vector_typeIfLj2EEffffjfiS5_IjLj3EEiiiiiiiiiiiliiliiiiil.uses_flat_scratch, 0
	.set _ZL15flash_attn_tileILi256ELi256ELi4ELi4ELb1EEvPKcS1_S1_S1_S1_PKiPfP15HIP_vector_typeIfLj2EEffffjfiS5_IjLj3EEiiiiiiiiiiiliiliiiiil.has_dyn_sized_stack, 0
	.set _ZL15flash_attn_tileILi256ELi256ELi4ELi4ELb1EEvPKcS1_S1_S1_S1_PKiPfP15HIP_vector_typeIfLj2EEffffjfiS5_IjLj3EEiiiiiiiiiiiliiliiiiil.has_recursion, 0
	.set _ZL15flash_attn_tileILi256ELi256ELi4ELi4ELb1EEvPKcS1_S1_S1_S1_PKiPfP15HIP_vector_typeIfLj2EEffffjfiS5_IjLj3EEiiiiiiiiiiiliiliiiiil.has_indirect_call, 0
	.section	.AMDGPU.csdata,"",@progbits
; Kernel info:
; codeLenInByte = 11016
; TotalNumSgprs: 48
; NumVgprs: 71
; ScratchSize: 0
; MemoryBound: 0
; FloatMode: 240
; IeeeMode: 1
; LDSByteSize: 17920 bytes/workgroup (compile time only)
; SGPRBlocks: 12
; VGPRBlocks: 17
; NumSGPRsForWavesPerEU: 102
; NumVGPRsForWavesPerEU: 71
; Occupancy: 3
; WaveLimiterHint : 1
; COMPUTE_PGM_RSRC2:SCRATCH_EN: 0
; COMPUTE_PGM_RSRC2:USER_SGPR: 6
; COMPUTE_PGM_RSRC2:TRAP_HANDLER: 0
; COMPUTE_PGM_RSRC2:TGID_X_EN: 1
; COMPUTE_PGM_RSRC2:TGID_Y_EN: 1
; COMPUTE_PGM_RSRC2:TGID_Z_EN: 1
; COMPUTE_PGM_RSRC2:TIDIG_COMP_CNT: 1
	.section	.text._ZL15flash_attn_tileILi256ELi256ELi2ELi4ELb1EEvPKcS1_S1_S1_S1_PKiPfP15HIP_vector_typeIfLj2EEffffjfiS5_IjLj3EEiiiiiiiiiiiliiliiiiil,"axG",@progbits,_ZL15flash_attn_tileILi256ELi256ELi2ELi4ELb1EEvPKcS1_S1_S1_S1_PKiPfP15HIP_vector_typeIfLj2EEffffjfiS5_IjLj3EEiiiiiiiiiiiliiliiiiil,comdat
	.globl	_ZL15flash_attn_tileILi256ELi256ELi2ELi4ELb1EEvPKcS1_S1_S1_S1_PKiPfP15HIP_vector_typeIfLj2EEffffjfiS5_IjLj3EEiiiiiiiiiiiliiliiiiil ; -- Begin function _ZL15flash_attn_tileILi256ELi256ELi2ELi4ELb1EEvPKcS1_S1_S1_S1_PKiPfP15HIP_vector_typeIfLj2EEffffjfiS5_IjLj3EEiiiiiiiiiiiliiliiiiil
	.p2align	8
	.type	_ZL15flash_attn_tileILi256ELi256ELi2ELi4ELb1EEvPKcS1_S1_S1_S1_PKiPfP15HIP_vector_typeIfLj2EEffffjfiS5_IjLj3EEiiiiiiiiiiiliiliiiiil,@function
_ZL15flash_attn_tileILi256ELi256ELi2ELi4ELb1EEvPKcS1_S1_S1_S1_PKiPfP15HIP_vector_typeIfLj2EEffffjfiS5_IjLj3EEiiiiiiiiiiiliiliiiiil: ; @_ZL15flash_attn_tileILi256ELi256ELi2ELi4ELb1EEvPKcS1_S1_S1_S1_PKiPfP15HIP_vector_typeIfLj2EEffffjfiS5_IjLj3EEiiiiiiiiiiiliiliiiiil
; %bb.0:
	s_load_dwordx4 s[0:3], s[4:5], 0x5c
	s_load_dwordx2 s[28:29], s[4:5], 0x80
	s_load_dwordx2 s[34:35], s[4:5], 0xb8
	s_mov_b64 s[30:31], 0
	s_waitcnt lgkmcnt(0)
	s_ashr_i32 s9, s3, 31
	s_lshr_b32 s9, s9, 30
	s_add_i32 s9, s3, s9
	s_ashr_i32 s9, s9, 2
	v_cvt_f32_u32_e32 v2, s9
	s_sub_i32 s10, 0, s9
	v_rcp_iflag_f32_e32 v2, v2
	v_mul_f32_e32 v2, 0x4f7ffffe, v2
	v_cvt_u32_f32_e32 v2, v2
	v_readfirstlane_b32 s11, v2
	s_mul_i32 s10, s10, s11
	s_mul_hi_u32 s10, s11, s10
	s_add_i32 s11, s11, s10
	s_mul_hi_u32 s10, s8, s11
	s_mul_i32 s11, s10, s9
	s_sub_i32 s11, s8, s11
	s_add_i32 s12, s10, 1
	s_sub_i32 s13, s11, s9
	s_cmp_ge_u32 s11, s9
	s_cselect_b32 s10, s12, s10
	s_cselect_b32 s11, s13, s11
	s_add_i32 s12, s10, 1
	s_cmp_ge_u32 s11, s9
	s_cselect_b32 s33, s12, s10
	s_abs_i32 s9, s29
	v_cvt_f32_u32_e32 v2, s9
	s_lshl_b32 s8, s8, 2
	s_mul_i32 s12, s33, s3
	s_xor_b32 s10, s3, s29
	v_rcp_iflag_f32_e32 v2, v2
	s_sub_i32 s13, 0, s9
	s_sub_i32 s29, s8, s12
	s_abs_i32 s11, s3
	v_mul_f32_e32 v2, 0x4f7ffffe, v2
	v_cvt_u32_f32_e32 v2, v2
	s_ashr_i32 s10, s10, 31
	v_readfirstlane_b32 s8, v2
	s_mul_i32 s13, s13, s8
	s_mul_hi_u32 s12, s8, s13
	s_add_i32 s8, s8, s12
	s_mul_hi_u32 s8, s11, s8
	s_mul_i32 s12, s8, s9
	s_sub_i32 s11, s11, s12
	s_add_i32 s13, s8, 1
	s_sub_i32 s12, s11, s9
	s_cmp_ge_u32 s11, s9
	s_cselect_b32 s8, s13, s8
	s_cselect_b32 s11, s12, s11
	s_add_i32 s12, s8, 1
	s_cmp_ge_u32 s11, s9
	s_cselect_b32 s8, s12, s8
	s_xor_b32 s8, s8, s10
	s_sub_i32 s37, s8, s10
	s_abs_i32 s36, s37
	v_cvt_f32_u32_e32 v2, s36
	s_load_dwordx16 s[8:23], s[4:5], 0x0
	v_rcp_iflag_f32_e32 v2, v2
	s_waitcnt lgkmcnt(0)
	s_cmp_eq_u64 s[14:15], 0
	v_mul_f32_e32 v2, 0x4f7ffffe, v2
	v_cvt_u32_f32_e32 v2, v2
	v_readfirstlane_b32 s38, v2
	s_cbranch_scc1 .LBB63_2
; %bb.1:
	s_abs_i32 s26, s34
	v_cvt_f32_u32_e32 v2, s26
	s_sub_i32 s31, 0, s26
	s_abs_i32 s30, s33
	s_ashr_i32 s27, s33, 31
	v_rcp_iflag_f32_e32 v2, v2
	s_load_dwordx2 s[24:25], s[4:5], 0xc8
	v_mul_f32_e32 v2, 0x4f7ffffe, v2
	v_cvt_u32_f32_e32 v2, v2
	v_readfirstlane_b32 s34, v2
	s_mul_i32 s31, s31, s34
	s_mul_hi_u32 s31, s34, s31
	s_add_i32 s34, s34, s31
	s_mul_hi_u32 s31, s30, s34
	s_mul_i32 s31, s31, s26
	s_sub_i32 s30, s30, s31
	s_sub_i32 s31, s30, s26
	s_cmp_ge_u32 s30, s26
	s_cselect_b32 s30, s31, s30
	s_sub_i32 s31, s30, s26
	s_cmp_ge_u32 s30, s26
	s_cselect_b32 s26, s31, s30
	s_xor_b32 s26, s26, s27
	s_sub_i32 s26, s26, s27
	s_ashr_i32 s27, s26, 31
	s_waitcnt lgkmcnt(0)
	s_mul_hi_u32 s30, s24, s26
	s_mul_i32 s27, s24, s27
	s_mul_i32 s25, s25, s26
	s_add_i32 s27, s30, s27
	s_add_i32 s27, s27, s25
	s_mul_i32 s24, s24, s26
	s_add_u32 s30, s14, s24
	s_addc_u32 s31, s15, s27
.LBB63_2:
	v_lshrrev_b32_e32 v2, 2, v1
	s_load_dwordx4 s[24:27], s[4:5], 0x70
	v_lshl_add_u32 v33, s6, 1, v2
	v_mul_hi_u32 v2, s0, v33
	v_and_b32_e32 v32, 3, v1
	v_lshlrev_b32_e32 v31, 3, v0
	s_waitcnt lgkmcnt(0)
	s_mul_i32 s14, s33, s26
	v_add_u32_e32 v2, v33, v2
	s_ashr_i32 s26, s14, 31
	v_lshrrev_b32_e32 v2, s1, v2
	s_mul_i32 s15, s29, s25
	s_add_u32 s8, s8, s14
	v_mul_lo_u32 v2, v2, s2
	s_addc_u32 s9, s9, s26
	s_ashr_i32 s14, s15, 31
	s_add_u32 s26, s8, s15
	s_addc_u32 s27, s9, s14
	s_ashr_i32 s9, s25, 31
	s_mov_b32 s8, s25
	s_ashr_i32 s25, s24, 31
	s_lshr_b64 s[14:15], s[8:9], 2
	v_sub_u32_e32 v2, v33, v2
	s_lshr_b64 s[0:1], s[24:25], 2
	v_mad_u64_u32 v[3:4], s[14:15], s14, v32, 0
	v_mad_u64_u32 v[5:6], s[0:1], s0, v2, 0
	s_lshr_b32 s0, s9, 2
	v_mad_u64_u32 v[7:8], s[0:1], s0, v32, v[4:5]
	v_mov_b32_e32 v4, v6
	s_lshr_b32 s0, s25, 2
	v_mad_u64_u32 v[8:9], s[0:1], s0, v2, v[4:5]
	v_mov_b32_e32 v4, v7
	v_lshlrev_b64 v[3:4], 2, v[3:4]
	v_mov_b32_e32 v6, v8
	v_mov_b32_e32 v7, s27
	v_add_co_u32_e32 v8, vcc, s26, v3
	v_addc_co_u32_e32 v7, vcc, v7, v4, vcc
	v_lshlrev_b64 v[3:4], 2, v[5:6]
	v_lshlrev_b32_e32 v5, 4, v0
	v_add_co_u32_e32 v3, vcc, v8, v3
	v_addc_co_u32_e32 v4, vcc, v7, v4, vcc
	v_add_co_u32_e32 v12, vcc, v3, v5
	v_addc_co_u32_e32 v13, vcc, 0, v4, vcc
	global_load_dwordx4 v[4:7], v[12:13], off
	global_load_dwordx4 v[8:11], v[12:13], off offset:512
	s_load_dword s0, s[4:5], 0x40
	v_lshlrev_b32_e32 v3, 9, v1
	v_add_u32_e32 v35, 0x4400, v3
	v_add_u32_e32 v12, v35, v31
	s_cmp_eq_u64 s[18:19], 0
	s_waitcnt vmcnt(1) lgkmcnt(0)
	v_fma_mixlo_f16 v4, s0, v4, 0
	v_fma_mixlo_f16 v5, s0, v5, 0
	;; [unrolled: 1-line block ×4, first 2 shown]
	s_waitcnt vmcnt(0)
	v_fma_mixlo_f16 v8, s0, v8, 0
	v_fma_mixlo_f16 v9, s0, v9, 0
	;; [unrolled: 1-line block ×4, first 2 shown]
	v_lshlrev_b32_e32 v5, 16, v5
	v_and_b32_e32 v4, 0xffff, v4
	v_lshlrev_b32_e32 v7, 16, v7
	v_and_b32_e32 v6, 0xffff, v6
	;; [unrolled: 2-line block ×4, first 2 shown]
	v_or_b32_e32 v4, v5, v4
	v_or3_b32 v5, v7, v6, 0
	v_or_b32_e32 v6, v9, v8
	v_or3_b32 v7, v11, v10, 0
	v_or3_b32 v4, 0, 0, v4
	;; [unrolled: 1-line block ×3, first 2 shown]
	ds_write2_b64 v12, v[4:5], v[6:7] offset1:32
	s_waitcnt lgkmcnt(0)
	s_barrier
	s_cbranch_scc1 .LBB63_4
; %bb.3:
	s_load_dword s0, s[4:5], 0xd0
	s_mov_b32 s1, 0
	s_waitcnt lgkmcnt(0)
	s_mul_i32 s0, s0, s33
	s_add_i32 s0, s0, s6
	s_lshl_b64 s[0:1], s[0:1], 2
	s_add_u32 s0, s18, s0
	s_addc_u32 s1, s19, s1
	s_load_dword s28, s[0:1], 0x0
.LBB63_4:
	s_lshl_b32 s6, s7, 6
	v_lshlrev_b32_e32 v34, 2, v0
	s_waitcnt lgkmcnt(0)
	s_cmp_lt_i32 s6, s28
	v_mbcnt_lo_u32_b32 v4, -1, 0
	s_cbranch_scc1 .LBB63_13
; %bb.5:
	v_mbcnt_hi_u32_b32 v36, -1, v4
	v_and_b32_e32 v5, 0x60, v36
	v_add_u32_e32 v56, 32, v5
	v_xor_b32_e32 v61, 16, v36
	v_xor_b32_e32 v60, 8, v36
	;; [unrolled: 1-line block ×5, first 2 shown]
	s_cbranch_execz .LBB63_14
; %bb.6:
	v_mov_b32_e32 v54, 0
	v_mov_b32_e32 v62, 0
	;; [unrolled: 1-line block ×6, first 2 shown]
.LBB63_7:
	v_cmp_lt_i32_e32 vcc, v61, v56
	v_cndmask_b32_e32 v1, v36, v61, vcc
	v_lshlrev_b32_e32 v1, 2, v1
	ds_bpermute_b32 v1, v1, v62
	v_cmp_lt_i32_e32 vcc, v60, v56
	v_cndmask_b32_e32 v2, v36, v60, vcc
	v_lshlrev_b32_e32 v2, 2, v2
	v_cmp_lt_i32_e32 vcc, v59, v56
	s_waitcnt lgkmcnt(0)
	v_add_f32_e32 v1, v62, v1
	ds_bpermute_b32 v2, v2, v1
	v_cndmask_b32_e32 v3, v36, v59, vcc
	v_lshlrev_b32_e32 v3, 2, v3
	v_cmp_lt_i32_e32 vcc, v58, v56
	s_cmp_lg_u64 s[16:17], 0
	s_waitcnt lgkmcnt(0)
	v_add_f32_e32 v1, v1, v2
	ds_bpermute_b32 v2, v3, v1
	v_cndmask_b32_e32 v3, v36, v58, vcc
	v_lshlrev_b32_e32 v3, 2, v3
	v_cmp_lt_i32_e32 vcc, v57, v56
	s_cselect_b64 s[0:1], -1, 0
	s_waitcnt lgkmcnt(0)
	v_add_f32_e32 v1, v1, v2
	ds_bpermute_b32 v2, v3, v1
	v_cndmask_b32_e32 v3, v36, v57, vcc
	v_lshlrev_b32_e32 v3, 2, v3
	s_cmp_eq_u32 s7, 0
	s_cselect_b64 s[8:9], -1, 0
	s_waitcnt lgkmcnt(0)
	v_add_f32_e32 v1, v1, v2
	ds_bpermute_b32 v2, v3, v1
	s_and_b64 s[0:1], s[8:9], s[0:1]
	s_and_b64 vcc, exec, s[0:1]
	s_waitcnt lgkmcnt(0)
	v_add_f32_e32 v31, v1, v2
	s_cbranch_vccz .LBB63_9
; %bb.8:
	v_add_u32_e32 v1, s29, v32
	v_ashrrev_i32_e32 v2, 31, v1
	v_lshlrev_b64 v[1:2], 2, v[1:2]
	v_mov_b32_e32 v3, s17
	v_add_co_u32_e32 v1, vcc, s16, v1
	v_addc_co_u32_e32 v2, vcc, v3, v2, vcc
	global_load_dword v1, v[1:2], off
	v_max_f32_e32 v2, v30, v30
	s_mov_b32 s0, 0x3fb8aa3b
	s_mov_b32 s1, 0xc2ce8ed0
	s_waitcnt vmcnt(0)
	v_max_f32_e32 v3, v1, v1
	v_max_f32_e32 v2, v2, v3
	v_sub_f32_e32 v3, v30, v2
	v_sub_f32_e32 v1, v1, v2
	v_mul_f32_e32 v4, 0x3fb8aa3b, v3
	v_mul_f32_e32 v5, 0x3fb8aa3b, v1
	v_fma_f32 v6, v3, s0, -v4
	v_rndne_f32_e32 v7, v4
	v_fma_f32 v8, v1, s0, -v5
	v_rndne_f32_e32 v11, v5
	v_fmac_f32_e32 v6, 0x32a5705f, v3
	v_sub_f32_e32 v4, v4, v7
	v_fmac_f32_e32 v8, 0x32a5705f, v1
	v_sub_f32_e32 v5, v5, v11
	v_add_f32_e32 v4, v4, v6
	v_cvt_i32_f32_e32 v7, v7
	v_add_f32_e32 v5, v5, v8
	v_exp_f32_e32 v4, v4
	v_cvt_i32_f32_e32 v11, v11
	v_exp_f32_e32 v5, v5
	v_cmp_ngt_f32_e32 vcc, s1, v3
	v_ldexp_f32 v4, v4, v7
	s_mov_b32 s0, 0x42b17218
	v_ldexp_f32 v5, v5, v11
	v_cndmask_b32_e32 v4, 0, v4, vcc
	v_cmp_ngt_f32_e32 vcc, s1, v1
	v_mov_b32_e32 v6, 0x7f800000
	v_cndmask_b32_e32 v5, 0, v5, vcc
	v_cmp_nlt_f32_e32 vcc, s0, v3
	v_cndmask_b32_e32 v3, v6, v4, vcc
	v_cvt_f16_f32_e32 v4, v3
	v_cmp_nlt_f32_e32 vcc, s0, v1
	v_cndmask_b32_e32 v1, v6, v5, vcc
	v_fmac_f32_e32 v1, v31, v3
	v_mov_b32_e32 v31, v1
	v_mul_u32_u24_e32 v1, 0x10001, v4
	v_pk_mul_f16 v54, v54, v1
	v_pk_mul_f16 v55, v55, v1
	;; [unrolled: 1-line block ×4, first 2 shown]
	v_mov_b32_e32 v30, v2
.LBB63_9:
	v_cmp_gt_i32_e32 vcc, s2, v33
	s_and_saveexec_b64 s[0:1], vcc
	s_cbranch_execz .LBB63_12
; %bb.10:
	v_div_scale_f32 v1, s[0:1], v31, v31, 1.0
	v_div_scale_f32 v2, vcc, 1.0, v31, 1.0
	v_cmp_eq_u32_e64 s[0:1], 0, v0
	s_mul_i32 s33, s33, s2
	v_add_u32_e32 v4, s33, v33
	s_load_dword s4, s[4:5], 0xd4
	v_mul_lo_u32 v4, v4, s3
	v_cvt_f32_f16_sdwa v3, v55 dst_sel:DWORD dst_unused:UNUSED_PAD src0_sel:WORD_1
	v_cvt_f32_f16_e32 v11, v55
	v_cvt_f32_f16_sdwa v12, v54 dst_sel:DWORD dst_unused:UNUSED_PAD src0_sel:WORD_1
	v_cvt_f32_f16_e32 v13, v54
	s_waitcnt lgkmcnt(0)
	s_cmp_lg_u32 s4, 1
	s_cselect_b64 s[2:3], -1, 0
	v_mov_b32_e32 v8, s21
	v_rcp_f32_e32 v0, v1
	v_cvt_f32_f16_sdwa v15, v9 dst_sel:DWORD dst_unused:UNUSED_PAD src0_sel:WORD_1
	v_cvt_f32_f16_e32 v9, v9
	v_cvt_f32_f16_sdwa v16, v10 dst_sel:DWORD dst_unused:UNUSED_PAD src0_sel:WORD_1
	v_fma_f32 v5, -v1, v0, 1.0
	v_fmac_f32_e32 v0, v5, v0
	v_mul_f32_e32 v5, v2, v0
	v_fma_f32 v6, -v1, v5, v2
	v_fmac_f32_e32 v5, v6, v0
	v_fma_f32 v1, -v1, v5, v2
	v_div_fmas_f32 v14, v1, v0, v5
	v_add3_u32 v0, s29, v32, v4
	v_mul_lo_u32 v0, s4, v0
	v_mov_b32_e32 v6, 0
	s_and_b64 s[0:1], s[0:1], s[2:3]
	v_add_u32_e32 v0, s7, v0
	v_lshl_add_u32 v5, v0, 8, v34
	v_lshlrev_b64 v[1:2], 2, v[5:6]
	v_add_u32_e32 v5, 0x80, v5
	v_add_co_u32_e32 v7, vcc, s20, v1
	v_addc_co_u32_e32 v8, vcc, v8, v2, vcc
	v_lshlrev_b64 v[5:6], 2, v[5:6]
	v_add_co_u32_e32 v5, vcc, s20, v5
	v_div_fixup_f32 v1, v14, v31, 1.0
	v_cndmask_b32_e64 v14, v1, 1.0, s[2:3]
	v_mul_f32_e32 v4, v14, v3
	v_mul_f32_e32 v3, v14, v11
	;; [unrolled: 1-line block ×4, first 2 shown]
	global_store_dwordx4 v[7:8], v[1:4], off
	v_mov_b32_e32 v7, s21
	v_cvt_f32_f16_e32 v1, v10
	v_mul_f32_e32 v4, v14, v15
	v_mul_f32_e32 v3, v14, v9
	v_mul_f32_e32 v2, v14, v16
	v_mul_f32_e32 v1, v14, v1
	v_addc_co_u32_e32 v6, vcc, v7, v6, vcc
	global_store_dwordx4 v[5:6], v[1:4], off
	s_and_b64 exec, exec, s[0:1]
	s_cbranch_execz .LBB63_12
; %bb.11:
	v_ashrrev_i32_e32 v1, 31, v0
	v_lshlrev_b64 v[0:1], 3, v[0:1]
	v_mov_b32_e32 v2, s23
	v_add_co_u32_e32 v0, vcc, s22, v0
	v_addc_co_u32_e32 v1, vcc, v2, v1, vcc
	global_store_dwordx2 v[0:1], v[30:31], off
.LBB63_12:
	s_endpgm
.LBB63_13:
                                        ; implicit-def: $vgpr36
                                        ; implicit-def: $vgpr56
                                        ; implicit-def: $vgpr61
                                        ; implicit-def: $vgpr60
                                        ; implicit-def: $vgpr59
                                        ; implicit-def: $vgpr58
                                        ; implicit-def: $vgpr57
.LBB63_14:
	s_sub_i32 s0, 0, s36
	s_mul_i32 s0, s0, s38
	s_mul_hi_u32 s0, s38, s0
	s_add_i32 s38, s38, s0
	s_load_dwordx4 s[24:27], s[4:5], 0x98
	s_load_dword s14, s[4:5], 0x54
	s_load_dwordx2 s[0:1], s[4:5], 0x8c
	s_abs_i32 s19, s29
	s_mul_hi_u32 s34, s19, s38
	s_waitcnt lgkmcnt(0)
	s_ashr_i32 s15, s26, 2
	s_ashr_i32 s26, s35, 1
	;; [unrolled: 1-line block ×4, first 2 shown]
	s_mul_hi_u32 s35, s24, s33
	s_mul_i32 s39, s24, s0
	s_add_i32 s35, s35, s39
	s_mul_i32 s25, s25, s33
	s_ashr_i32 s38, s29, 31
	s_ashr_i32 s37, s37, 31
	s_add_i32 s35, s35, s25
	s_mul_i32 s24, s24, s33
	s_add_u32 s10, s10, s24
	s_mul_i32 s25, s34, s36
	s_addc_u32 s11, s11, s35
	s_sub_i32 s19, s19, s25
	s_xor_b32 s24, s38, s37
	s_add_i32 s25, s34, 1
	s_sub_i32 s35, s19, s36
	s_cmp_ge_u32 s19, s36
	s_cselect_b32 s25, s25, s34
	s_cselect_b32 s19, s35, s19
	s_add_i32 s34, s25, 1
	s_cmp_ge_u32 s19, s36
	s_load_dwordx2 s[8:9], s[4:5], 0xa8
	s_cselect_b32 s19, s34, s25
	s_xor_b32 s19, s19, s24
	s_sub_i32 s19, s19, s24
	s_mul_i32 s1, s19, s1
	s_ashr_i32 s24, s1, 31
	s_add_u32 s10, s10, s1
	s_waitcnt lgkmcnt(0)
	s_mul_hi_u32 s1, s8, s33
	s_mul_i32 s0, s8, s0
	s_addc_u32 s11, s11, s24
	s_add_i32 s0, s1, s0
	s_mul_i32 s1, s9, s33
	s_add_i32 s0, s0, s1
	s_mul_i32 s1, s8, s33
	v_lshrrev_b32_e32 v5, 4, v0
	s_add_u32 s1, s12, s1
	s_mul_i32 s19, s19, s27
	v_lshl_add_u32 v6, v1, 1, v5
	s_addc_u32 s0, s13, s0
	s_ashr_i32 s8, s19, 31
	v_mul_lo_u32 v5, s18, v6
	s_add_u32 s12, s1, s19
	v_and_b32_e32 v16, 60, v34
	s_addc_u32 s13, s0, s8
	v_lshlrev_b32_e32 v7, 2, v16
	s_movk_i32 s0, 0x110
	v_mad_u32_u24 v37, v6, s0, v7
	s_lshl_b32 s0, s18, 4
	v_add_u32_e32 v7, s0, v5
	v_add_u32_e32 v10, s0, v7
	;; [unrolled: 1-line block ×3, first 2 shown]
	v_mad_u64_u32 v[13:14], s[0:1], v2, s26, v[0:1]
	v_mov_b32_e32 v2, 0x5400
	v_lshl_add_u32 v42, v1, 7, v2
	v_mul_lo_u32 v2, s15, v1
	s_lshl_b32 s0, s15, 3
	v_lshlrev_b32_e32 v44, 2, v34
	v_ashrrev_i32_e32 v6, 31, v5
	v_add_u32_e32 v24, s0, v2
	v_add_u32_e32 v26, s0, v24
	;; [unrolled: 1-line block ×3, first 2 shown]
	v_ashrrev_i32_e32 v8, 31, v7
	v_ashrrev_i32_e32 v11, 31, v10
	;; [unrolled: 1-line block ×3, first 2 shown]
	v_add_u32_e32 v45, v3, v44
	v_ashrrev_i32_e32 v3, 31, v2
	v_ashrrev_i32_e32 v25, 31, v24
	;; [unrolled: 1-line block ×4, first 2 shown]
	v_lshl_add_u32 v1, v1, 9, v44
	s_add_u32 s0, s4, 0xd0
	v_lshlrev_b64 v[14:15], 2, v[5:6]
	v_lshlrev_b32_e32 v49, 2, v16
	v_lshlrev_b64 v[16:17], 2, v[7:8]
	v_lshlrev_b64 v[18:19], 2, v[10:11]
	;; [unrolled: 1-line block ×7, first 2 shown]
	v_mov_b32_e32 v9, 0
	v_add_u32_e32 v38, 0x1100, v37
	v_add_u32_e32 v39, 0x2200, v37
	;; [unrolled: 1-line block ×3, first 2 shown]
	v_mul_u32_u24_e32 v41, 0x110, v0
	v_lshl_add_u32 v43, v0, 1, v42
	v_add_u32_e32 v46, 0x1000, v1
	v_add_u32_e32 v47, 0x2000, v1
	;; [unrolled: 1-line block ×3, first 2 shown]
	s_addc_u32 s1, s5, 0
	v_mov_b32_e32 v12, 0xfeffffff
	s_mov_b32 s19, 0x3f200000
	s_mov_b32 s24, 0x3fb8aa3b
	;; [unrolled: 1-line block ×4, first 2 shown]
	v_mov_b32_e32 v50, 0xbd5c1c4e
	v_mov_b32_e32 v51, 0x3e088382
	;; [unrolled: 1-line block ×3, first 2 shown]
	s_brev_b32 s27, -2
	s_mov_b32 s34, 0x10001
	v_mov_b32_e32 v53, 0x7f800000
	v_mbcnt_hi_u32_b32 v36, -1, v4
	v_mov_b32_e32 v10, 0
	v_mov_b32_e32 v55, 0
	;; [unrolled: 1-line block ×4, first 2 shown]
.LBB63_15:                              ; =>This Inner Loop Header: Depth=1
	s_mul_hi_i32 s9, s6, s18
	s_mul_i32 s8, s6, s18
	s_lshl_b64 s[8:9], s[8:9], 2
	s_add_u32 s8, s10, s8
	s_addc_u32 s9, s11, s9
	v_mov_b32_e32 v1, s9
	v_add_co_u32_e32 v2, vcc, s8, v14
	v_addc_co_u32_e32 v3, vcc, v1, v15, vcc
	v_add_co_u32_e32 v1, vcc, v2, v49
	v_addc_co_u32_e32 v2, vcc, 0, v3, vcc
	v_mov_b32_e32 v3, s9
	v_add_co_u32_e32 v4, vcc, s8, v16
	v_addc_co_u32_e32 v5, vcc, v3, v17, vcc
	v_add_co_u32_e32 v3, vcc, v4, v49
	v_addc_co_u32_e32 v4, vcc, 0, v5, vcc
	;; [unrolled: 5-line block ×3, first 2 shown]
	v_mov_b32_e32 v7, s9
	v_add_co_u32_e32 v8, vcc, s8, v20
	v_addc_co_u32_e32 v30, vcc, v7, v21, vcc
	v_add_co_u32_e32 v7, vcc, v8, v49
	global_load_dwordx4 v[56:59], v[1:2], off
	global_load_dwordx4 v[60:63], v[3:4], off
	v_addc_co_u32_e32 v8, vcc, 0, v30, vcc
	global_load_dwordx4 v[64:67], v[5:6], off
	global_load_dwordx4 v[68:71], v[7:8], off
	v_mov_b32_e32 v30, 0
	s_waitcnt vmcnt(3)
	ds_write_b128 v37, v[56:59]
	s_waitcnt vmcnt(2)
	ds_write_b128 v38, v[60:63]
	;; [unrolled: 2-line block ×4, first 2 shown]
	s_waitcnt lgkmcnt(0)
	s_barrier
	ds_read_b128 v[57:60], v41
	ds_read_b128 v[61:64], v35
	v_mov_b32_e32 v56, 0
	ds_read_b128 v[65:68], v41 offset:8704
	s_waitcnt lgkmcnt(1)
	;;#ASMSTART
	v_dot2_f32_f16 v56, v57, v61, v56
	;;#ASMEND
	;;#ASMSTART
	v_dot2_f32_f16 v56, v58, v62, v56
	;;#ASMEND
	;;#ASMSTART
	v_dot2_f32_f16 v56, v59, v63, v56
	;;#ASMEND
	;;#ASMSTART
	v_dot2_f32_f16 v56, v60, v64, v56
	;;#ASMEND
	s_waitcnt lgkmcnt(0)
	;;#ASMSTART
	v_dot2_f32_f16 v30, v65, v61, v30
	;;#ASMEND
	;;#ASMSTART
	v_dot2_f32_f16 v30, v66, v62, v30
	;;#ASMEND
	;;#ASMSTART
	v_dot2_f32_f16 v30, v67, v63, v30
	;;#ASMEND
	;;#ASMSTART
	v_dot2_f32_f16 v30, v68, v64, v30
	;;#ASMEND
	ds_read_b128 v[57:60], v41 offset:16
	ds_read_b128 v[61:64], v35 offset:16
	ds_read_b128 v[65:68], v41 offset:8720
	s_waitcnt lgkmcnt(1)
	;;#ASMSTART
	v_dot2_f32_f16 v56, v57, v61, v56
	;;#ASMEND
	;;#ASMSTART
	v_dot2_f32_f16 v56, v58, v62, v56
	;;#ASMEND
	;;#ASMSTART
	v_dot2_f32_f16 v56, v59, v63, v56
	;;#ASMEND
	;;#ASMSTART
	v_dot2_f32_f16 v56, v60, v64, v56
	;;#ASMEND
	s_waitcnt lgkmcnt(0)
	;;#ASMSTART
	v_dot2_f32_f16 v30, v65, v61, v30
	;;#ASMEND
	;;#ASMSTART
	v_dot2_f32_f16 v30, v66, v62, v30
	;;#ASMEND
	;;#ASMSTART
	v_dot2_f32_f16 v30, v67, v63, v30
	;;#ASMEND
	;;#ASMSTART
	v_dot2_f32_f16 v30, v68, v64, v30
	;;#ASMEND
	ds_read_b128 v[57:60], v41 offset:32
	ds_read_b128 v[61:64], v35 offset:32
	;; [unrolled: 29-line block ×15, first 2 shown]
	ds_read_b128 v[65:68], v41 offset:8944
	s_waitcnt lgkmcnt(1)
	;;#ASMSTART
	v_dot2_f32_f16 v56, v57, v61, v56
	;;#ASMEND
	;;#ASMSTART
	v_dot2_f32_f16 v56, v58, v62, v56
	;;#ASMEND
	;; [unrolled: 3-line block ×4, first 2 shown]
	s_waitcnt lgkmcnt(0)
	;;#ASMSTART
	v_dot2_f32_f16 v30, v65, v61, v30
	;;#ASMEND
	;;#ASMSTART
	v_dot2_f32_f16 v30, v66, v62, v30
	;;#ASMEND
	;; [unrolled: 3-line block ×4, first 2 shown]
	s_barrier
	global_load_dwordx4 v[57:60], v[1:2], off offset:256
	s_nop 0
	global_load_dwordx4 v[1:4], v[3:4], off offset:256
	s_nop 0
	;; [unrolled: 2-line block ×3, first 2 shown]
	global_load_dwordx4 v[5:8], v[7:8], off offset:256
	s_waitcnt vmcnt(3)
	ds_write_b128 v37, v[57:60]
	s_waitcnt vmcnt(2)
	ds_write_b128 v38, v[1:4]
	;; [unrolled: 2-line block ×4, first 2 shown]
	s_waitcnt lgkmcnt(0)
	s_barrier
	ds_read_b128 v[1:4], v41
	ds_read_b128 v[5:8], v35 offset:256
	ds_read_b128 v[57:60], v41 offset:8704
	s_waitcnt lgkmcnt(1)
	;;#ASMSTART
	v_dot2_f32_f16 v56, v1, v5, v56
	;;#ASMEND
	;;#ASMSTART
	v_dot2_f32_f16 v56, v2, v6, v56
	;;#ASMEND
	;;#ASMSTART
	v_dot2_f32_f16 v56, v3, v7, v56
	;;#ASMEND
	;;#ASMSTART
	v_dot2_f32_f16 v56, v4, v8, v56
	;;#ASMEND
	s_waitcnt lgkmcnt(0)
	;;#ASMSTART
	v_dot2_f32_f16 v30, v57, v5, v30
	;;#ASMEND
	;;#ASMSTART
	v_dot2_f32_f16 v30, v58, v6, v30
	;;#ASMEND
	;;#ASMSTART
	v_dot2_f32_f16 v30, v59, v7, v30
	;;#ASMEND
	;;#ASMSTART
	v_dot2_f32_f16 v30, v60, v8, v30
	;;#ASMEND
	ds_read_b128 v[1:4], v41 offset:16
	ds_read_b128 v[5:8], v35 offset:272
	ds_read_b128 v[57:60], v41 offset:8720
	s_waitcnt lgkmcnt(1)
	;;#ASMSTART
	v_dot2_f32_f16 v56, v1, v5, v56
	;;#ASMEND
	;;#ASMSTART
	v_dot2_f32_f16 v56, v2, v6, v56
	;;#ASMEND
	;;#ASMSTART
	v_dot2_f32_f16 v56, v3, v7, v56
	;;#ASMEND
	;;#ASMSTART
	v_dot2_f32_f16 v56, v4, v8, v56
	;;#ASMEND
	s_waitcnt lgkmcnt(0)
	;;#ASMSTART
	v_dot2_f32_f16 v30, v57, v5, v30
	;;#ASMEND
	;;#ASMSTART
	v_dot2_f32_f16 v30, v58, v6, v30
	;;#ASMEND
	;;#ASMSTART
	v_dot2_f32_f16 v30, v59, v7, v30
	;;#ASMEND
	;;#ASMSTART
	v_dot2_f32_f16 v30, v60, v8, v30
	;;#ASMEND
	ds_read_b128 v[1:4], v41 offset:32
	;; [unrolled: 29-line block ×15, first 2 shown]
	ds_read_b128 v[5:8], v35 offset:496
	ds_read_b128 v[57:60], v41 offset:8944
	s_waitcnt lgkmcnt(1)
	;;#ASMSTART
	v_dot2_f32_f16 v56, v1, v5, v56
	;;#ASMEND
	;;#ASMSTART
	v_dot2_f32_f16 v56, v2, v6, v56
	;;#ASMEND
	;;#ASMSTART
	v_dot2_f32_f16 v56, v3, v7, v56
	;;#ASMEND
	;;#ASMSTART
	v_dot2_f32_f16 v56, v4, v8, v56
	;;#ASMEND
	s_waitcnt lgkmcnt(0)
	;;#ASMSTART
	v_dot2_f32_f16 v30, v57, v5, v30
	;;#ASMEND
	;;#ASMSTART
	v_dot2_f32_f16 v30, v58, v6, v30
	;;#ASMEND
	;; [unrolled: 3-line block ×3, first 2 shown]
	v_cmp_nlt_f32_e64 s[8:9], |v56|, s19
	;;#ASMSTART
	v_dot2_f32_f16 v30, v60, v8, v30
	;;#ASMEND
                                        ; implicit-def: $vgpr3
	s_and_saveexec_b64 s[36:37], s[8:9]
	s_xor_b64 s[8:9], exec, s[36:37]
	s_cbranch_execz .LBB63_17
; %bb.16:                               ;   in Loop: Header=BB63_15 Depth=1
	v_add_f32_e64 v1, |v56|, |v56|
	v_mul_f32_e32 v2, 0x3fb8aa3b, v1
	v_rndne_f32_e32 v3, v2
	v_sub_f32_e32 v4, v2, v3
	v_fma_f32 v2, v1, s24, -v2
	v_fmac_f32_e32 v2, 0x32a5705f, v1
	v_add_f32_e32 v2, v4, v2
	v_cvt_i32_f32_e32 v3, v3
	v_exp_f32_e32 v2, v2
	v_cmp_ngt_f32_e32 vcc, s25, v1
	v_ldexp_f32 v2, v2, v3
	v_cndmask_b32_e32 v2, 0, v2, vcc
	v_cmp_nlt_f32_e32 vcc, s26, v1
	v_cndmask_b32_e32 v1, v53, v2, vcc
	v_add_f32_e32 v1, 1.0, v1
	v_rcp_f32_e32 v1, v1
	v_fma_f32 v3, v1, -2.0, 1.0
.LBB63_17:                              ;   in Loop: Header=BB63_15 Depth=1
	s_andn2_saveexec_b64 s[8:9], s[8:9]
; %bb.18:                               ;   in Loop: Header=BB63_15 Depth=1
	v_mul_f32_e32 v1, v56, v56
	v_mov_b32_e32 v2, 0x3ca908c9
	v_fmac_f32_e32 v2, 0xbbbac73d, v1
	v_fma_f32 v2, v1, v2, v50
	v_fma_f32 v2, v1, v2, v51
	;; [unrolled: 1-line block ×3, first 2 shown]
	v_mul_f32_e64 v2, |v56|, v2
	v_fma_f32 v3, v1, v2, |v56|
; %bb.19:                               ;   in Loop: Header=BB63_15 Depth=1
	s_or_b64 exec, exec, s[8:9]
	v_add_u32_e32 v1, s6, v13
	v_ashrrev_i32_e32 v2, 31, v1
	v_lshlrev_b64 v[1:2], 1, v[1:2]
	v_mov_b32_e32 v4, s31
	v_add_co_u32_e32 v1, vcc, s30, v1
	v_addc_co_u32_e32 v2, vcc, v4, v2, vcc
	global_load_ushort v4, v[1:2], off
	v_cmp_nlt_f32_e64 s[8:9], |v30|, s19
                                        ; implicit-def: $vgpr5
	s_and_saveexec_b64 s[36:37], s[8:9]
	s_xor_b64 s[8:9], exec, s[36:37]
	s_cbranch_execz .LBB63_21
; %bb.20:                               ;   in Loop: Header=BB63_15 Depth=1
	v_add_f32_e64 v5, |v30|, |v30|
	v_mul_f32_e32 v6, 0x3fb8aa3b, v5
	v_rndne_f32_e32 v7, v6
	v_sub_f32_e32 v8, v6, v7
	v_fma_f32 v6, v5, s24, -v6
	v_fmac_f32_e32 v6, 0x32a5705f, v5
	v_add_f32_e32 v6, v8, v6
	v_cvt_i32_f32_e32 v7, v7
	v_exp_f32_e32 v6, v6
	v_cmp_ngt_f32_e32 vcc, s25, v5
	v_ldexp_f32 v6, v6, v7
	v_cndmask_b32_e32 v6, 0, v6, vcc
	v_cmp_nlt_f32_e32 vcc, s26, v5
	v_cndmask_b32_e32 v5, v53, v6, vcc
	v_add_f32_e32 v5, 1.0, v5
	v_rcp_f32_e32 v5, v5
	v_fma_f32 v5, v5, -2.0, 1.0
.LBB63_21:                              ;   in Loop: Header=BB63_15 Depth=1
	s_andn2_saveexec_b64 s[8:9], s[8:9]
; %bb.22:                               ;   in Loop: Header=BB63_15 Depth=1
	v_mul_f32_e32 v5, v30, v30
	v_mov_b32_e32 v6, 0x3ca908c9
	v_fmac_f32_e32 v6, 0xbbbac73d, v5
	v_fma_f32 v6, v5, v6, v50
	v_fma_f32 v6, v5, v6, v51
	;; [unrolled: 1-line block ×3, first 2 shown]
	v_mul_f32_e64 v6, |v30|, v6
	v_fma_f32 v5, v5, v6, |v30|
; %bb.23:                               ;   in Loop: Header=BB63_15 Depth=1
	s_or_b64 exec, exec, s[8:9]
	global_load_ushort v1, v[1:2], off offset:64
	v_and_b32_e32 v6, 0x60, v36
	v_bfi_b32 v3, s27, v3, v56
	v_xor_b32_e32 v57, 1, v36
	v_add_u32_e32 v56, 32, v6
	v_cmp_lt_i32_e32 vcc, v57, v56
	v_xor_b32_e32 v58, 2, v36
	v_cndmask_b32_e32 v6, v36, v57, vcc
	v_cmp_lt_i32_e32 vcc, v58, v56
	v_xor_b32_e32 v59, 4, v36
	v_cndmask_b32_e32 v7, v36, v58, vcc
	v_cmp_lt_i32_e32 vcc, v59, v56
	v_xor_b32_e32 v60, 8, v36
	v_cndmask_b32_e32 v8, v36, v59, vcc
	v_cmp_lt_i32_e32 vcc, v60, v56
	v_xor_b32_e32 v61, 16, v36
	v_bfi_b32 v5, s27, v5, v30
	s_waitcnt vmcnt(1)
	v_fma_mix_f32 v3, s14, v3, v4 op_sel_hi:[0,0,1]
	v_cndmask_b32_e32 v62, v36, v60, vcc
	v_cmp_lt_i32_e32 vcc, v61, v56
	v_add_f32_e32 v4, 0x40051340, v3
	v_cndmask_b32_e32 v63, v36, v61, vcc
	v_lshlrev_b32_e32 v8, 2, v8
	v_lshlrev_b32_e32 v7, 2, v7
	;; [unrolled: 1-line block ×3, first 2 shown]
	s_mul_hi_i32 s9, s6, s15
	s_mul_i32 s8, s6, s15
	s_lshl_b64 s[8:9], s[8:9], 2
	s_add_u32 s8, s12, s8
	s_addc_u32 s9, s13, s9
	s_waitcnt vmcnt(0)
	s_barrier
	v_fma_mix_f32 v1, s14, v5, v1 op_sel_hi:[0,0,1]
	v_add_f32_e32 v2, 0x40051340, v1
	v_max3_f32 v2, v12, v4, v2
	v_lshlrev_b32_e32 v4, 2, v63
	ds_bpermute_b32 v4, v4, v2
	v_lshlrev_b32_e32 v5, 2, v62
	s_waitcnt lgkmcnt(0)
	v_max_f32_e32 v4, v4, v4
	v_max_f32_e32 v2, v2, v4
	ds_bpermute_b32 v4, v5, v2
	s_waitcnt lgkmcnt(0)
	v_max_f32_e32 v4, v4, v4
	v_max_f32_e32 v2, v2, v4
	ds_bpermute_b32 v4, v8, v2
	s_waitcnt lgkmcnt(0)
	v_max_f32_e32 v4, v4, v4
	v_max_f32_e32 v2, v2, v4
	ds_bpermute_b32 v4, v7, v2
	s_waitcnt lgkmcnt(0)
	v_max_f32_e32 v4, v4, v4
	v_max_f32_e32 v2, v2, v4
	ds_bpermute_b32 v4, v6, v2
	s_waitcnt lgkmcnt(0)
	v_max_f32_e32 v4, v4, v4
	v_max_f32_e32 v30, v2, v4
	v_sub_f32_e32 v3, v3, v30
	v_mul_f32_e32 v4, 0x3fb8aa3b, v3
	v_fma_f32 v5, v3, s24, -v4
	v_rndne_f32_e32 v6, v4
	v_fmac_f32_e32 v5, 0x32a5705f, v3
	v_sub_f32_e32 v4, v4, v6
	v_add_f32_e32 v4, v4, v5
	v_exp_f32_e32 v4, v4
	v_cvt_i32_f32_e32 v5, v6
	v_sub_f32_e32 v1, v1, v30
	v_cmp_ngt_f32_e32 vcc, s25, v3
	v_sub_f32_e32 v2, v12, v30
	v_ldexp_f32 v4, v4, v5
	v_mul_f32_e32 v5, 0x3fb8aa3b, v1
	v_fma_f32 v6, v1, s24, -v5
	v_rndne_f32_e32 v7, v5
	v_fmac_f32_e32 v6, 0x32a5705f, v1
	v_sub_f32_e32 v5, v5, v7
	v_add_f32_e32 v5, v5, v6
	v_exp_f32_e32 v5, v5
	v_cvt_i32_f32_e32 v6, v7
	v_cndmask_b32_e32 v4, 0, v4, vcc
	v_cmp_nlt_f32_e32 vcc, s26, v3
	v_cndmask_b32_e32 v3, v53, v4, vcc
	v_ldexp_f32 v5, v5, v6
	v_cmp_ngt_f32_e32 vcc, s25, v1
	v_cndmask_b32_e32 v5, 0, v5, vcc
	v_cmp_nlt_f32_e32 vcc, s26, v1
	v_cndmask_b32_e32 v1, v53, v5, vcc
	v_cvt_f16_f32_e32 v4, v3
	v_add_f32_e32 v62, v3, v1
	v_mul_f32_e32 v3, 0x3fb8aa3b, v2
	v_fma_f32 v5, v2, s24, -v3
	v_rndne_f32_e32 v6, v3
	v_fmac_f32_e32 v5, 0x32a5705f, v2
	v_sub_f32_e32 v3, v3, v6
	v_add_f32_e32 v3, v3, v5
	v_exp_f32_e32 v3, v3
	v_cvt_i32_f32_e32 v5, v6
	v_cmp_ngt_f32_e32 vcc, s25, v2
	v_cvt_f16_f32_e32 v1, v1
	ds_write_b16 v43, v4
	ds_write_b16 v43, v1 offset:64
	v_ldexp_f32 v3, v3, v5
	v_cndmask_b32_e32 v3, 0, v3, vcc
	v_cmp_nlt_f32_e32 vcc, s26, v2
	v_cndmask_b32_e32 v2, v53, v3, vcc
	v_fmac_f32_e32 v62, v11, v2
	v_cvt_f16_f32_e32 v2, v2
	v_add_co_u32_e32 v1, vcc, s8, v22
	v_mul_u32_u24_e32 v63, 0x10001, v2
	v_mov_b32_e32 v2, s9
	v_addc_co_u32_e32 v2, vcc, v2, v23, vcc
	v_add_co_u32_e32 v1, vcc, v1, v44
	v_addc_co_u32_e32 v2, vcc, 0, v2, vcc
	global_load_dwordx4 v[1:4], v[1:2], off
	v_pk_mul_f16 v64, v10, v63
	v_pk_mul_f16 v65, v9, v63
	s_waitcnt vmcnt(0)
	ds_write_b128 v45, v[1:4]
	v_add_co_u32_e32 v1, vcc, s8, v24
	v_mov_b32_e32 v2, s9
	v_addc_co_u32_e32 v2, vcc, v2, v25, vcc
	v_add_co_u32_e32 v1, vcc, v1, v44
	v_addc_co_u32_e32 v2, vcc, 0, v2, vcc
	global_load_dwordx4 v[1:4], v[1:2], off
	s_waitcnt vmcnt(0)
	ds_write_b128 v46, v[1:4]
	v_add_co_u32_e32 v1, vcc, s8, v26
	v_mov_b32_e32 v2, s9
	v_addc_co_u32_e32 v2, vcc, v2, v27, vcc
	v_add_co_u32_e32 v1, vcc, v1, v44
	v_addc_co_u32_e32 v2, vcc, 0, v2, vcc
	global_load_dwordx4 v[1:4], v[1:2], off
	;; [unrolled: 8-line block ×3, first 2 shown]
	s_or_b32 s8, s6, 32
	s_mul_hi_i32 s9, s8, s15
	s_mul_i32 s8, s8, s15
	s_lshl_b64 s[8:9], s[8:9], 2
	s_add_u32 s8, s12, s8
	s_addc_u32 s9, s13, s9
	s_waitcnt vmcnt(0)
	ds_write_b128 v48, v[1:4]
	s_waitcnt lgkmcnt(0)
	s_barrier
	ds_read2_b64 v[66:69], v31 offset1:32
	ds_read_b128 v[70:73], v42
	ds_read_b128 v[9:12], v42 offset:16
	ds_read_b128 v[5:8], v42 offset:32
	;; [unrolled: 1-line block ×3, first 2 shown]
	s_waitcnt lgkmcnt(3)
	v_mul_u32_u24_sdwa v74, v70, s34 dst_sel:DWORD dst_unused:UNUSED_PAD src0_sel:WORD_0 src1_sel:DWORD
	v_pk_mul_f16 v66, v66, v74
	v_pk_fma_f16 v54, v54, v63, v66
	v_pk_mul_f16 v66, v67, v74
	v_pk_fma_f16 v55, v55, v63, v66
	v_pk_fma_f16 v67, v68, v74, v64
	v_pk_fma_f16 v68, v69, v74, v65
	ds_read2_b64 v[63:66], v31 offset0:64 offset1:96
	v_mul_u32_u24_sdwa v69, v70, s34 dst_sel:DWORD dst_unused:UNUSED_PAD src0_sel:WORD_1 src1_sel:DWORD
	v_mul_u32_u24_sdwa v70, v72, s34 dst_sel:DWORD dst_unused:UNUSED_PAD src0_sel:WORD_0 src1_sel:DWORD
	s_waitcnt lgkmcnt(0)
	v_pk_fma_f16 v54, v63, v69, v54
	v_pk_fma_f16 v55, v64, v69, v55
	;; [unrolled: 1-line block ×4, first 2 shown]
	ds_read2_b64 v[63:66], v31 offset0:128 offset1:160
	v_mul_u32_u24_sdwa v69, v71, s34 dst_sel:DWORD dst_unused:UNUSED_PAD src0_sel:WORD_0 src1_sel:DWORD
	s_waitcnt lgkmcnt(0)
	v_pk_fma_f16 v54, v63, v69, v54
	v_pk_fma_f16 v55, v64, v69, v55
	;; [unrolled: 1-line block ×4, first 2 shown]
	ds_read2_b64 v[63:66], v31 offset0:192 offset1:224
	v_mul_u32_u24_sdwa v69, v71, s34 dst_sel:DWORD dst_unused:UNUSED_PAD src0_sel:WORD_1 src1_sel:DWORD
	v_mul_u32_u24_sdwa v71, v9, s34 dst_sel:DWORD dst_unused:UNUSED_PAD src0_sel:WORD_0 src1_sel:DWORD
	v_mul_u32_u24_sdwa v9, v9, s34 dst_sel:DWORD dst_unused:UNUSED_PAD src0_sel:WORD_1 src1_sel:DWORD
	s_waitcnt lgkmcnt(0)
	v_pk_fma_f16 v55, v64, v69, v55
	v_add_u32_e32 v64, 0x800, v31
	v_pk_fma_f16 v54, v63, v69, v54
	v_pk_fma_f16 v63, v65, v69, v67
	;; [unrolled: 1-line block ×3, first 2 shown]
	ds_read2_b64 v[65:68], v64 offset1:32
	s_waitcnt lgkmcnt(0)
	v_pk_fma_f16 v54, v65, v70, v54
	v_pk_fma_f16 v55, v66, v70, v55
	;; [unrolled: 1-line block ×4, first 2 shown]
	ds_read2_b64 v[65:68], v64 offset0:64 offset1:96
	v_mul_u32_u24_sdwa v70, v72, s34 dst_sel:DWORD dst_unused:UNUSED_PAD src0_sel:WORD_1 src1_sel:DWORD
	s_waitcnt lgkmcnt(0)
	v_pk_fma_f16 v54, v65, v70, v54
	v_pk_fma_f16 v55, v66, v70, v55
	v_pk_fma_f16 v63, v67, v70, v63
	v_pk_fma_f16 v69, v68, v70, v69
	ds_read2_b64 v[65:68], v64 offset0:128 offset1:160
	v_mul_u32_u24_sdwa v70, v73, s34 dst_sel:DWORD dst_unused:UNUSED_PAD src0_sel:WORD_0 src1_sel:DWORD
	s_waitcnt lgkmcnt(0)
	v_pk_fma_f16 v54, v65, v70, v54
	v_pk_fma_f16 v55, v66, v70, v55
	;; [unrolled: 1-line block ×4, first 2 shown]
	ds_read2_b64 v[65:68], v64 offset0:192 offset1:224
	v_mul_u32_u24_sdwa v70, v73, s34 dst_sel:DWORD dst_unused:UNUSED_PAD src0_sel:WORD_1 src1_sel:DWORD
	s_waitcnt lgkmcnt(0)
	v_pk_fma_f16 v54, v65, v70, v54
	v_add_u32_e32 v65, 0x1000, v31
	v_pk_fma_f16 v55, v66, v70, v55
	v_pk_fma_f16 v63, v67, v70, v63
	;; [unrolled: 1-line block ×3, first 2 shown]
	ds_read2_b64 v[66:69], v65 offset1:32
	s_waitcnt lgkmcnt(0)
	v_pk_fma_f16 v54, v66, v71, v54
	v_pk_fma_f16 v55, v67, v71, v55
	;; [unrolled: 1-line block ×4, first 2 shown]
	ds_read2_b64 v[66:69], v65 offset0:64 offset1:96
	s_waitcnt lgkmcnt(0)
	v_pk_fma_f16 v54, v66, v9, v54
	v_pk_fma_f16 v55, v67, v9, v55
	;; [unrolled: 1-line block ×4, first 2 shown]
	ds_read2_b64 v[66:69], v65 offset0:128 offset1:160
	v_mul_u32_u24_sdwa v70, v10, s34 dst_sel:DWORD dst_unused:UNUSED_PAD src0_sel:WORD_0 src1_sel:DWORD
	v_mul_u32_u24_sdwa v10, v10, s34 dst_sel:DWORD dst_unused:UNUSED_PAD src0_sel:WORD_1 src1_sel:DWORD
	s_waitcnt lgkmcnt(0)
	v_pk_fma_f16 v54, v66, v70, v54
	v_pk_fma_f16 v55, v67, v70, v55
	;; [unrolled: 1-line block ×4, first 2 shown]
	ds_read2_b64 v[66:69], v65 offset0:192 offset1:224
	s_waitcnt lgkmcnt(0)
	v_pk_fma_f16 v54, v66, v10, v54
	v_add_u32_e32 v66, 0x1800, v31
	v_pk_fma_f16 v55, v67, v10, v55
	v_pk_fma_f16 v63, v68, v10, v63
	;; [unrolled: 1-line block ×3, first 2 shown]
	ds_read2_b64 v[67:70], v66 offset1:32
	v_mul_u32_u24_sdwa v10, v11, s34 dst_sel:DWORD dst_unused:UNUSED_PAD src0_sel:WORD_0 src1_sel:DWORD
	s_waitcnt lgkmcnt(0)
	v_pk_fma_f16 v54, v67, v10, v54
	v_pk_fma_f16 v55, v68, v10, v55
	v_pk_fma_f16 v63, v69, v10, v63
	v_pk_fma_f16 v9, v70, v10, v9
	ds_read2_b64 v[67:70], v66 offset0:64 offset1:96
	v_mul_u32_u24_sdwa v10, v11, s34 dst_sel:DWORD dst_unused:UNUSED_PAD src0_sel:WORD_1 src1_sel:DWORD
	s_waitcnt lgkmcnt(0)
	v_pk_fma_f16 v11, v67, v10, v54
	v_pk_fma_f16 v54, v68, v10, v55
	;; [unrolled: 1-line block ×4, first 2 shown]
	ds_read2_b64 v[67:70], v66 offset0:128 offset1:160
	v_mul_u32_u24_sdwa v10, v12, s34 dst_sel:DWORD dst_unused:UNUSED_PAD src0_sel:WORD_0 src1_sel:DWORD
	s_waitcnt lgkmcnt(0)
	v_pk_fma_f16 v11, v67, v10, v11
	v_pk_fma_f16 v54, v68, v10, v54
	v_pk_fma_f16 v55, v69, v10, v55
	v_pk_fma_f16 v9, v70, v10, v9
	ds_read2_b64 v[67:70], v66 offset0:192 offset1:224
	v_mul_u32_u24_sdwa v10, v12, s34 dst_sel:DWORD dst_unused:UNUSED_PAD src0_sel:WORD_1 src1_sel:DWORD
	s_waitcnt lgkmcnt(0)
	v_pk_fma_f16 v63, v67, v10, v11
	v_add_u32_e32 v67, 0x2000, v31
	v_pk_fma_f16 v54, v68, v10, v54
	v_pk_fma_f16 v55, v69, v10, v55
	;; [unrolled: 1-line block ×3, first 2 shown]
	ds_read2_b64 v[9:12], v67 offset1:32
	v_mul_u32_u24_sdwa v69, v5, s34 dst_sel:DWORD dst_unused:UNUSED_PAD src0_sel:WORD_0 src1_sel:DWORD
	v_mul_u32_u24_sdwa v5, v5, s34 dst_sel:DWORD dst_unused:UNUSED_PAD src0_sel:WORD_1 src1_sel:DWORD
	s_waitcnt lgkmcnt(0)
	v_pk_fma_f16 v63, v9, v69, v63
	v_pk_fma_f16 v54, v10, v69, v54
	;; [unrolled: 1-line block ×4, first 2 shown]
	ds_read2_b64 v[9:12], v67 offset0:64 offset1:96
	s_waitcnt lgkmcnt(0)
	v_pk_fma_f16 v63, v9, v5, v63
	v_pk_fma_f16 v54, v10, v5, v54
	;; [unrolled: 1-line block ×4, first 2 shown]
	ds_read2_b64 v[9:12], v67 offset0:128 offset1:160
	v_mul_u32_u24_sdwa v68, v6, s34 dst_sel:DWORD dst_unused:UNUSED_PAD src0_sel:WORD_0 src1_sel:DWORD
	v_mul_u32_u24_sdwa v6, v6, s34 dst_sel:DWORD dst_unused:UNUSED_PAD src0_sel:WORD_1 src1_sel:DWORD
	s_waitcnt lgkmcnt(0)
	v_pk_fma_f16 v63, v9, v68, v63
	v_pk_fma_f16 v54, v10, v68, v54
	;; [unrolled: 1-line block ×4, first 2 shown]
	ds_read2_b64 v[9:12], v67 offset0:192 offset1:224
	s_waitcnt lgkmcnt(0)
	v_pk_fma_f16 v68, v9, v6, v63
	v_add_u32_e32 v63, 0x2800, v31
	v_pk_fma_f16 v54, v10, v6, v54
	v_pk_fma_f16 v55, v11, v6, v55
	;; [unrolled: 1-line block ×3, first 2 shown]
	ds_read2_b64 v[9:12], v63 offset1:32
	v_mul_u32_u24_sdwa v6, v7, s34 dst_sel:DWORD dst_unused:UNUSED_PAD src0_sel:WORD_0 src1_sel:DWORD
	s_waitcnt lgkmcnt(0)
	v_pk_fma_f16 v68, v9, v6, v68
	v_pk_fma_f16 v54, v10, v6, v54
	;; [unrolled: 1-line block ×4, first 2 shown]
	ds_read2_b64 v[9:12], v63 offset0:64 offset1:96
	v_mul_u32_u24_sdwa v6, v7, s34 dst_sel:DWORD dst_unused:UNUSED_PAD src0_sel:WORD_1 src1_sel:DWORD
	s_waitcnt lgkmcnt(0)
	v_pk_fma_f16 v7, v9, v6, v68
	v_pk_fma_f16 v54, v10, v6, v54
	;; [unrolled: 1-line block ×4, first 2 shown]
	ds_read2_b64 v[9:12], v63 offset0:128 offset1:160
	v_mul_u32_u24_sdwa v6, v8, s34 dst_sel:DWORD dst_unused:UNUSED_PAD src0_sel:WORD_0 src1_sel:DWORD
	s_waitcnt lgkmcnt(0)
	v_pk_fma_f16 v7, v9, v6, v7
	v_pk_fma_f16 v54, v10, v6, v54
	;; [unrolled: 1-line block ×4, first 2 shown]
	ds_read2_b64 v[9:12], v63 offset0:192 offset1:224
	v_mul_u32_u24_sdwa v6, v8, s34 dst_sel:DWORD dst_unused:UNUSED_PAD src0_sel:WORD_1 src1_sel:DWORD
	s_waitcnt lgkmcnt(0)
	v_pk_fma_f16 v11, v11, v6, v55
	v_add_u32_e32 v55, 0x3000, v31
	v_pk_fma_f16 v9, v9, v6, v7
	v_pk_fma_f16 v10, v10, v6, v54
	;; [unrolled: 1-line block ×3, first 2 shown]
	ds_read2_b64 v[5:8], v55 offset1:32
	v_mul_u32_u24_sdwa v54, v1, s34 dst_sel:DWORD dst_unused:UNUSED_PAD src0_sel:WORD_0 src1_sel:DWORD
	v_mul_u32_u24_sdwa v1, v1, s34 dst_sel:DWORD dst_unused:UNUSED_PAD src0_sel:WORD_1 src1_sel:DWORD
	s_waitcnt lgkmcnt(0)
	v_pk_fma_f16 v9, v5, v54, v9
	v_pk_fma_f16 v10, v6, v54, v10
	;; [unrolled: 1-line block ×4, first 2 shown]
	ds_read2_b64 v[5:8], v55 offset0:64 offset1:96
	v_add_u32_e32 v54, 0x3800, v31
	s_waitcnt lgkmcnt(0)
	v_pk_fma_f16 v9, v5, v1, v9
	v_pk_fma_f16 v10, v6, v1, v10
	;; [unrolled: 1-line block ×4, first 2 shown]
	ds_read2_b64 v[5:8], v55 offset0:128 offset1:160
	v_mul_u32_u24_sdwa v12, v2, s34 dst_sel:DWORD dst_unused:UNUSED_PAD src0_sel:WORD_0 src1_sel:DWORD
	v_mul_u32_u24_sdwa v2, v2, s34 dst_sel:DWORD dst_unused:UNUSED_PAD src0_sel:WORD_1 src1_sel:DWORD
	s_waitcnt lgkmcnt(0)
	v_pk_fma_f16 v9, v5, v12, v9
	v_pk_fma_f16 v10, v6, v12, v10
	;; [unrolled: 1-line block ×4, first 2 shown]
	ds_read2_b64 v[5:8], v55 offset0:192 offset1:224
	s_waitcnt lgkmcnt(0)
	v_pk_fma_f16 v9, v5, v2, v9
	v_pk_fma_f16 v10, v6, v2, v10
	;; [unrolled: 1-line block ×4, first 2 shown]
	ds_read2_b64 v[5:8], v54 offset1:32
	v_mul_u32_u24_sdwa v2, v3, s34 dst_sel:DWORD dst_unused:UNUSED_PAD src0_sel:WORD_0 src1_sel:DWORD
	s_waitcnt lgkmcnt(0)
	v_pk_fma_f16 v9, v5, v2, v9
	v_pk_fma_f16 v10, v6, v2, v10
	;; [unrolled: 1-line block ×4, first 2 shown]
	ds_read2_b64 v[5:8], v54 offset0:64 offset1:96
	v_mul_u32_u24_sdwa v2, v3, s34 dst_sel:DWORD dst_unused:UNUSED_PAD src0_sel:WORD_1 src1_sel:DWORD
	s_waitcnt lgkmcnt(0)
	v_pk_fma_f16 v3, v5, v2, v9
	v_pk_fma_f16 v9, v6, v2, v10
	;; [unrolled: 1-line block ×4, first 2 shown]
	ds_read2_b64 v[5:8], v54 offset0:128 offset1:160
	v_mul_u32_u24_sdwa v2, v4, s34 dst_sel:DWORD dst_unused:UNUSED_PAD src0_sel:WORD_0 src1_sel:DWORD
	s_waitcnt lgkmcnt(0)
	v_pk_fma_f16 v3, v5, v2, v3
	v_pk_fma_f16 v9, v6, v2, v9
	;; [unrolled: 1-line block ×4, first 2 shown]
	ds_read2_b64 v[5:8], v54 offset0:192 offset1:224
	v_mul_u32_u24_sdwa v2, v4, s34 dst_sel:DWORD dst_unused:UNUSED_PAD src0_sel:WORD_1 src1_sel:DWORD
	s_waitcnt lgkmcnt(0)
	s_barrier
	v_pk_fma_f16 v76, v5, v2, v3
	v_pk_fma_f16 v77, v6, v2, v9
	;; [unrolled: 1-line block ×4, first 2 shown]
	v_add_co_u32_e32 v1, vcc, s8, v22
	v_mov_b32_e32 v2, s9
	v_addc_co_u32_e32 v2, vcc, v2, v23, vcc
	v_add_co_u32_e32 v1, vcc, v1, v44
	v_addc_co_u32_e32 v2, vcc, 0, v2, vcc
	global_load_dwordx4 v[1:4], v[1:2], off
	s_waitcnt vmcnt(0)
	ds_write_b128 v45, v[1:4]
	v_add_co_u32_e32 v1, vcc, s8, v24
	v_mov_b32_e32 v2, s9
	v_addc_co_u32_e32 v2, vcc, v2, v25, vcc
	v_add_co_u32_e32 v1, vcc, v1, v44
	v_addc_co_u32_e32 v2, vcc, 0, v2, vcc
	global_load_dwordx4 v[1:4], v[1:2], off
	s_waitcnt vmcnt(0)
	ds_write_b128 v46, v[1:4]
	;; [unrolled: 8-line block ×4, first 2 shown]
	s_waitcnt lgkmcnt(0)
	s_barrier
	ds_read2_b64 v[68:71], v31 offset1:32
	ds_read_b128 v[72:75], v42 offset:64
	ds_read_b128 v[9:12], v42 offset:80
	;; [unrolled: 1-line block ×4, first 2 shown]
	s_waitcnt lgkmcnt(3)
	v_mul_u32_u24_sdwa v80, v72, s34 dst_sel:DWORD dst_unused:UNUSED_PAD src0_sel:WORD_0 src1_sel:DWORD
	v_pk_fma_f16 v76, v68, v80, v76
	v_pk_fma_f16 v77, v69, v80, v77
	;; [unrolled: 1-line block ×4, first 2 shown]
	ds_read2_b64 v[68:71], v31 offset0:64 offset1:96
	v_mul_u32_u24_sdwa v72, v72, s34 dst_sel:DWORD dst_unused:UNUSED_PAD src0_sel:WORD_1 src1_sel:DWORD
	s_waitcnt lgkmcnt(0)
	v_pk_fma_f16 v76, v68, v72, v76
	v_pk_fma_f16 v77, v69, v72, v77
	;; [unrolled: 1-line block ×4, first 2 shown]
	ds_read2_b64 v[68:71], v31 offset0:128 offset1:160
	v_mul_u32_u24_sdwa v79, v73, s34 dst_sel:DWORD dst_unused:UNUSED_PAD src0_sel:WORD_0 src1_sel:DWORD
	v_mul_u32_u24_sdwa v73, v73, s34 dst_sel:DWORD dst_unused:UNUSED_PAD src0_sel:WORD_1 src1_sel:DWORD
	s_waitcnt lgkmcnt(0)
	v_pk_fma_f16 v76, v68, v79, v76
	v_pk_fma_f16 v77, v69, v79, v77
	;; [unrolled: 1-line block ×4, first 2 shown]
	ds_read2_b64 v[68:71], v31 offset0:192 offset1:224
	s_waitcnt lgkmcnt(0)
	v_pk_fma_f16 v76, v68, v73, v76
	v_pk_fma_f16 v77, v69, v73, v77
	v_pk_fma_f16 v78, v70, v73, v78
	v_pk_fma_f16 v72, v71, v73, v72
	ds_read2_b64 v[68:71], v64 offset1:32
	v_mul_u32_u24_sdwa v73, v74, s34 dst_sel:DWORD dst_unused:UNUSED_PAD src0_sel:WORD_0 src1_sel:DWORD
	s_waitcnt lgkmcnt(0)
	v_pk_fma_f16 v76, v68, v73, v76
	v_pk_fma_f16 v77, v69, v73, v77
	;; [unrolled: 1-line block ×4, first 2 shown]
	ds_read2_b64 v[68:71], v64 offset0:64 offset1:96
	v_mul_u32_u24_sdwa v73, v74, s34 dst_sel:DWORD dst_unused:UNUSED_PAD src0_sel:WORD_1 src1_sel:DWORD
	s_waitcnt lgkmcnt(0)
	v_pk_fma_f16 v74, v68, v73, v76
	v_pk_fma_f16 v76, v69, v73, v77
	;; [unrolled: 1-line block ×4, first 2 shown]
	ds_read2_b64 v[68:71], v64 offset0:128 offset1:160
	v_mul_u32_u24_sdwa v73, v75, s34 dst_sel:DWORD dst_unused:UNUSED_PAD src0_sel:WORD_0 src1_sel:DWORD
	s_waitcnt lgkmcnt(0)
	v_pk_fma_f16 v74, v68, v73, v74
	v_pk_fma_f16 v76, v69, v73, v76
	;; [unrolled: 1-line block ×4, first 2 shown]
	ds_read2_b64 v[68:71], v64 offset0:192 offset1:224
	v_mul_u32_u24_sdwa v64, v75, s34 dst_sel:DWORD dst_unused:UNUSED_PAD src0_sel:WORD_1 src1_sel:DWORD
	s_waitcnt lgkmcnt(0)
	v_pk_fma_f16 v73, v68, v64, v74
	v_pk_fma_f16 v74, v69, v64, v76
	;; [unrolled: 1-line block ×4, first 2 shown]
	ds_read2_b64 v[68:71], v65 offset1:32
	v_mul_u32_u24_sdwa v72, v9, s34 dst_sel:DWORD dst_unused:UNUSED_PAD src0_sel:WORD_0 src1_sel:DWORD
	v_mul_u32_u24_sdwa v9, v9, s34 dst_sel:DWORD dst_unused:UNUSED_PAD src0_sel:WORD_1 src1_sel:DWORD
	s_waitcnt lgkmcnt(0)
	v_pk_fma_f16 v73, v68, v72, v73
	v_pk_fma_f16 v74, v69, v72, v74
	;; [unrolled: 1-line block ×4, first 2 shown]
	ds_read2_b64 v[68:71], v65 offset0:64 offset1:96
	s_waitcnt lgkmcnt(0)
	v_pk_fma_f16 v72, v68, v9, v73
	v_pk_fma_f16 v73, v69, v9, v74
	;; [unrolled: 1-line block ×4, first 2 shown]
	ds_read2_b64 v[68:71], v65 offset0:128 offset1:160
	v_mul_u32_u24_sdwa v64, v10, s34 dst_sel:DWORD dst_unused:UNUSED_PAD src0_sel:WORD_0 src1_sel:DWORD
	v_mul_u32_u24_sdwa v10, v10, s34 dst_sel:DWORD dst_unused:UNUSED_PAD src0_sel:WORD_1 src1_sel:DWORD
	s_waitcnt lgkmcnt(0)
	v_pk_fma_f16 v72, v68, v64, v72
	v_pk_fma_f16 v73, v69, v64, v73
	;; [unrolled: 1-line block ×4, first 2 shown]
	ds_read2_b64 v[68:71], v65 offset0:192 offset1:224
	s_waitcnt lgkmcnt(0)
	v_pk_fma_f16 v64, v68, v10, v72
	v_pk_fma_f16 v65, v69, v10, v73
	;; [unrolled: 1-line block ×4, first 2 shown]
	ds_read2_b64 v[68:71], v66 offset1:32
	v_mul_u32_u24_sdwa v10, v11, s34 dst_sel:DWORD dst_unused:UNUSED_PAD src0_sel:WORD_0 src1_sel:DWORD
	s_waitcnt lgkmcnt(0)
	v_pk_fma_f16 v64, v68, v10, v64
	v_pk_fma_f16 v65, v69, v10, v65
	;; [unrolled: 1-line block ×4, first 2 shown]
	ds_read2_b64 v[68:71], v66 offset0:64 offset1:96
	v_mul_u32_u24_sdwa v10, v11, s34 dst_sel:DWORD dst_unused:UNUSED_PAD src0_sel:WORD_1 src1_sel:DWORD
	s_waitcnt lgkmcnt(0)
	v_pk_fma_f16 v11, v68, v10, v64
	v_pk_fma_f16 v64, v69, v10, v65
	;; [unrolled: 1-line block ×4, first 2 shown]
	ds_read2_b64 v[68:71], v66 offset0:128 offset1:160
	v_mul_u32_u24_sdwa v10, v12, s34 dst_sel:DWORD dst_unused:UNUSED_PAD src0_sel:WORD_0 src1_sel:DWORD
	s_waitcnt lgkmcnt(0)
	v_pk_fma_f16 v11, v68, v10, v11
	v_pk_fma_f16 v64, v69, v10, v64
	;; [unrolled: 1-line block ×4, first 2 shown]
	ds_read2_b64 v[68:71], v66 offset0:192 offset1:224
	v_mul_u32_u24_sdwa v10, v12, s34 dst_sel:DWORD dst_unused:UNUSED_PAD src0_sel:WORD_1 src1_sel:DWORD
	s_waitcnt lgkmcnt(0)
	v_pk_fma_f16 v66, v68, v10, v11
	v_pk_fma_f16 v64, v69, v10, v64
	;; [unrolled: 1-line block ×4, first 2 shown]
	ds_read2_b64 v[9:12], v67 offset1:32
	v_mul_u32_u24_sdwa v69, v5, s34 dst_sel:DWORD dst_unused:UNUSED_PAD src0_sel:WORD_0 src1_sel:DWORD
	v_mul_u32_u24_sdwa v5, v5, s34 dst_sel:DWORD dst_unused:UNUSED_PAD src0_sel:WORD_1 src1_sel:DWORD
	s_waitcnt lgkmcnt(0)
	v_pk_fma_f16 v66, v9, v69, v66
	v_pk_fma_f16 v64, v10, v69, v64
	;; [unrolled: 1-line block ×4, first 2 shown]
	ds_read2_b64 v[9:12], v67 offset0:64 offset1:96
	s_waitcnt lgkmcnt(0)
	v_pk_fma_f16 v66, v9, v5, v66
	v_pk_fma_f16 v64, v10, v5, v64
	;; [unrolled: 1-line block ×4, first 2 shown]
	ds_read2_b64 v[9:12], v67 offset0:128 offset1:160
	v_mul_u32_u24_sdwa v68, v6, s34 dst_sel:DWORD dst_unused:UNUSED_PAD src0_sel:WORD_0 src1_sel:DWORD
	v_mul_u32_u24_sdwa v6, v6, s34 dst_sel:DWORD dst_unused:UNUSED_PAD src0_sel:WORD_1 src1_sel:DWORD
	s_waitcnt lgkmcnt(0)
	v_pk_fma_f16 v66, v9, v68, v66
	v_pk_fma_f16 v64, v10, v68, v64
	;; [unrolled: 1-line block ×4, first 2 shown]
	ds_read2_b64 v[9:12], v67 offset0:192 offset1:224
	s_waitcnt lgkmcnt(0)
	v_pk_fma_f16 v66, v9, v6, v66
	v_pk_fma_f16 v64, v10, v6, v64
	;; [unrolled: 1-line block ×4, first 2 shown]
	ds_read2_b64 v[9:12], v63 offset1:32
	v_mul_u32_u24_sdwa v6, v7, s34 dst_sel:DWORD dst_unused:UNUSED_PAD src0_sel:WORD_0 src1_sel:DWORD
	s_waitcnt lgkmcnt(0)
	v_pk_fma_f16 v66, v9, v6, v66
	v_pk_fma_f16 v64, v10, v6, v64
	v_pk_fma_f16 v65, v11, v6, v65
	v_pk_fma_f16 v5, v12, v6, v5
	ds_read2_b64 v[9:12], v63 offset0:64 offset1:96
	v_mul_u32_u24_sdwa v6, v7, s34 dst_sel:DWORD dst_unused:UNUSED_PAD src0_sel:WORD_1 src1_sel:DWORD
	s_waitcnt lgkmcnt(0)
	v_pk_fma_f16 v7, v9, v6, v66
	v_pk_fma_f16 v64, v10, v6, v64
	;; [unrolled: 1-line block ×4, first 2 shown]
	ds_read2_b64 v[9:12], v63 offset0:128 offset1:160
	v_mul_u32_u24_sdwa v6, v8, s34 dst_sel:DWORD dst_unused:UNUSED_PAD src0_sel:WORD_0 src1_sel:DWORD
	s_waitcnt lgkmcnt(0)
	v_pk_fma_f16 v7, v9, v6, v7
	v_pk_fma_f16 v64, v10, v6, v64
	v_pk_fma_f16 v65, v11, v6, v65
	v_pk_fma_f16 v5, v12, v6, v5
	ds_read2_b64 v[9:12], v63 offset0:192 offset1:224
	v_mul_u32_u24_sdwa v6, v8, s34 dst_sel:DWORD dst_unused:UNUSED_PAD src0_sel:WORD_1 src1_sel:DWORD
	v_mul_u32_u24_sdwa v63, v1, s34 dst_sel:DWORD dst_unused:UNUSED_PAD src0_sel:WORD_0 src1_sel:DWORD
	v_mul_u32_u24_sdwa v1, v1, s34 dst_sel:DWORD dst_unused:UNUSED_PAD src0_sel:WORD_1 src1_sel:DWORD
	s_waitcnt lgkmcnt(0)
	v_pk_fma_f16 v9, v9, v6, v7
	v_pk_fma_f16 v10, v10, v6, v64
	;; [unrolled: 1-line block ×4, first 2 shown]
	ds_read2_b64 v[5:8], v55 offset1:32
	s_waitcnt lgkmcnt(0)
	v_pk_fma_f16 v9, v5, v63, v9
	v_pk_fma_f16 v10, v6, v63, v10
	;; [unrolled: 1-line block ×4, first 2 shown]
	ds_read2_b64 v[5:8], v55 offset0:64 offset1:96
	s_waitcnt lgkmcnt(0)
	v_pk_fma_f16 v9, v5, v1, v9
	v_pk_fma_f16 v10, v6, v1, v10
	;; [unrolled: 1-line block ×4, first 2 shown]
	ds_read2_b64 v[5:8], v55 offset0:128 offset1:160
	v_mul_u32_u24_sdwa v12, v2, s34 dst_sel:DWORD dst_unused:UNUSED_PAD src0_sel:WORD_0 src1_sel:DWORD
	v_mul_u32_u24_sdwa v2, v2, s34 dst_sel:DWORD dst_unused:UNUSED_PAD src0_sel:WORD_1 src1_sel:DWORD
	s_waitcnt lgkmcnt(0)
	v_pk_fma_f16 v9, v5, v12, v9
	v_pk_fma_f16 v10, v6, v12, v10
	;; [unrolled: 1-line block ×4, first 2 shown]
	ds_read2_b64 v[5:8], v55 offset0:192 offset1:224
	s_waitcnt lgkmcnt(0)
	v_pk_fma_f16 v9, v5, v2, v9
	v_pk_fma_f16 v10, v6, v2, v10
	;; [unrolled: 1-line block ×4, first 2 shown]
	ds_read2_b64 v[5:8], v54 offset1:32
	v_mul_u32_u24_sdwa v2, v3, s34 dst_sel:DWORD dst_unused:UNUSED_PAD src0_sel:WORD_0 src1_sel:DWORD
	s_waitcnt lgkmcnt(0)
	v_pk_fma_f16 v9, v5, v2, v9
	v_pk_fma_f16 v10, v6, v2, v10
	;; [unrolled: 1-line block ×4, first 2 shown]
	ds_read2_b64 v[5:8], v54 offset0:64 offset1:96
	v_mul_u32_u24_sdwa v2, v3, s34 dst_sel:DWORD dst_unused:UNUSED_PAD src0_sel:WORD_1 src1_sel:DWORD
	s_waitcnt lgkmcnt(0)
	v_pk_fma_f16 v3, v5, v2, v9
	v_pk_fma_f16 v9, v6, v2, v10
	;; [unrolled: 1-line block ×4, first 2 shown]
	ds_read2_b64 v[5:8], v54 offset0:128 offset1:160
	v_mul_u32_u24_sdwa v2, v4, s34 dst_sel:DWORD dst_unused:UNUSED_PAD src0_sel:WORD_0 src1_sel:DWORD
	s_waitcnt lgkmcnt(0)
	v_pk_fma_f16 v3, v5, v2, v3
	v_pk_fma_f16 v9, v6, v2, v9
	;; [unrolled: 1-line block ×4, first 2 shown]
	ds_read2_b64 v[5:8], v54 offset0:192 offset1:224
	s_waitcnt lgkmcnt(0)
	s_barrier
	s_load_dword s8, s[0:1], 0x4
	v_mul_u32_u24_sdwa v2, v4, s34 dst_sel:DWORD dst_unused:UNUSED_PAD src0_sel:WORD_1 src1_sel:DWORD
	v_pk_fma_f16 v54, v5, v2, v3
	v_pk_fma_f16 v55, v6, v2, v9
	;; [unrolled: 1-line block ×3, first 2 shown]
	s_waitcnt lgkmcnt(0)
	s_lshl_b32 s8, s8, 6
	s_add_i32 s6, s8, s6
	v_pk_fma_f16 v9, v8, v2, v1
	s_cmp_ge_i32 s6, s28
	s_cbranch_scc1 .LBB63_7
; %bb.24:                               ;   in Loop: Header=BB63_15 Depth=1
	v_mov_b32_e32 v12, v30
	v_mov_b32_e32 v11, v62
	s_branch .LBB63_15
	.section	.rodata,"a",@progbits
	.p2align	6, 0x0
	.amdhsa_kernel _ZL15flash_attn_tileILi256ELi256ELi2ELi4ELb1EEvPKcS1_S1_S1_S1_PKiPfP15HIP_vector_typeIfLj2EEffffjfiS5_IjLj3EEiiiiiiiiiiiliiliiiiil
		.amdhsa_group_segment_fixed_size 22528
		.amdhsa_private_segment_fixed_size 0
		.amdhsa_kernarg_size 464
		.amdhsa_user_sgpr_count 6
		.amdhsa_user_sgpr_private_segment_buffer 1
		.amdhsa_user_sgpr_dispatch_ptr 0
		.amdhsa_user_sgpr_queue_ptr 0
		.amdhsa_user_sgpr_kernarg_segment_ptr 1
		.amdhsa_user_sgpr_dispatch_id 0
		.amdhsa_user_sgpr_flat_scratch_init 0
		.amdhsa_user_sgpr_private_segment_size 0
		.amdhsa_uses_dynamic_stack 0
		.amdhsa_system_sgpr_private_segment_wavefront_offset 0
		.amdhsa_system_sgpr_workgroup_id_x 1
		.amdhsa_system_sgpr_workgroup_id_y 1
		.amdhsa_system_sgpr_workgroup_id_z 1
		.amdhsa_system_sgpr_workgroup_info 0
		.amdhsa_system_vgpr_workitem_id 1
		.amdhsa_next_free_vgpr 85
		.amdhsa_next_free_sgpr 98
		.amdhsa_reserve_vcc 1
		.amdhsa_reserve_flat_scratch 0
		.amdhsa_float_round_mode_32 0
		.amdhsa_float_round_mode_16_64 0
		.amdhsa_float_denorm_mode_32 3
		.amdhsa_float_denorm_mode_16_64 3
		.amdhsa_dx10_clamp 1
		.amdhsa_ieee_mode 1
		.amdhsa_fp16_overflow 0
		.amdhsa_exception_fp_ieee_invalid_op 0
		.amdhsa_exception_fp_denorm_src 0
		.amdhsa_exception_fp_ieee_div_zero 0
		.amdhsa_exception_fp_ieee_overflow 0
		.amdhsa_exception_fp_ieee_underflow 0
		.amdhsa_exception_fp_ieee_inexact 0
		.amdhsa_exception_int_div_zero 0
	.end_amdhsa_kernel
	.section	.text._ZL15flash_attn_tileILi256ELi256ELi2ELi4ELb1EEvPKcS1_S1_S1_S1_PKiPfP15HIP_vector_typeIfLj2EEffffjfiS5_IjLj3EEiiiiiiiiiiiliiliiiiil,"axG",@progbits,_ZL15flash_attn_tileILi256ELi256ELi2ELi4ELb1EEvPKcS1_S1_S1_S1_PKiPfP15HIP_vector_typeIfLj2EEffffjfiS5_IjLj3EEiiiiiiiiiiiliiliiiiil,comdat
.Lfunc_end63:
	.size	_ZL15flash_attn_tileILi256ELi256ELi2ELi4ELb1EEvPKcS1_S1_S1_S1_PKiPfP15HIP_vector_typeIfLj2EEffffjfiS5_IjLj3EEiiiiiiiiiiiliiliiiiil, .Lfunc_end63-_ZL15flash_attn_tileILi256ELi256ELi2ELi4ELb1EEvPKcS1_S1_S1_S1_PKiPfP15HIP_vector_typeIfLj2EEffffjfiS5_IjLj3EEiiiiiiiiiiiliiliiiiil
                                        ; -- End function
	.set _ZL15flash_attn_tileILi256ELi256ELi2ELi4ELb1EEvPKcS1_S1_S1_S1_PKiPfP15HIP_vector_typeIfLj2EEffffjfiS5_IjLj3EEiiiiiiiiiiiliiliiiiil.num_vgpr, 81
	.set _ZL15flash_attn_tileILi256ELi256ELi2ELi4ELb1EEvPKcS1_S1_S1_S1_PKiPfP15HIP_vector_typeIfLj2EEffffjfiS5_IjLj3EEiiiiiiiiiiiliiliiiiil.num_agpr, 0
	.set _ZL15flash_attn_tileILi256ELi256ELi2ELi4ELb1EEvPKcS1_S1_S1_S1_PKiPfP15HIP_vector_typeIfLj2EEffffjfiS5_IjLj3EEiiiiiiiiiiiliiliiiiil.numbered_sgpr, 40
	.set _ZL15flash_attn_tileILi256ELi256ELi2ELi4ELb1EEvPKcS1_S1_S1_S1_PKiPfP15HIP_vector_typeIfLj2EEffffjfiS5_IjLj3EEiiiiiiiiiiiliiliiiiil.num_named_barrier, 0
	.set _ZL15flash_attn_tileILi256ELi256ELi2ELi4ELb1EEvPKcS1_S1_S1_S1_PKiPfP15HIP_vector_typeIfLj2EEffffjfiS5_IjLj3EEiiiiiiiiiiiliiliiiiil.private_seg_size, 0
	.set _ZL15flash_attn_tileILi256ELi256ELi2ELi4ELb1EEvPKcS1_S1_S1_S1_PKiPfP15HIP_vector_typeIfLj2EEffffjfiS5_IjLj3EEiiiiiiiiiiiliiliiiiil.uses_vcc, 1
	.set _ZL15flash_attn_tileILi256ELi256ELi2ELi4ELb1EEvPKcS1_S1_S1_S1_PKiPfP15HIP_vector_typeIfLj2EEffffjfiS5_IjLj3EEiiiiiiiiiiiliiliiiiil.uses_flat_scratch, 0
	.set _ZL15flash_attn_tileILi256ELi256ELi2ELi4ELb1EEvPKcS1_S1_S1_S1_PKiPfP15HIP_vector_typeIfLj2EEffffjfiS5_IjLj3EEiiiiiiiiiiiliiliiiiil.has_dyn_sized_stack, 0
	.set _ZL15flash_attn_tileILi256ELi256ELi2ELi4ELb1EEvPKcS1_S1_S1_S1_PKiPfP15HIP_vector_typeIfLj2EEffffjfiS5_IjLj3EEiiiiiiiiiiiliiliiiiil.has_recursion, 0
	.set _ZL15flash_attn_tileILi256ELi256ELi2ELi4ELb1EEvPKcS1_S1_S1_S1_PKiPfP15HIP_vector_typeIfLj2EEffffjfiS5_IjLj3EEiiiiiiiiiiiliiliiiiil.has_indirect_call, 0
	.section	.AMDGPU.csdata,"",@progbits
; Kernel info:
; codeLenInByte = 10684
; TotalNumSgprs: 44
; NumVgprs: 81
; ScratchSize: 0
; MemoryBound: 0
; FloatMode: 240
; IeeeMode: 1
; LDSByteSize: 22528 bytes/workgroup (compile time only)
; SGPRBlocks: 12
; VGPRBlocks: 21
; NumSGPRsForWavesPerEU: 102
; NumVGPRsForWavesPerEU: 85
; Occupancy: 2
; WaveLimiterHint : 1
; COMPUTE_PGM_RSRC2:SCRATCH_EN: 0
; COMPUTE_PGM_RSRC2:USER_SGPR: 6
; COMPUTE_PGM_RSRC2:TRAP_HANDLER: 0
; COMPUTE_PGM_RSRC2:TGID_X_EN: 1
; COMPUTE_PGM_RSRC2:TGID_Y_EN: 1
; COMPUTE_PGM_RSRC2:TGID_Z_EN: 1
; COMPUTE_PGM_RSRC2:TIDIG_COMP_CNT: 1
	.section	.text._ZL15flash_attn_tileILi256ELi256ELi1ELi4ELb1EEvPKcS1_S1_S1_S1_PKiPfP15HIP_vector_typeIfLj2EEffffjfiS5_IjLj3EEiiiiiiiiiiiliiliiiiil,"axG",@progbits,_ZL15flash_attn_tileILi256ELi256ELi1ELi4ELb1EEvPKcS1_S1_S1_S1_PKiPfP15HIP_vector_typeIfLj2EEffffjfiS5_IjLj3EEiiiiiiiiiiiliiliiiiil,comdat
	.globl	_ZL15flash_attn_tileILi256ELi256ELi1ELi4ELb1EEvPKcS1_S1_S1_S1_PKiPfP15HIP_vector_typeIfLj2EEffffjfiS5_IjLj3EEiiiiiiiiiiiliiliiiiil ; -- Begin function _ZL15flash_attn_tileILi256ELi256ELi1ELi4ELb1EEvPKcS1_S1_S1_S1_PKiPfP15HIP_vector_typeIfLj2EEffffjfiS5_IjLj3EEiiiiiiiiiiiliiliiiiil
	.p2align	8
	.type	_ZL15flash_attn_tileILi256ELi256ELi1ELi4ELb1EEvPKcS1_S1_S1_S1_PKiPfP15HIP_vector_typeIfLj2EEffffjfiS5_IjLj3EEiiiiiiiiiiiliiliiiiil,@function
_ZL15flash_attn_tileILi256ELi256ELi1ELi4ELb1EEvPKcS1_S1_S1_S1_PKiPfP15HIP_vector_typeIfLj2EEffffjfiS5_IjLj3EEiiiiiiiiiiiliiliiiiil: ; @_ZL15flash_attn_tileILi256ELi256ELi1ELi4ELb1EEvPKcS1_S1_S1_S1_PKiPfP15HIP_vector_typeIfLj2EEffffjfiS5_IjLj3EEiiiiiiiiiiiliiliiiiil
; %bb.0:
	s_load_dwordx4 s[0:3], s[4:5], 0x5c
	s_load_dwordx2 s[28:29], s[4:5], 0x80
	s_load_dwordx2 s[34:35], s[4:5], 0xb8
	s_mov_b64 s[30:31], 0
	s_waitcnt lgkmcnt(0)
	s_ashr_i32 s9, s3, 31
	s_lshr_b32 s9, s9, 30
	s_add_i32 s9, s3, s9
	s_ashr_i32 s9, s9, 2
	v_cvt_f32_u32_e32 v2, s9
	s_sub_i32 s10, 0, s9
	v_rcp_iflag_f32_e32 v2, v2
	v_mul_f32_e32 v2, 0x4f7ffffe, v2
	v_cvt_u32_f32_e32 v2, v2
	v_readfirstlane_b32 s11, v2
	s_mul_i32 s10, s10, s11
	s_mul_hi_u32 s10, s11, s10
	s_add_i32 s11, s11, s10
	s_mul_hi_u32 s10, s8, s11
	s_mul_i32 s11, s10, s9
	s_sub_i32 s11, s8, s11
	s_add_i32 s12, s10, 1
	s_sub_i32 s13, s11, s9
	s_cmp_ge_u32 s11, s9
	s_cselect_b32 s10, s12, s10
	s_cselect_b32 s11, s13, s11
	s_add_i32 s12, s10, 1
	s_cmp_ge_u32 s11, s9
	s_cselect_b32 s33, s12, s10
	s_abs_i32 s9, s29
	v_cvt_f32_u32_e32 v2, s9
	s_lshl_b32 s8, s8, 2
	s_mul_i32 s12, s33, s3
	s_xor_b32 s10, s3, s29
	v_rcp_iflag_f32_e32 v2, v2
	s_sub_i32 s13, 0, s9
	s_sub_i32 s29, s8, s12
	s_abs_i32 s11, s3
	v_mul_f32_e32 v2, 0x4f7ffffe, v2
	v_cvt_u32_f32_e32 v2, v2
	s_ashr_i32 s10, s10, 31
	v_readfirstlane_b32 s8, v2
	s_mul_i32 s13, s13, s8
	s_mul_hi_u32 s12, s8, s13
	s_add_i32 s8, s8, s12
	s_mul_hi_u32 s8, s11, s8
	s_mul_i32 s12, s8, s9
	s_sub_i32 s11, s11, s12
	s_add_i32 s13, s8, 1
	s_sub_i32 s12, s11, s9
	s_cmp_ge_u32 s11, s9
	s_cselect_b32 s8, s13, s8
	s_cselect_b32 s11, s12, s11
	s_add_i32 s12, s8, 1
	s_cmp_ge_u32 s11, s9
	s_cselect_b32 s8, s12, s8
	s_xor_b32 s8, s8, s10
	s_sub_i32 s37, s8, s10
	s_abs_i32 s36, s37
	v_cvt_f32_u32_e32 v2, s36
	s_load_dwordx16 s[8:23], s[4:5], 0x0
	v_rcp_iflag_f32_e32 v2, v2
	s_waitcnt lgkmcnt(0)
	s_cmp_eq_u64 s[14:15], 0
	v_mul_f32_e32 v2, 0x4f7ffffe, v2
	v_cvt_u32_f32_e32 v2, v2
	v_readfirstlane_b32 s38, v2
	s_cbranch_scc1 .LBB64_2
; %bb.1:
	s_abs_i32 s26, s34
	v_cvt_f32_u32_e32 v2, s26
	s_sub_i32 s31, 0, s26
	s_abs_i32 s30, s33
	s_ashr_i32 s27, s33, 31
	v_rcp_iflag_f32_e32 v2, v2
	s_load_dwordx2 s[24:25], s[4:5], 0xc8
	v_mul_f32_e32 v2, 0x4f7ffffe, v2
	v_cvt_u32_f32_e32 v2, v2
	v_readfirstlane_b32 s34, v2
	s_mul_i32 s31, s31, s34
	s_mul_hi_u32 s31, s34, s31
	s_add_i32 s34, s34, s31
	s_mul_hi_u32 s31, s30, s34
	s_mul_i32 s31, s31, s26
	s_sub_i32 s30, s30, s31
	s_sub_i32 s31, s30, s26
	s_cmp_ge_u32 s30, s26
	s_cselect_b32 s30, s31, s30
	s_sub_i32 s31, s30, s26
	s_cmp_ge_u32 s30, s26
	s_cselect_b32 s26, s31, s30
	s_xor_b32 s26, s26, s27
	s_sub_i32 s26, s26, s27
	s_ashr_i32 s27, s26, 31
	s_waitcnt lgkmcnt(0)
	s_mul_hi_u32 s30, s24, s26
	s_mul_i32 s27, s24, s27
	s_mul_i32 s25, s25, s26
	s_add_i32 s27, s30, s27
	s_add_i32 s27, s27, s25
	s_mul_i32 s24, s24, s26
	s_add_u32 s30, s14, s24
	s_addc_u32 s31, s15, s27
.LBB64_2:
	s_load_dwordx4 s[24:27], s[4:5], 0x70
	v_lshrrev_b32_e32 v2, 3, v1
	v_add_u32_e32 v31, s6, v2
	v_mul_hi_u32 v2, s0, v31
	v_bfe_u32 v33, v1, 1, 2
	s_waitcnt lgkmcnt(0)
	s_mul_i32 s14, s33, s26
	s_ashr_i32 s26, s14, 31
	s_mul_i32 s15, s29, s25
	s_add_u32 s8, s8, s14
	s_addc_u32 s9, s9, s26
	s_ashr_i32 s14, s15, 31
	v_add_u32_e32 v2, v31, v2
	s_add_u32 s26, s8, s15
	v_lshrrev_b32_e32 v2, s1, v2
	s_addc_u32 s27, s9, s14
	s_ashr_i32 s9, s25, 31
	s_mov_b32 s8, s25
	v_mul_lo_u32 v2, v2, s2
	s_lshr_b64 s[14:15], s[8:9], 2
	v_mad_u64_u32 v[4:5], s[0:1], s14, v33, 0
	s_ashr_i32 s25, s24, 31
	v_sub_u32_e32 v3, v31, v2
	s_lshr_b64 s[0:1], s[24:25], 2
	v_mad_u64_u32 v[6:7], s[0:1], s0, v3, 0
	s_lshr_b32 s8, s9, 2
	v_mov_b32_e32 v2, v5
	v_mad_u64_u32 v[8:9], s[0:1], s8, v33, v[2:3]
	v_mov_b32_e32 v2, v7
	s_lshr_b32 s0, s25, 2
	v_mad_u64_u32 v[9:10], s[0:1], s0, v3, v[2:3]
	v_mov_b32_e32 v5, v8
	v_lshlrev_b64 v[4:5], 2, v[4:5]
	v_mov_b32_e32 v7, v9
	v_mov_b32_e32 v2, s27
	v_add_co_u32_e32 v8, vcc, s26, v4
	v_addc_co_u32_e32 v2, vcc, v2, v5, vcc
	v_lshlrev_b64 v[4:5], 2, v[6:7]
	v_lshlrev_b32_e32 v34, 4, v0
	v_add_co_u32_e32 v4, vcc, v8, v4
	v_addc_co_u32_e32 v2, vcc, v2, v5, vcc
	v_lshlrev_b32_e32 v5, 9, v1
	v_and_b32_e32 v5, 0x200, v5
	v_add_co_u32_e32 v4, vcc, v4, v5
	v_addc_co_u32_e32 v2, vcc, 0, v2, vcc
	v_add_co_u32_e32 v4, vcc, v4, v34
	v_addc_co_u32_e32 v5, vcc, 0, v2, vcc
	global_load_dwordx4 v[5:8], v[4:5], off
	s_load_dword s0, s[4:5], 0x40
	v_lshlrev_b32_e32 v9, 8, v1
	v_lshrrev_b32_e32 v2, 1, v1
	v_and_b32_e32 v9, 0x100, v9
	v_lshlrev_b32_e32 v4, 3, v0
	v_lshl_or_b32 v2, v2, 9, v9
	v_add_u32_e32 v2, v2, v4
	s_cmp_eq_u64 s[18:19], 0
	s_waitcnt vmcnt(0) lgkmcnt(0)
	v_fma_mixlo_f16 v5, s0, v5, 0
	v_fma_mixlo_f16 v6, s0, v6, 0
	;; [unrolled: 1-line block ×4, first 2 shown]
	v_lshlrev_b32_e32 v6, 16, v6
	v_and_b32_e32 v5, 0xffff, v5
	v_lshlrev_b32_e32 v8, 16, v8
	v_and_b32_e32 v7, 0xffff, v7
	v_or_b32_e32 v5, v6, v5
	v_or3_b32 v6, v8, v7, 0
	v_or3_b32 v5, 0, 0, v5
	ds_write_b64 v2, v[5:6] offset:17408
	s_waitcnt lgkmcnt(0)
	s_barrier
	s_cbranch_scc1 .LBB64_4
; %bb.3:
	s_load_dword s0, s[4:5], 0xd0
	s_mov_b32 s1, 0
	s_waitcnt lgkmcnt(0)
	s_mul_i32 s0, s0, s33
	s_add_i32 s0, s0, s6
	s_lshl_b64 s[0:1], s[0:1], 2
	s_add_u32 s0, s18, s0
	s_addc_u32 s1, s19, s1
	s_load_dword s28, s[0:1], 0x0
.LBB64_4:
	s_lshl_b32 s6, s7, 6
	v_lshlrev_b32_e32 v32, 2, v0
	s_waitcnt lgkmcnt(0)
	s_cmp_lt_i32 s6, s28
	v_mbcnt_lo_u32_b32 v5, -1, 0
	v_and_b32_e32 v35, 1, v1
	s_cbranch_scc1 .LBB64_7
; %bb.5:
	v_mbcnt_hi_u32_b32 v36, -1, v5
	v_and_b32_e32 v2, 0x60, v36
	v_add_u32_e32 v24, 32, v2
	v_xor_b32_e32 v25, 16, v36
	v_xor_b32_e32 v26, 8, v36
	;; [unrolled: 1-line block ×5, first 2 shown]
	v_and_b32_e32 v6, 1, v1
	v_cmp_eq_u32_e64 s[0:1], 0, v0
	s_cbranch_execz .LBB64_8
; %bb.6:
	v_mov_b32_e32 v5, 0
	v_mov_b32_e32 v43, 0
	;; [unrolled: 1-line block ×6, first 2 shown]
	s_branch .LBB64_18
.LBB64_7:
                                        ; implicit-def: $vgpr36
                                        ; implicit-def: $vgpr24
                                        ; implicit-def: $vgpr25
                                        ; implicit-def: $vgpr26
                                        ; implicit-def: $vgpr27
                                        ; implicit-def: $vgpr28
                                        ; implicit-def: $vgpr29
                                        ; implicit-def: $vgpr6
	v_cmp_eq_u32_e64 s[0:1], 0, v0
.LBB64_8:
	s_sub_i32 s8, 0, s36
	s_mul_i32 s8, s8, s38
	s_mul_hi_u32 s8, s38, s8
	s_add_i32 s38, s38, s8
	s_load_dwordx4 s[24:27], s[4:5], 0x98
	s_load_dword s14, s[4:5], 0x54
	s_load_dwordx2 s[8:9], s[4:5], 0x8c
	s_abs_i32 s19, s29
	s_mul_hi_u32 s34, s19, s38
	s_waitcnt lgkmcnt(0)
	s_ashr_i32 s15, s26, 2
	s_ashr_i32 s26, s35, 1
	;; [unrolled: 1-line block ×4, first 2 shown]
	s_mul_hi_u32 s35, s24, s33
	s_mul_i32 s41, s24, s8
	s_add_i32 s35, s35, s41
	s_mul_i32 s25, s25, s33
	s_ashr_i32 s40, s29, 31
	s_ashr_i32 s37, s37, 31
	s_add_i32 s35, s35, s25
	s_mul_i32 s24, s24, s33
	s_add_u32 s10, s10, s24
	s_mul_i32 s25, s34, s36
	s_addc_u32 s11, s11, s35
	s_sub_i32 s19, s19, s25
	s_xor_b32 s24, s40, s37
	s_add_i32 s25, s34, 1
	s_sub_i32 s35, s19, s36
	s_cmp_ge_u32 s19, s36
	s_cselect_b32 s25, s25, s34
	s_cselect_b32 s19, s35, s19
	s_add_i32 s34, s25, 1
	s_cmp_ge_u32 s19, s36
	s_load_dwordx2 s[38:39], s[4:5], 0xa8
	s_cselect_b32 s19, s34, s25
	s_xor_b32 s19, s19, s24
	s_sub_i32 s25, s19, s24
	s_mul_i32 s9, s25, s9
	s_ashr_i32 s24, s9, 31
	s_add_u32 s19, s10, s9
	s_waitcnt lgkmcnt(0)
	s_mul_hi_u32 s9, s38, s33
	s_mul_i32 s8, s38, s8
	s_addc_u32 s24, s11, s24
	s_add_i32 s8, s9, s8
	s_mul_i32 s9, s39, s33
	s_add_i32 s8, s8, s9
	s_mul_i32 s9, s38, s33
	v_lshrrev_b32_e32 v2, 4, v0
	s_add_u32 s9, s12, s9
	s_mul_i32 s25, s25, s27
	v_lshl_add_u32 v6, v1, 1, v2
	s_addc_u32 s8, s13, s8
	s_ashr_i32 s10, s25, 31
	v_mul_lo_u32 v8, s18, v6
	s_add_u32 s12, s9, s25
	v_and_b32_e32 v24, 60, v32
	s_addc_u32 s13, s8, s10
	v_lshlrev_b32_e32 v9, 2, v24
	s_movk_i32 s8, 0x110
	v_mad_u32_u24 v37, v6, s8, v9
	s_lshl_b32 s8, s18, 4
	v_lshlrev_b32_e32 v6, 5, v1
	v_lshlrev_b32_e32 v7, 6, v1
	v_add_u32_e32 v10, s8, v8
	v_and_b32_e32 v16, 32, v6
	v_add_u32_e32 v12, s8, v10
	v_add_u32_e32 v6, v16, v0
	v_and_b32_e32 v17, 0x3f80, v7
	v_mov_b32_e32 v7, 0x4400
	v_add_u32_e32 v14, s8, v12
	v_mul_u32_u24_e32 v41, 0x110, v6
	v_lshl_add_u32 v42, v17, 2, v7
	v_mad_u64_u32 v[6:7], s[8:9], v3, s26, v[6:7]
	v_and_b32_e32 v7, 1, v0
	s_movk_i32 s8, 0xfe
	v_mov_b32_e32 v3, 0x4e00
	v_and_or_b32 v7, v1, s8, v7
	v_lshl_add_u32 v44, v1, 2, v3
	v_lshl_add_u32 v45, v7, 2, v3
	v_add_u32_e32 v3, 0x4c00, v17
	v_lshl_or_b32 v7, v16, 1, v3
	v_mul_lo_u32 v16, s15, v1
	s_lshl_b32 s8, s15, 3
	v_ashrrev_i32_e32 v9, 31, v8
	v_ashrrev_i32_e32 v11, 31, v10
	v_add_u32_e32 v18, s8, v16
	v_add_u32_e32 v20, s8, v18
	;; [unrolled: 1-line block ×3, first 2 shown]
	v_ashrrev_i32_e32 v13, 31, v12
	v_ashrrev_i32_e32 v15, 31, v14
	v_lshlrev_b32_e32 v47, 2, v32
	v_ashrrev_i32_e32 v17, 31, v16
	v_ashrrev_i32_e32 v19, 31, v18
	v_ashrrev_i32_e32 v21, 31, v20
	v_ashrrev_i32_e32 v23, 31, v22
	v_mov_b32_e32 v2, 0
	v_lshl_add_u32 v46, v0, 1, v7
	v_lshl_add_u32 v48, v1, 9, v47
	s_add_u32 s8, s4, 0xd0
	v_lshlrev_b64 v[7:8], 2, v[8:9]
	v_lshlrev_b64 v[9:10], 2, v[10:11]
	;; [unrolled: 1-line block ×8, first 2 shown]
	v_add_u32_e32 v38, 0x1100, v37
	v_add_u32_e32 v39, 0x2200, v37
	;; [unrolled: 1-line block ×6, first 2 shown]
	v_lshl_or_b32 v52, v35, 1, v3
	v_lshl_add_u32 v53, v35, 9, v4
	s_addc_u32 s9, s5, 0
	v_mov_b32_e32 v60, 0xfeffffff
	v_lshlrev_b32_e32 v54, 2, v24
	v_mov_b32_e32 v55, s31
	s_mov_b32 s25, 0x3f200000
	s_mov_b32 s26, 0x3fb8aa3b
	;; [unrolled: 1-line block ×4, first 2 shown]
	v_mov_b32_e32 v56, 0xbd5c1c4e
	v_mov_b32_e32 v57, 0x3e088382
	;; [unrolled: 1-line block ×3, first 2 shown]
	v_mbcnt_hi_u32_b32 v36, -1, v5
	s_brev_b32 s34, -2
	v_mov_b32_e32 v59, 0x7f800000
	v_mov_b32_e32 v3, v2
	;; [unrolled: 1-line block ×5, first 2 shown]
.LBB64_9:                               ; =>This Inner Loop Header: Depth=1
	s_mul_hi_i32 s11, s6, s18
	s_mul_i32 s10, s6, s18
	s_lshl_b64 s[10:11], s[10:11], 2
	s_add_u32 s10, s19, s10
	s_addc_u32 s11, s24, s11
	v_mov_b32_e32 v23, s11
	v_add_co_u32_e32 v24, vcc, s10, v7
	v_addc_co_u32_e32 v25, vcc, v23, v8, vcc
	v_add_co_u32_e32 v23, vcc, v24, v54
	v_addc_co_u32_e32 v24, vcc, 0, v25, vcc
	v_mov_b32_e32 v25, s11
	v_add_co_u32_e32 v26, vcc, s10, v9
	v_addc_co_u32_e32 v27, vcc, v25, v10, vcc
	v_add_co_u32_e32 v25, vcc, v26, v54
	v_addc_co_u32_e32 v26, vcc, 0, v27, vcc
	;; [unrolled: 5-line block ×3, first 2 shown]
	v_mov_b32_e32 v29, s11
	v_add_co_u32_e32 v30, vcc, s10, v13
	v_addc_co_u32_e32 v69, vcc, v29, v14, vcc
	v_add_co_u32_e32 v29, vcc, v30, v54
	global_load_dwordx4 v[61:64], v[23:24], off
	global_load_dwordx4 v[65:68], v[25:26], off
	v_addc_co_u32_e32 v30, vcc, 0, v69, vcc
	global_load_dwordx4 v[69:72], v[27:28], off
	global_load_dwordx4 v[73:76], v[29:30], off
	s_waitcnt vmcnt(3)
	ds_write_b128 v37, v[61:64]
	s_waitcnt vmcnt(2)
	ds_write_b128 v38, v[65:68]
	;; [unrolled: 2-line block ×4, first 2 shown]
	s_waitcnt lgkmcnt(0)
	s_barrier
	ds_read_b128 v[62:65], v41
	ds_read_b128 v[66:69], v42
	v_mov_b32_e32 v61, 0
	s_waitcnt lgkmcnt(0)
	;;#ASMSTART
	v_dot2_f32_f16 v61, v62, v66, v61
	;;#ASMEND
	;;#ASMSTART
	v_dot2_f32_f16 v61, v63, v67, v61
	;;#ASMEND
	;;#ASMSTART
	v_dot2_f32_f16 v61, v64, v68, v61
	;;#ASMEND
	;;#ASMSTART
	v_dot2_f32_f16 v61, v65, v69, v61
	;;#ASMEND
	ds_read_b128 v[62:65], v41 offset:16
	ds_read_b128 v[66:69], v42 offset:16
	s_waitcnt lgkmcnt(0)
	;;#ASMSTART
	v_dot2_f32_f16 v61, v62, v66, v61
	;;#ASMEND
	;;#ASMSTART
	v_dot2_f32_f16 v61, v63, v67, v61
	;;#ASMEND
	;;#ASMSTART
	v_dot2_f32_f16 v61, v64, v68, v61
	;;#ASMEND
	;;#ASMSTART
	v_dot2_f32_f16 v61, v65, v69, v61
	;;#ASMEND
	ds_read_b128 v[62:65], v41 offset:32
	ds_read_b128 v[66:69], v42 offset:32
	;; [unrolled: 15-line block ×15, first 2 shown]
	s_waitcnt lgkmcnt(0)
	;;#ASMSTART
	v_dot2_f32_f16 v61, v62, v66, v61
	;;#ASMEND
	;;#ASMSTART
	v_dot2_f32_f16 v61, v63, v67, v61
	;;#ASMEND
	;; [unrolled: 3-line block ×4, first 2 shown]
	s_barrier
	global_load_dwordx4 v[62:65], v[23:24], off offset:256
	s_nop 0
	global_load_dwordx4 v[23:26], v[25:26], off offset:256
	s_nop 0
	;; [unrolled: 2-line block ×3, first 2 shown]
	global_load_dwordx4 v[27:30], v[29:30], off offset:256
	s_waitcnt vmcnt(3)
	ds_write_b128 v37, v[62:65]
	s_waitcnt vmcnt(2)
	ds_write_b128 v38, v[23:26]
	;; [unrolled: 2-line block ×4, first 2 shown]
	s_waitcnt lgkmcnt(0)
	s_barrier
	ds_read_b128 v[23:26], v41
	ds_read_b128 v[27:30], v42 offset:256
	s_waitcnt lgkmcnt(0)
	;;#ASMSTART
	v_dot2_f32_f16 v61, v23, v27, v61
	;;#ASMEND
	;;#ASMSTART
	v_dot2_f32_f16 v61, v24, v28, v61
	;;#ASMEND
	;;#ASMSTART
	v_dot2_f32_f16 v61, v25, v29, v61
	;;#ASMEND
	;;#ASMSTART
	v_dot2_f32_f16 v61, v26, v30, v61
	;;#ASMEND
	ds_read_b128 v[23:26], v41 offset:16
	ds_read_b128 v[27:30], v42 offset:272
	s_waitcnt lgkmcnt(0)
	;;#ASMSTART
	v_dot2_f32_f16 v61, v23, v27, v61
	;;#ASMEND
	;;#ASMSTART
	v_dot2_f32_f16 v61, v24, v28, v61
	;;#ASMEND
	;;#ASMSTART
	v_dot2_f32_f16 v61, v25, v29, v61
	;;#ASMEND
	;;#ASMSTART
	v_dot2_f32_f16 v61, v26, v30, v61
	;;#ASMEND
	ds_read_b128 v[23:26], v41 offset:32
	;; [unrolled: 15-line block ×15, first 2 shown]
	ds_read_b128 v[27:30], v42 offset:496
	v_add_u32_e32 v62, s6, v6
	v_ashrrev_i32_e32 v63, 31, v62
	v_lshlrev_b64 v[62:63], 1, v[62:63]
	s_waitcnt lgkmcnt(0)
	;;#ASMSTART
	v_dot2_f32_f16 v61, v23, v27, v61
	;;#ASMEND
	v_add_co_u32_e32 v62, vcc, s30, v62
	;;#ASMSTART
	v_dot2_f32_f16 v61, v24, v28, v61
	;;#ASMEND
	v_addc_co_u32_e32 v63, vcc, v55, v63, vcc
	;;#ASMSTART
	v_dot2_f32_f16 v61, v25, v29, v61
	;;#ASMEND
	;;#ASMSTART
	v_dot2_f32_f16 v61, v26, v30, v61
	;;#ASMEND
	global_load_ushort v23, v[62:63], off
	v_cmp_nlt_f32_e64 s[10:11], |v61|, s25
                                        ; implicit-def: $vgpr26
	s_and_saveexec_b64 s[36:37], s[10:11]
	s_xor_b64 s[10:11], exec, s[36:37]
	s_cbranch_execz .LBB64_11
; %bb.10:                               ;   in Loop: Header=BB64_9 Depth=1
	v_add_f32_e64 v24, |v61|, |v61|
	v_mul_f32_e32 v25, 0x3fb8aa3b, v24
	v_rndne_f32_e32 v26, v25
	v_sub_f32_e32 v27, v25, v26
	v_fma_f32 v25, v24, s26, -v25
	v_fmac_f32_e32 v25, 0x32a5705f, v24
	v_add_f32_e32 v25, v27, v25
	v_cvt_i32_f32_e32 v26, v26
	v_exp_f32_e32 v25, v25
	v_cmp_ngt_f32_e32 vcc, s27, v24
	v_ldexp_f32 v25, v25, v26
	v_cndmask_b32_e32 v25, 0, v25, vcc
	v_cmp_nlt_f32_e32 vcc, s31, v24
	v_cndmask_b32_e32 v24, v59, v25, vcc
	v_add_f32_e32 v24, 1.0, v24
	v_rcp_f32_e32 v24, v24
	v_fma_f32 v26, v24, -2.0, 1.0
.LBB64_11:                              ;   in Loop: Header=BB64_9 Depth=1
	s_andn2_saveexec_b64 s[10:11], s[10:11]
; %bb.12:                               ;   in Loop: Header=BB64_9 Depth=1
	v_mul_f32_e32 v24, v61, v61
	v_mov_b32_e32 v25, 0x3ca908c9
	v_fmac_f32_e32 v25, 0xbbbac73d, v24
	v_fma_f32 v25, v24, v25, v56
	v_fma_f32 v25, v24, v25, v57
	v_fma_f32 v25, v24, v25, v58
	v_mul_f32_e64 v25, |v61|, v25
	v_fma_f32 v26, v24, v25, |v61|
; %bb.13:                               ;   in Loop: Header=BB64_9 Depth=1
	s_or_b64 exec, exec, s[10:11]
	v_and_b32_e32 v24, 0x60, v36
	v_add_u32_e32 v24, 32, v24
	v_xor_b32_e32 v25, 16, v36
	v_bfi_b32 v26, s34, v26, v61
	v_cmp_lt_i32_e32 vcc, v25, v24
	s_waitcnt vmcnt(0)
	v_fma_mix_f32 v30, s14, v26, v23 op_sel_hi:[0,0,1]
	v_cndmask_b32_e32 v27, v36, v25, vcc
	v_add_f32_e32 v23, 0x40051340, v30
	v_max_f32_e32 v26, v60, v60
	v_lshlrev_b32_e32 v27, 2, v27
	v_max_f32_e32 v23, v26, v23
	ds_bpermute_b32 v27, v27, v23
	v_xor_b32_e32 v26, 8, v36
	v_cmp_lt_i32_e32 vcc, v26, v24
	v_cndmask_b32_e32 v28, v36, v26, vcc
	v_lshlrev_b32_e32 v28, 2, v28
	s_waitcnt lgkmcnt(0)
	v_max_f32_e32 v27, v27, v27
	v_max_f32_e32 v23, v23, v27
	ds_bpermute_b32 v28, v28, v23
	v_xor_b32_e32 v27, 4, v36
	v_cmp_lt_i32_e32 vcc, v27, v24
	v_cndmask_b32_e32 v29, v36, v27, vcc
	v_lshlrev_b32_e32 v29, 2, v29
	s_waitcnt lgkmcnt(0)
	v_max_f32_e32 v28, v28, v28
	;; [unrolled: 8-line block ×4, first 2 shown]
	v_max_f32_e32 v23, v23, v61
	ds_bpermute_b32 v61, v62, v23
	s_and_saveexec_b64 s[10:11], s[0:1]
	s_cbranch_execz .LBB64_15
; %bb.14:                               ;   in Loop: Header=BB64_9 Depth=1
	s_waitcnt lgkmcnt(0)
	v_max_f32_e32 v61, v61, v61
	v_max_f32_e32 v23, v23, v23
	v_max_f32_e32 v23, v23, v61
	ds_write_b32 v44, v23
.LBB64_15:                              ;   in Loop: Header=BB64_9 Depth=1
	s_or_b64 exec, exec, s[10:11]
	s_mul_hi_i32 s11, s6, s15
	s_mul_i32 s10, s6, s15
	s_lshl_b64 s[10:11], s[10:11], 2
	s_add_u32 s10, s12, s10
	s_addc_u32 s11, s13, s11
	v_mov_b32_e32 v23, s11
	s_waitcnt lgkmcnt(0)
	v_add_co_u32_e32 v61, vcc, s10, v15
	v_addc_co_u32_e32 v23, vcc, v23, v16, vcc
	v_add_co_u32_e32 v61, vcc, v61, v47
	v_addc_co_u32_e32 v62, vcc, 0, v23, vcc
	v_mov_b32_e32 v23, s11
	v_add_co_u32_e32 v63, vcc, s10, v17
	v_addc_co_u32_e32 v23, vcc, v23, v18, vcc
	v_add_co_u32_e32 v65, vcc, v63, v47
	v_addc_co_u32_e32 v66, vcc, 0, v23, vcc
	v_mov_b32_e32 v23, s11
	;; [unrolled: 5-line block ×3, first 2 shown]
	v_add_co_u32_e32 v71, vcc, s10, v21
	v_addc_co_u32_e32 v23, vcc, v23, v22, vcc
	v_add_co_u32_e32 v73, vcc, v71, v47
	v_addc_co_u32_e32 v74, vcc, 0, v23, vcc
	s_barrier
	global_load_dwordx4 v[61:64], v[61:62], off
	s_nop 0
	global_load_dwordx4 v[65:68], v[65:66], off
	s_nop 0
	;; [unrolled: 2-line block ×3, first 2 shown]
	global_load_dwordx4 v[73:76], v[73:74], off
	ds_read_b32 v23, v45
	v_and_b32_e32 v77, 0x7e, v36
	v_add_u32_e32 v77, 2, v77
	v_cmp_lt_i32_e32 vcc, v29, v77
	v_cndmask_b32_e32 v77, v36, v29, vcc
	v_lshlrev_b32_e32 v77, 2, v77
	s_waitcnt lgkmcnt(0)
	ds_bpermute_b32 v77, v77, v23
	v_max_f32_e32 v23, v23, v23
	s_or_b32 s10, s6, 32
	s_mul_hi_i32 s11, s10, s15
	s_mul_i32 s10, s10, s15
	s_waitcnt lgkmcnt(0)
	v_max_f32_e32 v77, v77, v77
	v_max_f32_e32 v23, v23, v77
	v_sub_f32_e32 v77, v30, v23
	v_mul_f32_e32 v30, 0x3fb8aa3b, v77
	v_fma_f32 v78, v77, s26, -v30
	v_rndne_f32_e32 v79, v30
	v_fmac_f32_e32 v78, 0x32a5705f, v77
	v_sub_f32_e32 v30, v30, v79
	v_sub_f32_e32 v60, v60, v23
	v_add_f32_e32 v30, v30, v78
	v_cvt_i32_f32_e32 v78, v79
	v_mul_f32_e32 v79, 0x3fb8aa3b, v60
	v_fma_f32 v80, v60, s26, -v79
	v_rndne_f32_e32 v81, v79
	v_fmac_f32_e32 v80, 0x32a5705f, v60
	v_sub_f32_e32 v79, v79, v81
	v_exp_f32_e32 v30, v30
	v_add_f32_e32 v79, v79, v80
	v_exp_f32_e32 v79, v79
	v_cvt_i32_f32_e32 v80, v81
	v_ldexp_f32 v30, v30, v78
	v_cmp_ngt_f32_e32 vcc, s27, v77
	v_cndmask_b32_e32 v78, 0, v30, vcc
	v_ldexp_f32 v30, v79, v80
	v_cmp_ngt_f32_e32 vcc, s27, v60
	v_cndmask_b32_e32 v30, 0, v30, vcc
	v_cmp_nlt_f32_e32 vcc, s31, v60
	v_cndmask_b32_e32 v30, v59, v30, vcc
	v_cmp_nlt_f32_e32 vcc, s31, v77
	v_cndmask_b32_e32 v60, v59, v78, vcc
	v_cvt_f16_f32_e32 v79, v30
	v_cvt_f16_f32_e32 v77, v60
	s_lshl_b64 s[10:11], s[10:11], 2
	s_add_u32 s10, s12, s10
	v_mul_u32_u24_e32 v78, 0x10001, v79
	v_pk_mul_f16 v4, v4, v78
	v_pk_mul_f16 v5, v5, v78
	s_addc_u32 s11, s13, s11
	v_mov_b32_e32 v93, s11
	v_add_co_u32_e32 v94, vcc, s10, v15
	v_addc_co_u32_e32 v95, vcc, v93, v16, vcc
	ds_write_b16 v46, v77
	s_waitcnt vmcnt(3)
	ds_write_b128 v48, v[61:64]
	s_waitcnt vmcnt(2)
	ds_write_b128 v49, v[65:68]
	;; [unrolled: 2-line block ×4, first 2 shown]
	s_waitcnt lgkmcnt(0)
	s_barrier
	ds_read2_b64 v[69:72], v53 offset1:32
	ds_read_u16 v61, v52
	ds_read_u16 v63, v52 offset:4
	ds_read_u16 v65, v52 offset:8
	;; [unrolled: 1-line block ×15, first 2 shown]
	ds_read2_b64 v[73:76], v53 offset0:128 offset1:160
	s_waitcnt lgkmcnt(14)
	v_mul_u32_u24_e32 v61, 0x10001, v61
	v_pk_mul_f16 v69, v69, v61
	v_pk_fma_f16 v2, v2, v78, v69
	v_pk_mul_f16 v69, v70, v61
	v_pk_fma_f16 v4, v71, v61, v4
	v_pk_fma_f16 v5, v72, v61, v5
	v_mul_u32_u24_e32 v61, 0x10001, v63
	s_waitcnt lgkmcnt(0)
	v_pk_fma_f16 v63, v73, v61, v2
	v_add_u32_e32 v2, 0x800, v53
	v_pk_fma_f16 v3, v3, v78, v69
	ds_read2_b64 v[69:72], v2 offset1:32
	v_pk_fma_f16 v3, v74, v61, v3
	v_pk_fma_f16 v4, v75, v61, v4
	;; [unrolled: 1-line block ×3, first 2 shown]
	v_mul_u32_u24_e32 v61, 0x10001, v65
	ds_read2_b64 v[73:76], v2 offset0:128 offset1:160
	s_waitcnt lgkmcnt(1)
	v_pk_fma_f16 v65, v70, v61, v3
	v_add_u32_e32 v3, 0x1000, v53
	v_pk_fma_f16 v63, v69, v61, v63
	v_pk_fma_f16 v4, v71, v61, v4
	;; [unrolled: 1-line block ×3, first 2 shown]
	ds_read2_b64 v[69:72], v3 offset1:32
	v_mul_u32_u24_e32 v61, 0x10001, v77
	s_waitcnt lgkmcnt(1)
	v_pk_fma_f16 v63, v73, v61, v63
	v_pk_fma_f16 v65, v74, v61, v65
	v_pk_fma_f16 v4, v75, v61, v4
	v_pk_fma_f16 v5, v76, v61, v5
	ds_read2_b64 v[73:76], v3 offset0:128 offset1:160
	v_mul_u32_u24_e32 v61, 0x10001, v79
	s_waitcnt lgkmcnt(1)
	v_pk_fma_f16 v77, v71, v61, v4
	v_add_u32_e32 v4, 0x1800, v53
	v_pk_fma_f16 v63, v69, v61, v63
	v_pk_fma_f16 v65, v70, v61, v65
	;; [unrolled: 1-line block ×3, first 2 shown]
	ds_read2_b64 v[69:72], v4 offset1:32
	v_mul_u32_u24_e32 v61, 0x10001, v80
	s_waitcnt lgkmcnt(1)
	v_pk_fma_f16 v63, v73, v61, v63
	v_pk_fma_f16 v65, v74, v61, v65
	;; [unrolled: 1-line block ×4, first 2 shown]
	ds_read2_b64 v[73:76], v4 offset0:128 offset1:160
	v_mul_u32_u24_e32 v61, 0x10001, v81
	s_waitcnt lgkmcnt(1)
	v_pk_fma_f16 v63, v69, v61, v63
	v_pk_fma_f16 v65, v70, v61, v65
	;; [unrolled: 1-line block ×4, first 2 shown]
	v_add_u32_e32 v5, 0x2000, v53
	v_mul_u32_u24_e32 v78, 0x10001, v82
	ds_read2_b64 v[69:72], v5 offset1:32
	s_waitcnt lgkmcnt(1)
	v_pk_fma_f16 v63, v73, v78, v63
	v_pk_fma_f16 v65, v74, v78, v65
	;; [unrolled: 1-line block ×4, first 2 shown]
	ds_read2_b64 v[73:76], v5 offset0:128 offset1:160
	v_mul_u32_u24_e32 v78, 0x10001, v83
	s_waitcnt lgkmcnt(1)
	v_pk_fma_f16 v65, v70, v78, v65
	v_mul_u32_u24_e32 v70, 0x10001, v84
	v_add_co_u32_e32 v93, vcc, v94, v47
	v_pk_fma_f16 v63, v69, v78, v63
	v_pk_fma_f16 v69, v71, v78, v77
	;; [unrolled: 1-line block ×3, first 2 shown]
	s_waitcnt lgkmcnt(0)
	v_pk_fma_f16 v101, v74, v70, v65
	v_add_u32_e32 v65, 0x2800, v53
	v_addc_co_u32_e32 v94, vcc, 0, v95, vcc
	v_pk_fma_f16 v100, v73, v70, v63
	v_pk_fma_f16 v102, v75, v70, v69
	;; [unrolled: 1-line block ×3, first 2 shown]
	ds_read2_b64 v[69:72], v65 offset1:32
	ds_read2_b64 v[73:76], v65 offset0:128 offset1:160
	v_mov_b32_e32 v95, s11
	v_add_co_u32_e32 v96, vcc, s10, v17
	v_addc_co_u32_e32 v95, vcc, v95, v18, vcc
	v_add_co_u32_e32 v97, vcc, v96, v47
	v_addc_co_u32_e32 v98, vcc, 0, v95, vcc
	v_mul_u32_u24_e32 v99, 0x10001, v99
	v_mov_b32_e32 v104, s11
	s_waitcnt lgkmcnt(1)
	v_pk_fma_f16 v105, v69, v99, v100
	v_add_co_u32_e32 v69, vcc, s10, v19
	v_pk_fma_f16 v106, v70, v99, v101
	v_addc_co_u32_e32 v70, vcc, v104, v20, vcc
	v_pk_fma_f16 v107, v71, v99, v102
	v_pk_fma_f16 v103, v72, v99, v103
	v_add_co_u32_e32 v99, vcc, v69, v47
	v_addc_co_u32_e32 v100, vcc, 0, v70, vcc
	v_mov_b32_e32 v69, s11
	v_add_co_u32_e32 v70, vcc, s10, v21
	v_addc_co_u32_e32 v69, vcc, v69, v22, vcc
	v_add_u32_e32 v63, 0x3000, v53
	v_add_u32_e32 v61, 0x3800, v53
	v_add_co_u32_e32 v101, vcc, v70, v47
	v_mul_u32_u24_e32 v68, 0x10001, v68
	ds_read2_b64 v[77:80], v63 offset1:32
	ds_read2_b64 v[81:84], v63 offset0:128 offset1:160
	ds_read2_b64 v[85:88], v61 offset1:32
	ds_read2_b64 v[89:92], v61 offset0:128 offset1:160
	s_waitcnt lgkmcnt(0)
	s_barrier
	global_load_dwordx4 v[93:96], v[93:94], off
	v_addc_co_u32_e32 v102, vcc, 0, v69, vcc
	global_load_dwordx4 v[69:72], v[97:98], off
	v_pk_fma_f16 v104, v73, v68, v105
	v_pk_fma_f16 v105, v74, v68, v106
	v_pk_fma_f16 v106, v75, v68, v107
	v_pk_fma_f16 v68, v76, v68, v103
	global_load_dwordx4 v[73:76], v[99:100], off
	s_nop 0
	global_load_dwordx4 v[97:100], v[101:102], off
	v_fma_f32 v43, v43, v30, v60
	v_mul_u32_u24_e32 v30, 0x10001, v67
	v_pk_fma_f16 v60, v77, v30, v104
	v_pk_fma_f16 v67, v78, v30, v105
	v_pk_fma_f16 v77, v79, v30, v106
	v_pk_fma_f16 v30, v80, v30, v68
	v_mul_u32_u24_e32 v66, 0x10001, v66
	v_pk_fma_f16 v60, v81, v66, v60
	v_pk_fma_f16 v67, v82, v66, v67
	v_pk_fma_f16 v68, v83, v66, v77
	v_pk_fma_f16 v30, v84, v66, v30
	;; [unrolled: 5-line block ×4, first 2 shown]
	s_waitcnt vmcnt(3)
	ds_write_b128 v48, v[93:96]
	s_waitcnt vmcnt(2)
	ds_write_b128 v49, v[69:72]
	s_waitcnt vmcnt(1)
	ds_write_b128 v50, v[73:76]
	s_waitcnt vmcnt(0)
	ds_write_b128 v51, v[97:100]
	s_waitcnt lgkmcnt(0)
	s_barrier
	ds_read2_b64 v[66:69], v53 offset1:32
	ds_read_u16 v62, v52 offset:64
	ds_read_u16 v74, v52 offset:68
	;; [unrolled: 1-line block ×16, first 2 shown]
	s_waitcnt lgkmcnt(14)
	v_mul_u32_u24_e32 v62, 0x10001, v62
	ds_read2_b64 v[70:73], v53 offset0:128 offset1:160
	v_pk_fma_f16 v60, v66, v62, v60
	v_pk_fma_f16 v64, v67, v62, v64
	v_pk_fma_f16 v77, v68, v62, v77
	v_pk_fma_f16 v30, v69, v62, v30
	ds_read2_b64 v[66:69], v2 offset1:32
	v_mul_u32_u24_e32 v62, 0x10001, v74
	s_waitcnt lgkmcnt(1)
	v_pk_fma_f16 v60, v70, v62, v60
	v_pk_fma_f16 v64, v71, v62, v64
	v_pk_fma_f16 v74, v72, v62, v77
	v_pk_fma_f16 v30, v73, v62, v30
	v_mul_u32_u24_e32 v62, 0x10001, v75
	ds_read2_b64 v[70:73], v2 offset0:128 offset1:160
	s_waitcnt lgkmcnt(1)
	v_pk_fma_f16 v60, v66, v62, v60
	v_pk_fma_f16 v2, v67, v62, v64
	v_pk_fma_f16 v64, v68, v62, v74
	v_pk_fma_f16 v30, v69, v62, v30
	ds_read2_b64 v[66:69], v3 offset1:32
	v_mul_u32_u24_e32 v62, 0x10001, v76
	s_waitcnt lgkmcnt(1)
	v_pk_fma_f16 v60, v70, v62, v60
	v_pk_fma_f16 v2, v71, v62, v2
	v_pk_fma_f16 v64, v72, v62, v64
	v_pk_fma_f16 v30, v73, v62, v30
	v_mul_u32_u24_e32 v62, 0x10001, v78
	ds_read2_b64 v[70:73], v3 offset0:128 offset1:160
	s_waitcnt lgkmcnt(1)
	;; [unrolled: 14-line block ×4, first 2 shown]
	v_pk_fma_f16 v60, v66, v70, v60
	v_pk_fma_f16 v62, v67, v70, v62
	;; [unrolled: 1-line block ×4, first 2 shown]
	ds_read2_b64 v[66:69], v65 offset1:32
	v_mul_u32_u24_e32 v70, 0x10001, v83
	s_waitcnt lgkmcnt(1)
	v_pk_fma_f16 v2, v2, v70, v60
	v_pk_fma_f16 v60, v3, v70, v62
	;; [unrolled: 1-line block ×3, first 2 shown]
	v_mul_u32_u24_e32 v64, 0x10001, v84
	v_pk_fma_f16 v30, v5, v70, v30
	s_waitcnt lgkmcnt(0)
	v_pk_fma_f16 v66, v66, v64, v2
	ds_read2_b64 v[2:5], v65 offset0:128 offset1:160
	v_pk_fma_f16 v62, v68, v64, v62
	v_mul_u32_u24_e32 v68, 0x10001, v85
	v_pk_fma_f16 v60, v67, v64, v60
	v_pk_fma_f16 v30, v69, v64, v30
	s_waitcnt lgkmcnt(0)
	v_pk_fma_f16 v2, v2, v68, v66
	ds_read2_b64 v[64:67], v63 offset1:32
	v_pk_fma_f16 v60, v3, v68, v60
	v_pk_fma_f16 v62, v4, v68, v62
	;; [unrolled: 1-line block ×3, first 2 shown]
	v_mul_u32_u24_e32 v68, 0x10001, v86
	s_waitcnt lgkmcnt(0)
	v_pk_fma_f16 v64, v64, v68, v2
	ds_read2_b64 v[2:5], v63 offset0:128 offset1:160
	v_pk_fma_f16 v30, v67, v68, v30
	v_mul_u32_u24_e32 v67, 0x10001, v87
	v_pk_fma_f16 v60, v65, v68, v60
	v_pk_fma_f16 v66, v66, v68, v62
	s_waitcnt lgkmcnt(0)
	v_pk_fma_f16 v2, v2, v67, v64
	ds_read2_b64 v[62:65], v61 offset1:32
	v_pk_fma_f16 v3, v3, v67, v60
	v_pk_fma_f16 v4, v4, v67, v66
	;; [unrolled: 1-line block ×3, first 2 shown]
	v_mul_u32_u24_e32 v30, 0x10001, v88
	s_waitcnt lgkmcnt(0)
	v_pk_fma_f16 v60, v62, v30, v2
	v_pk_fma_f16 v62, v63, v30, v3
	;; [unrolled: 1-line block ×4, first 2 shown]
	ds_read2_b64 v[2:5], v61 offset0:128 offset1:160
	s_waitcnt lgkmcnt(0)
	s_barrier
	s_load_dword s10, s[8:9], 0x4
	v_mul_u32_u24_e32 v61, 0x10001, v89
	v_pk_fma_f16 v2, v2, v61, v60
	v_pk_fma_f16 v3, v3, v61, v62
	;; [unrolled: 1-line block ×3, first 2 shown]
	s_waitcnt lgkmcnt(0)
	s_lshl_b32 s10, s10, 6
	s_add_i32 s6, s10, s6
	s_cmp_ge_i32 s6, s28
	v_pk_fma_f16 v5, v5, v61, v30
	s_cbranch_scc1 .LBB64_17
; %bb.16:                               ;   in Loop: Header=BB64_9 Depth=1
	v_mov_b32_e32 v60, v23
	s_branch .LBB64_9
.LBB64_17:
	v_mov_b32_e32 v6, v35
.LBB64_18:
	v_cmp_lt_i32_e32 vcc, v25, v24
	v_cndmask_b32_e32 v7, v36, v25, vcc
	v_lshlrev_b32_e32 v7, 2, v7
	ds_bpermute_b32 v7, v7, v43
	v_cmp_lt_i32_e32 vcc, v26, v24
	v_cndmask_b32_e32 v8, v36, v26, vcc
	v_lshlrev_b32_e32 v8, 2, v8
	v_cmp_lt_i32_e32 vcc, v27, v24
	s_waitcnt lgkmcnt(0)
	v_add_f32_e32 v7, v43, v7
	ds_bpermute_b32 v8, v8, v7
	v_cndmask_b32_e32 v9, v36, v27, vcc
	v_lshlrev_b32_e32 v9, 2, v9
	v_cmp_lt_i32_e32 vcc, v28, v24
	v_cmp_ne_u32_e64 s[0:1], 0, v6
	s_waitcnt lgkmcnt(0)
	v_add_f32_e32 v7, v7, v8
	ds_bpermute_b32 v8, v9, v7
	v_cndmask_b32_e32 v9, v36, v28, vcc
	v_lshlrev_b32_e32 v9, 2, v9
	v_cmp_lt_i32_e32 vcc, v29, v24
	s_waitcnt lgkmcnt(0)
	v_add_f32_e32 v7, v7, v8
	ds_bpermute_b32 v8, v9, v7
	v_cndmask_b32_e32 v9, v36, v29, vcc
	v_lshlrev_b32_e32 v9, 2, v9
	v_cmp_eq_u32_e32 vcc, 0, v6
	s_waitcnt lgkmcnt(0)
	v_add_f32_e32 v7, v7, v8
	ds_bpermute_b32 v8, v9, v7
	s_waitcnt lgkmcnt(0)
	v_add_f32_e32 v24, v7, v8
	s_and_saveexec_b64 s[8:9], s[0:1]
	s_xor_b64 s[8:9], exec, s[8:9]
	s_cbranch_execnz .LBB64_22
; %bb.19:
	s_andn2_saveexec_b64 s[0:1], s[8:9]
	s_cbranch_execnz .LBB64_25
.LBB64_20:
	s_or_b64 exec, exec, s[0:1]
	s_and_saveexec_b64 s[0:1], vcc
	s_cbranch_execnz .LBB64_26
.LBB64_21:
	s_endpgm
.LBB64_22:
	v_lshl_add_u32 v6, v1, 9, v34
	v_cmp_eq_u32_e64 s[0:1], 0, v0
	ds_write_b128 v6, v[2:5]
	s_and_saveexec_b64 s[10:11], s[0:1]
; %bb.23:
	v_lshlrev_b32_e32 v1, 2, v1
	ds_write_b32 v1, v24 offset:17408
; %bb.24:
	s_or_b64 exec, exec, s[10:11]
                                        ; implicit-def: $vgpr1
                                        ; implicit-def: $vgpr34
	s_andn2_saveexec_b64 s[0:1], s[8:9]
	s_cbranch_execz .LBB64_20
.LBB64_25:
	v_lshl_add_u32 v6, v1, 9, v34
	v_lshlrev_b32_e32 v1, 2, v1
	s_waitcnt lgkmcnt(0)
	s_barrier
	ds_read_b128 v[6:9], v6 offset:512
	ds_read_b32 v1, v1 offset:17412
	s_waitcnt lgkmcnt(1)
	v_pk_add_f16 v2, v6, v2
	v_pk_add_f16 v3, v7, v3
	;; [unrolled: 1-line block ×4, first 2 shown]
	s_waitcnt lgkmcnt(0)
	v_add_f32_e32 v24, v24, v1
	s_or_b64 exec, exec, s[0:1]
	s_and_saveexec_b64 s[0:1], vcc
	s_cbranch_execz .LBB64_21
.LBB64_26:
	s_cmp_eq_u64 s[16:17], 0
	s_cselect_b64 s[0:1], -1, 0
	s_cmp_lg_u32 s7, 0
	s_cselect_b64 s[8:9], -1, 0
	s_or_b64 s[0:1], s[8:9], s[0:1]
	v_add_u32_e32 v6, s29, v33
	s_and_b64 vcc, exec, s[0:1]
	s_cbranch_vccnz .LBB64_28
; %bb.27:
	v_ashrrev_i32_e32 v7, 31, v6
	v_lshlrev_b64 v[7:8], 2, v[6:7]
	v_mov_b32_e32 v1, s17
	v_add_co_u32_e32 v7, vcc, s16, v7
	v_addc_co_u32_e32 v8, vcc, v1, v8, vcc
	global_load_dword v1, v[7:8], off
	v_max_f32_e32 v7, v23, v23
	s_mov_b32 s0, 0x3fb8aa3b
	s_mov_b32 s1, 0xc2ce8ed0
	s_waitcnt vmcnt(0)
	v_max_f32_e32 v8, v1, v1
	v_max_f32_e32 v7, v7, v8
	v_sub_f32_e32 v8, v23, v7
	v_sub_f32_e32 v1, v1, v7
	v_mul_f32_e32 v9, 0x3fb8aa3b, v8
	v_mul_f32_e32 v10, 0x3fb8aa3b, v1
	v_fma_f32 v11, v8, s0, -v9
	v_rndne_f32_e32 v12, v9
	v_fma_f32 v13, v1, s0, -v10
	v_rndne_f32_e32 v14, v10
	v_fmac_f32_e32 v11, 0x32a5705f, v8
	v_sub_f32_e32 v9, v9, v12
	v_fmac_f32_e32 v13, 0x32a5705f, v1
	v_sub_f32_e32 v10, v10, v14
	v_add_f32_e32 v9, v9, v11
	v_cvt_i32_f32_e32 v12, v12
	v_add_f32_e32 v10, v10, v13
	v_exp_f32_e32 v9, v9
	v_cvt_i32_f32_e32 v14, v14
	v_exp_f32_e32 v10, v10
	v_cmp_ngt_f32_e32 vcc, s1, v8
	v_ldexp_f32 v9, v9, v12
	s_mov_b32 s0, 0x42b17218
	v_ldexp_f32 v10, v10, v14
	v_cndmask_b32_e32 v9, 0, v9, vcc
	v_cmp_ngt_f32_e32 vcc, s1, v1
	v_mov_b32_e32 v11, 0x7f800000
	v_cndmask_b32_e32 v10, 0, v10, vcc
	v_cmp_nlt_f32_e32 vcc, s0, v8
	v_cndmask_b32_e32 v8, v11, v9, vcc
	v_cvt_f16_f32_e32 v9, v8
	v_cmp_nlt_f32_e32 vcc, s0, v1
	v_cndmask_b32_e32 v1, v11, v10, vcc
	v_fmac_f32_e32 v1, v24, v8
	v_mov_b32_e32 v24, v1
	v_mul_u32_u24_e32 v1, 0x10001, v9
	v_pk_mul_f16 v2, v2, v1
	v_pk_mul_f16 v3, v3, v1
	;; [unrolled: 1-line block ×4, first 2 shown]
	v_mov_b32_e32 v23, v7
.LBB64_28:
	v_div_scale_f32 v1, s[0:1], v24, v24, 1.0
	v_div_scale_f32 v8, vcc, 1.0, v24, 1.0
	v_cmp_eq_u32_e64 s[0:1], 0, v0
	s_mul_i32 s33, s33, s2
	s_load_dword s4, s[4:5], 0xd4
	v_cvt_f32_f16_sdwa v11, v2 dst_sel:DWORD dst_unused:UNUSED_PAD src0_sel:WORD_1
	v_cvt_f32_f16_e32 v12, v2
	v_mov_b32_e32 v7, 0
	v_add_u32_e32 v2, s33, v31
	v_cvt_f32_f16_sdwa v10, v3 dst_sel:DWORD dst_unused:UNUSED_PAD src0_sel:WORD_1
	v_cvt_f32_f16_e32 v3, v3
	v_cvt_f32_f16_sdwa v14, v5 dst_sel:DWORD dst_unused:UNUSED_PAD src0_sel:WORD_1
	v_cvt_f32_f16_e32 v5, v5
	s_waitcnt lgkmcnt(0)
	s_cmp_lg_u32 s4, 1
	v_rcp_f32_e32 v0, v1
	v_cvt_f32_f16_sdwa v15, v4 dst_sel:DWORD dst_unused:UNUSED_PAD src0_sel:WORD_1
	v_cvt_f32_f16_e32 v16, v4
	v_fma_f32 v9, -v1, v0, 1.0
	v_fmac_f32_e32 v0, v9, v0
	v_mul_f32_e32 v9, v8, v0
	v_fma_f32 v13, -v1, v9, v8
	v_fmac_f32_e32 v9, v13, v0
	v_fma_f32 v1, -v1, v9, v8
	v_div_fmas_f32 v13, v1, v0, v9
	v_mad_u64_u32 v[0:1], s[2:3], v2, s3, v[6:7]
	s_cselect_b64 s[2:3], -1, 0
	v_mov_b32_e32 v9, s21
	v_mul_lo_u32 v0, s4, v0
	s_and_b64 s[0:1], s[0:1], s[2:3]
	v_add_u32_e32 v0, s7, v0
	v_lshl_add_u32 v6, v0, 8, v32
	v_lshlrev_b64 v[1:2], 2, v[6:7]
	v_add_u32_e32 v6, 0x80, v6
	v_add_co_u32_e32 v8, vcc, s20, v1
	v_addc_co_u32_e32 v9, vcc, v9, v2, vcc
	v_div_fixup_f32 v1, v13, v24, 1.0
	v_cndmask_b32_e64 v13, v1, 1.0, s[2:3]
	v_mul_f32_e32 v4, v13, v10
	v_mul_f32_e32 v3, v13, v3
	;; [unrolled: 1-line block ×4, first 2 shown]
	global_store_dwordx4 v[8:9], v[1:4], off
	s_nop 0
	v_mul_f32_e32 v3, v13, v5
	v_lshlrev_b64 v[5:6], 2, v[6:7]
	v_mov_b32_e32 v7, s21
	v_add_co_u32_e32 v5, vcc, s20, v5
	v_mul_f32_e32 v4, v13, v14
	v_mul_f32_e32 v2, v13, v15
	;; [unrolled: 1-line block ×3, first 2 shown]
	v_addc_co_u32_e32 v6, vcc, v7, v6, vcc
	global_store_dwordx4 v[5:6], v[1:4], off
	s_and_b64 exec, exec, s[0:1]
	s_cbranch_execz .LBB64_21
; %bb.29:
	v_ashrrev_i32_e32 v1, 31, v0
	v_lshlrev_b64 v[0:1], 3, v[0:1]
	v_mov_b32_e32 v2, s23
	v_add_co_u32_e32 v0, vcc, s22, v0
	v_addc_co_u32_e32 v1, vcc, v2, v1, vcc
	global_store_dwordx2 v[0:1], v[23:24], off
	s_endpgm
	.section	.rodata,"a",@progbits
	.p2align	6, 0x0
	.amdhsa_kernel _ZL15flash_attn_tileILi256ELi256ELi1ELi4ELb1EEvPKcS1_S1_S1_S1_PKiPfP15HIP_vector_typeIfLj2EEffffjfiS5_IjLj3EEiiiiiiiiiiiliiliiiiil
		.amdhsa_group_segment_fixed_size 20000
		.amdhsa_private_segment_fixed_size 0
		.amdhsa_kernarg_size 464
		.amdhsa_user_sgpr_count 6
		.amdhsa_user_sgpr_private_segment_buffer 1
		.amdhsa_user_sgpr_dispatch_ptr 0
		.amdhsa_user_sgpr_queue_ptr 0
		.amdhsa_user_sgpr_kernarg_segment_ptr 1
		.amdhsa_user_sgpr_dispatch_id 0
		.amdhsa_user_sgpr_flat_scratch_init 0
		.amdhsa_user_sgpr_private_segment_size 0
		.amdhsa_uses_dynamic_stack 0
		.amdhsa_system_sgpr_private_segment_wavefront_offset 0
		.amdhsa_system_sgpr_workgroup_id_x 1
		.amdhsa_system_sgpr_workgroup_id_y 1
		.amdhsa_system_sgpr_workgroup_id_z 1
		.amdhsa_system_sgpr_workgroup_info 0
		.amdhsa_system_vgpr_workitem_id 1
		.amdhsa_next_free_vgpr 108
		.amdhsa_next_free_sgpr 98
		.amdhsa_reserve_vcc 1
		.amdhsa_reserve_flat_scratch 0
		.amdhsa_float_round_mode_32 0
		.amdhsa_float_round_mode_16_64 0
		.amdhsa_float_denorm_mode_32 3
		.amdhsa_float_denorm_mode_16_64 3
		.amdhsa_dx10_clamp 1
		.amdhsa_ieee_mode 1
		.amdhsa_fp16_overflow 0
		.amdhsa_exception_fp_ieee_invalid_op 0
		.amdhsa_exception_fp_denorm_src 0
		.amdhsa_exception_fp_ieee_div_zero 0
		.amdhsa_exception_fp_ieee_overflow 0
		.amdhsa_exception_fp_ieee_underflow 0
		.amdhsa_exception_fp_ieee_inexact 0
		.amdhsa_exception_int_div_zero 0
	.end_amdhsa_kernel
	.section	.text._ZL15flash_attn_tileILi256ELi256ELi1ELi4ELb1EEvPKcS1_S1_S1_S1_PKiPfP15HIP_vector_typeIfLj2EEffffjfiS5_IjLj3EEiiiiiiiiiiiliiliiiiil,"axG",@progbits,_ZL15flash_attn_tileILi256ELi256ELi1ELi4ELb1EEvPKcS1_S1_S1_S1_PKiPfP15HIP_vector_typeIfLj2EEffffjfiS5_IjLj3EEiiiiiiiiiiiliiliiiiil,comdat
.Lfunc_end64:
	.size	_ZL15flash_attn_tileILi256ELi256ELi1ELi4ELb1EEvPKcS1_S1_S1_S1_PKiPfP15HIP_vector_typeIfLj2EEffffjfiS5_IjLj3EEiiiiiiiiiiiliiliiiiil, .Lfunc_end64-_ZL15flash_attn_tileILi256ELi256ELi1ELi4ELb1EEvPKcS1_S1_S1_S1_PKiPfP15HIP_vector_typeIfLj2EEffffjfiS5_IjLj3EEiiiiiiiiiiiliiliiiiil
                                        ; -- End function
	.set _ZL15flash_attn_tileILi256ELi256ELi1ELi4ELb1EEvPKcS1_S1_S1_S1_PKiPfP15HIP_vector_typeIfLj2EEffffjfiS5_IjLj3EEiiiiiiiiiiiliiliiiiil.num_vgpr, 108
	.set _ZL15flash_attn_tileILi256ELi256ELi1ELi4ELb1EEvPKcS1_S1_S1_S1_PKiPfP15HIP_vector_typeIfLj2EEffffjfiS5_IjLj3EEiiiiiiiiiiiliiliiiiil.num_agpr, 0
	.set _ZL15flash_attn_tileILi256ELi256ELi1ELi4ELb1EEvPKcS1_S1_S1_S1_PKiPfP15HIP_vector_typeIfLj2EEffffjfiS5_IjLj3EEiiiiiiiiiiiliiliiiiil.numbered_sgpr, 42
	.set _ZL15flash_attn_tileILi256ELi256ELi1ELi4ELb1EEvPKcS1_S1_S1_S1_PKiPfP15HIP_vector_typeIfLj2EEffffjfiS5_IjLj3EEiiiiiiiiiiiliiliiiiil.num_named_barrier, 0
	.set _ZL15flash_attn_tileILi256ELi256ELi1ELi4ELb1EEvPKcS1_S1_S1_S1_PKiPfP15HIP_vector_typeIfLj2EEffffjfiS5_IjLj3EEiiiiiiiiiiiliiliiiiil.private_seg_size, 0
	.set _ZL15flash_attn_tileILi256ELi256ELi1ELi4ELb1EEvPKcS1_S1_S1_S1_PKiPfP15HIP_vector_typeIfLj2EEffffjfiS5_IjLj3EEiiiiiiiiiiiliiliiiiil.uses_vcc, 1
	.set _ZL15flash_attn_tileILi256ELi256ELi1ELi4ELb1EEvPKcS1_S1_S1_S1_PKiPfP15HIP_vector_typeIfLj2EEffffjfiS5_IjLj3EEiiiiiiiiiiiliiliiiiil.uses_flat_scratch, 0
	.set _ZL15flash_attn_tileILi256ELi256ELi1ELi4ELb1EEvPKcS1_S1_S1_S1_PKiPfP15HIP_vector_typeIfLj2EEffffjfiS5_IjLj3EEiiiiiiiiiiiliiliiiiil.has_dyn_sized_stack, 0
	.set _ZL15flash_attn_tileILi256ELi256ELi1ELi4ELb1EEvPKcS1_S1_S1_S1_PKiPfP15HIP_vector_typeIfLj2EEffffjfiS5_IjLj3EEiiiiiiiiiiiliiliiiiil.has_recursion, 0
	.set _ZL15flash_attn_tileILi256ELi256ELi1ELi4ELb1EEvPKcS1_S1_S1_S1_PKiPfP15HIP_vector_typeIfLj2EEffffjfiS5_IjLj3EEiiiiiiiiiiiliiliiiiil.has_indirect_call, 0
	.section	.AMDGPU.csdata,"",@progbits
; Kernel info:
; codeLenInByte = 7824
; TotalNumSgprs: 46
; NumVgprs: 108
; ScratchSize: 0
; MemoryBound: 0
; FloatMode: 240
; IeeeMode: 1
; LDSByteSize: 20000 bytes/workgroup (compile time only)
; SGPRBlocks: 12
; VGPRBlocks: 26
; NumSGPRsForWavesPerEU: 102
; NumVGPRsForWavesPerEU: 108
; Occupancy: 2
; WaveLimiterHint : 1
; COMPUTE_PGM_RSRC2:SCRATCH_EN: 0
; COMPUTE_PGM_RSRC2:USER_SGPR: 6
; COMPUTE_PGM_RSRC2:TRAP_HANDLER: 0
; COMPUTE_PGM_RSRC2:TGID_X_EN: 1
; COMPUTE_PGM_RSRC2:TGID_Y_EN: 1
; COMPUTE_PGM_RSRC2:TGID_Z_EN: 1
; COMPUTE_PGM_RSRC2:TIDIG_COMP_CNT: 1
	.section	.text._ZL15flash_attn_tileILi256ELi256ELi16ELi2ELb1EEvPKcS1_S1_S1_S1_PKiPfP15HIP_vector_typeIfLj2EEffffjfiS5_IjLj3EEiiiiiiiiiiiliiliiiiil,"axG",@progbits,_ZL15flash_attn_tileILi256ELi256ELi16ELi2ELb1EEvPKcS1_S1_S1_S1_PKiPfP15HIP_vector_typeIfLj2EEffffjfiS5_IjLj3EEiiiiiiiiiiiliiliiiiil,comdat
	.globl	_ZL15flash_attn_tileILi256ELi256ELi16ELi2ELb1EEvPKcS1_S1_S1_S1_PKiPfP15HIP_vector_typeIfLj2EEffffjfiS5_IjLj3EEiiiiiiiiiiiliiliiiiil ; -- Begin function _ZL15flash_attn_tileILi256ELi256ELi16ELi2ELb1EEvPKcS1_S1_S1_S1_PKiPfP15HIP_vector_typeIfLj2EEffffjfiS5_IjLj3EEiiiiiiiiiiiliiliiiiil
	.p2align	8
	.type	_ZL15flash_attn_tileILi256ELi256ELi16ELi2ELb1EEvPKcS1_S1_S1_S1_PKiPfP15HIP_vector_typeIfLj2EEffffjfiS5_IjLj3EEiiiiiiiiiiiliiliiiiil,@function
_ZL15flash_attn_tileILi256ELi256ELi16ELi2ELb1EEvPKcS1_S1_S1_S1_PKiPfP15HIP_vector_typeIfLj2EEffffjfiS5_IjLj3EEiiiiiiiiiiiliiliiiiil: ; @_ZL15flash_attn_tileILi256ELi256ELi16ELi2ELb1EEvPKcS1_S1_S1_S1_PKiPfP15HIP_vector_typeIfLj2EEffffjfiS5_IjLj3EEiiiiiiiiiiiliiliiiiil
; %bb.0:
	s_load_dwordx4 s[0:3], s[4:5], 0x5c
	s_load_dwordx2 s[30:31], s[4:5], 0x80
	s_load_dwordx2 s[36:37], s[4:5], 0xb8
	s_mov_b64 s[34:35], 0
	s_waitcnt lgkmcnt(0)
	s_lshr_b32 s9, s3, 31
	s_add_i32 s9, s3, s9
	s_ashr_i32 s9, s9, 1
	v_cvt_f32_u32_e32 v2, s9
	s_sub_i32 s10, 0, s9
	v_rcp_iflag_f32_e32 v2, v2
	v_mul_f32_e32 v2, 0x4f7ffffe, v2
	v_cvt_u32_f32_e32 v2, v2
	v_readfirstlane_b32 s11, v2
	s_mul_i32 s10, s10, s11
	s_mul_hi_u32 s10, s11, s10
	s_add_i32 s11, s11, s10
	s_mul_hi_u32 s10, s8, s11
	s_mul_i32 s11, s10, s9
	s_sub_i32 s11, s8, s11
	s_add_i32 s12, s10, 1
	s_sub_i32 s13, s11, s9
	s_cmp_ge_u32 s11, s9
	s_cselect_b32 s10, s12, s10
	s_cselect_b32 s11, s13, s11
	s_add_i32 s12, s10, 1
	s_cmp_ge_u32 s11, s9
	s_cselect_b32 s33, s12, s10
	s_abs_i32 s9, s31
	v_cvt_f32_u32_e32 v2, s9
	s_lshl_b32 s8, s8, 1
	s_mul_i32 s12, s33, s3
	s_sub_i32 s13, 0, s9
	v_rcp_iflag_f32_e32 v2, v2
	s_sub_i32 s28, s8, s12
	s_abs_i32 s11, s3
	s_xor_b32 s10, s3, s31
	v_mul_f32_e32 v2, 0x4f7ffffe, v2
	v_cvt_u32_f32_e32 v2, v2
	s_ashr_i32 s10, s10, 31
	v_readfirstlane_b32 s8, v2
	s_mul_i32 s13, s13, s8
	s_mul_hi_u32 s12, s8, s13
	s_add_i32 s8, s8, s12
	s_mul_hi_u32 s8, s11, s8
	s_mul_i32 s12, s8, s9
	s_sub_i32 s11, s11, s12
	s_add_i32 s13, s8, 1
	s_sub_i32 s12, s11, s9
	s_cmp_ge_u32 s11, s9
	s_cselect_b32 s8, s13, s8
	s_cselect_b32 s11, s12, s11
	s_add_i32 s12, s8, 1
	s_cmp_ge_u32 s11, s9
	s_cselect_b32 s8, s12, s8
	s_xor_b32 s8, s8, s10
	s_sub_i32 s31, s8, s10
	s_abs_i32 s29, s31
	v_cvt_f32_u32_e32 v2, s29
	s_load_dwordx16 s[8:23], s[4:5], 0x0
	v_rcp_iflag_f32_e32 v2, v2
	s_waitcnt lgkmcnt(0)
	s_cmp_eq_u64 s[14:15], 0
	v_mul_f32_e32 v2, 0x4f7ffffe, v2
	v_cvt_u32_f32_e32 v2, v2
	v_readfirstlane_b32 s38, v2
	s_cbranch_scc1 .LBB65_2
; %bb.1:
	s_abs_i32 s26, s36
	v_cvt_f32_u32_e32 v2, s26
	s_sub_i32 s35, 0, s26
	s_abs_i32 s34, s33
	s_ashr_i32 s27, s33, 31
	v_rcp_iflag_f32_e32 v2, v2
	s_load_dwordx2 s[24:25], s[4:5], 0xc8
	v_mul_f32_e32 v2, 0x4f7ffffe, v2
	v_cvt_u32_f32_e32 v2, v2
	v_readfirstlane_b32 s36, v2
	s_mul_i32 s35, s35, s36
	s_mul_hi_u32 s35, s36, s35
	s_add_i32 s36, s36, s35
	s_mul_hi_u32 s35, s34, s36
	s_mul_i32 s35, s35, s26
	s_sub_i32 s34, s34, s35
	s_sub_i32 s35, s34, s26
	s_cmp_ge_u32 s34, s26
	s_cselect_b32 s34, s35, s34
	s_sub_i32 s35, s34, s26
	s_cmp_ge_u32 s34, s26
	s_cselect_b32 s26, s35, s34
	s_xor_b32 s26, s26, s27
	s_sub_i32 s26, s26, s27
	s_ashr_i32 s27, s26, 31
	s_waitcnt lgkmcnt(0)
	s_mul_hi_u32 s34, s24, s26
	s_mul_i32 s27, s24, s27
	s_mul_i32 s25, s25, s26
	s_add_i32 s27, s34, s27
	s_add_i32 s27, s27, s25
	s_mul_i32 s24, s24, s26
	s_add_u32 s34, s14, s24
	s_addc_u32 s35, s15, s27
.LBB65_2:
	s_lshl_b32 s14, s6, 4
	v_lshlrev_b32_e32 v13, 1, v1
	s_load_dwordx4 s[24:27], s[4:5], 0x70
	v_add_u32_e32 v14, s14, v13
	v_mul_hi_u32 v2, v14, s0
	v_lshlrev_b32_e32 v21, 2, v1
	v_lshlrev_b32_e32 v38, 4, v0
	s_waitcnt lgkmcnt(0)
	s_mul_i32 s15, s33, s26
	v_add_u32_e32 v2, v14, v2
	s_ashr_i32 s27, s15, 31
	v_lshrrev_b32_e32 v2, s1, v2
	s_mul_i32 s26, s28, s25
	s_add_u32 s8, s8, s15
	v_mul_lo_u32 v2, v2, s2
	s_addc_u32 s9, s9, s27
	s_ashr_i32 s15, s26, 31
	s_add_u32 s36, s8, s26
	s_addc_u32 s15, s9, s15
	s_ashr_i32 s27, s24, 31
	s_mov_b32 s26, s24
	s_lshr_b64 s[8:9], s[26:27], 2
	v_sub_u32_e32 v2, v14, v2
	v_mad_u64_u32 v[3:4], s[40:41], s8, v2, 0
	s_lshr_b32 s39, s27, 2
	v_or_b32_e32 v46, 2, v21
	v_mad_u64_u32 v[4:5], s[26:27], s39, v2, v[4:5]
	v_lshrrev_b32_e32 v17, 1, v46
	v_add_u32_e32 v18, s14, v17
	v_lshlrev_b64 v[11:12], 2, v[3:4]
	v_mov_b32_e32 v3, s15
	v_add_co_u32_e32 v4, vcc, s36, v11
	v_addc_co_u32_e32 v3, vcc, v3, v12, vcc
	v_add_co_u32_e32 v15, vcc, v4, v38
	v_addc_co_u32_e32 v16, vcc, 0, v3, vcc
	global_load_dwordx4 v[3:6], v[15:16], off
	global_load_dwordx4 v[7:10], v[15:16], off offset:512
	v_mul_hi_u32 v15, v18, s0
	s_ashr_i32 s9, s25, 31
	s_and_b32 s24, s25, -4
	s_add_u32 s26, s36, s24
	v_add_u32_e32 v15, v18, v15
	v_lshrrev_b32_e32 v15, s1, v15
	v_mul_lo_u32 v15, v15, s2
	s_addc_u32 s27, s15, s9
	v_mov_b32_e32 v16, s27
	v_add_co_u32_e32 v19, vcc, s26, v11
	v_sub_u32_e32 v20, v18, v15
	v_addc_co_u32_e32 v16, vcc, v16, v12, vcc
	v_mad_u64_u32 v[11:12], s[24:25], s8, v20, 0
	v_add_co_u32_e32 v15, vcc, v19, v38
	v_mad_u64_u32 v[19:20], s[24:25], s39, v20, v[12:13]
	v_addc_co_u32_e32 v16, vcc, 0, v16, vcc
	v_or_b32_e32 v47, 3, v21
	global_load_dwordx4 v[22:25], v[15:16], off
	global_load_dwordx4 v[26:29], v[15:16], off offset:512
	v_lshrrev_b32_e32 v15, 1, v47
	v_add_u32_e32 v16, s14, v15
	v_mov_b32_e32 v12, v19
	v_mul_hi_u32 v20, v16, s0
	v_lshlrev_b64 v[11:12], 2, v[11:12]
	v_mov_b32_e32 v19, s15
	v_add_co_u32_e32 v11, vcc, s36, v11
	v_addc_co_u32_e32 v12, vcc, v19, v12, vcc
	v_add_u32_e32 v19, v16, v20
	v_lshrrev_b32_e32 v19, s1, v19
	v_mul_lo_u32 v19, v19, s2
	v_add_co_u32_e32 v11, vcc, v11, v38
	v_addc_co_u32_e32 v12, vcc, 0, v12, vcc
	v_sub_u32_e32 v21, v16, v19
	v_mad_u64_u32 v[19:20], s[8:9], s8, v21, 0
	global_load_dwordx4 v[30:33], v[11:12], off
	global_load_dwordx4 v[34:37], v[11:12], off offset:512
	v_mad_u64_u32 v[20:21], s[8:9], s39, v21, v[20:21]
	s_load_dword s8, s[4:5], 0x40
	v_lshlrev_b32_e32 v21, 11, v1
	v_lshlrev_b64 v[11:12], 2, v[19:20]
	v_mov_b32_e32 v19, s27
	v_add_co_u32_e32 v11, vcc, s26, v11
	v_addc_co_u32_e32 v12, vcc, v19, v12, vcc
	v_add_co_u32_e32 v11, vcc, v11, v38
	v_addc_co_u32_e32 v12, vcc, 0, v12, vcc
	global_load_dwordx4 v[38:41], v[11:12], off
	global_load_dwordx4 v[42:45], v[11:12], off offset:512
	v_lshlrev_b32_e32 v20, 3, v0
	v_or_b32_e32 v19, v20, v21
	s_cmp_eq_u64 s[18:19], 0
	s_waitcnt vmcnt(7) lgkmcnt(0)
	v_fma_mixlo_f16 v3, s8, v3, 0
	v_fma_mixlo_f16 v4, s8, v4, 0
	v_lshlrev_b32_e32 v4, 16, v4
	v_and_b32_e32 v3, 0xffff, v3
	v_or_b32_e32 v3, v4, v3
	v_fma_mixlo_f16 v4, s8, v5, 0
	v_fma_mixlo_f16 v5, s8, v6, 0
	v_lshlrev_b32_e32 v5, 16, v5
	v_and_b32_e32 v4, 0xffff, v4
	v_or3_b32 v4, v5, v4, 0
	s_waitcnt vmcnt(6)
	v_fma_mixlo_f16 v5, s8, v7, 0
	v_fma_mixlo_f16 v6, s8, v8, 0
	v_lshlrev_b32_e32 v6, 16, v6
	v_and_b32_e32 v5, 0xffff, v5
	v_or_b32_e32 v5, v6, v5
	v_fma_mixlo_f16 v6, s8, v9, 0
	v_fma_mixlo_f16 v7, s8, v10, 0
	v_lshlrev_b32_e32 v7, 16, v7
	v_and_b32_e32 v6, 0xffff, v6
	v_or3_b32 v3, 0, 0, v3
	v_or3_b32 v6, v7, v6, 0
	;; [unrolled: 1-line block ×3, first 2 shown]
	ds_write2_b64 v19, v[3:4], v[5:6] offset1:32
	s_waitcnt vmcnt(5)
	v_fma_mixlo_f16 v3, s8, v22, 0
	v_fma_mixlo_f16 v4, s8, v23, 0
	v_lshlrev_b32_e32 v4, 16, v4
	v_and_b32_e32 v3, 0xffff, v3
	v_or_b32_e32 v3, v4, v3
	v_fma_mixlo_f16 v4, s8, v24, 0
	v_fma_mixlo_f16 v5, s8, v25, 0
	v_lshlrev_b32_e32 v5, 16, v5
	v_and_b32_e32 v4, 0xffff, v4
	v_or3_b32 v4, v5, v4, 0
	s_waitcnt vmcnt(4)
	v_fma_mixlo_f16 v5, s8, v26, 0
	v_fma_mixlo_f16 v6, s8, v27, 0
	v_lshlrev_b32_e32 v6, 16, v6
	v_and_b32_e32 v5, 0xffff, v5
	v_or_b32_e32 v5, v6, v5
	v_fma_mixlo_f16 v6, s8, v28, 0
	v_fma_mixlo_f16 v7, s8, v29, 0
	v_lshlrev_b32_e32 v7, 16, v7
	v_and_b32_e32 v6, 0xffff, v6
	v_or3_b32 v3, 0, 0, v3
	v_or3_b32 v6, v7, v6, 0
	;; [unrolled: 1-line block ×3, first 2 shown]
	ds_write2_b64 v19, v[3:4], v[5:6] offset0:64 offset1:96
	s_waitcnt vmcnt(3)
	v_fma_mixlo_f16 v3, s8, v30, 0
	v_fma_mixlo_f16 v4, s8, v31, 0
	v_lshlrev_b32_e32 v4, 16, v4
	v_and_b32_e32 v3, 0xffff, v3
	v_or_b32_e32 v3, v4, v3
	v_fma_mixlo_f16 v4, s8, v32, 0
	v_fma_mixlo_f16 v5, s8, v33, 0
	v_lshlrev_b32_e32 v5, 16, v5
	v_and_b32_e32 v4, 0xffff, v4
	v_or3_b32 v4, v5, v4, 0
	s_waitcnt vmcnt(2)
	v_fma_mixlo_f16 v5, s8, v34, 0
	v_fma_mixlo_f16 v6, s8, v35, 0
	v_lshlrev_b32_e32 v6, 16, v6
	v_and_b32_e32 v5, 0xffff, v5
	v_or_b32_e32 v5, v6, v5
	v_fma_mixlo_f16 v6, s8, v36, 0
	v_fma_mixlo_f16 v8, s8, v37, 0
	v_lshlrev_b32_e32 v8, 16, v8
	v_and_b32_e32 v6, 0xffff, v6
	v_lshl_add_u32 v7, v46, 9, v20
	v_or3_b32 v3, 0, 0, v3
	v_or3_b32 v6, v8, v6, 0
	;; [unrolled: 1-line block ×3, first 2 shown]
	ds_write2_b64 v7, v[3:4], v[5:6] offset1:32
	s_waitcnt vmcnt(1)
	v_fma_mixlo_f16 v3, s8, v38, 0
	v_fma_mixlo_f16 v4, s8, v39, 0
	v_lshlrev_b32_e32 v4, 16, v4
	v_and_b32_e32 v3, 0xffff, v3
	v_or_b32_e32 v3, v4, v3
	v_fma_mixlo_f16 v4, s8, v40, 0
	v_fma_mixlo_f16 v5, s8, v41, 0
	v_lshlrev_b32_e32 v5, 16, v5
	v_and_b32_e32 v4, 0xffff, v4
	v_or3_b32 v4, v5, v4, 0
	s_waitcnt vmcnt(0)
	v_fma_mixlo_f16 v5, s8, v42, 0
	v_fma_mixlo_f16 v6, s8, v43, 0
	v_lshlrev_b32_e32 v6, 16, v6
	v_and_b32_e32 v5, 0xffff, v5
	v_or_b32_e32 v5, v6, v5
	v_fma_mixlo_f16 v6, s8, v44, 0
	v_fma_mixlo_f16 v8, s8, v45, 0
	v_lshlrev_b32_e32 v8, 16, v8
	v_and_b32_e32 v6, 0xffff, v6
	v_lshl_add_u32 v7, v47, 9, v20
	v_or3_b32 v3, 0, 0, v3
	v_or3_b32 v6, v8, v6, 0
	;; [unrolled: 1-line block ×3, first 2 shown]
	ds_write2_b64 v7, v[3:4], v[5:6] offset1:32
	s_waitcnt lgkmcnt(0)
	s_barrier
	s_cbranch_scc1 .LBB65_4
; %bb.3:
	s_load_dword s8, s[4:5], 0xd0
	s_mov_b32 s9, 0
	s_waitcnt lgkmcnt(0)
	s_mul_i32 s8, s8, s33
	s_add_i32 s8, s8, s6
	s_lshl_b64 s[8:9], s[8:9], 2
	s_add_u32 s8, s18, s8
	s_addc_u32 s9, s19, s9
	s_load_dword s30, s[8:9], 0x0
.LBB65_4:
	s_lshl_b32 s6, s7, 5
	v_lshlrev_b32_e32 v19, 2, v0
	s_waitcnt lgkmcnt(0)
	s_cmp_lt_i32 s6, s30
	v_mbcnt_lo_u32_b32 v3, -1, 0
	s_cbranch_scc1 .LBB65_10
; %bb.5:
	v_mbcnt_hi_u32_b32 v22, -1, v3
	v_and_b32_e32 v4, 0x60, v22
	v_add_u32_e32 v66, 32, v4
	v_xor_b32_e32 v67, 16, v22
	v_xor_b32_e32 v65, 8, v22
	v_xor_b32_e32 v68, 4, v22
	v_xor_b32_e32 v69, 2, v22
	v_xor_b32_e32 v70, 1, v22
	s_cbranch_execz .LBB65_11
; %bb.6:
	v_mov_b32_e32 v50, 0
	v_mov_b32_e32 v71, 0
	;; [unrolled: 1-line block ×24, first 2 shown]
.LBB65_7:
	v_cmp_lt_i32_e32 vcc, v67, v66
	v_cndmask_b32_e32 v5, v22, v67, vcc
	v_lshlrev_b32_e32 v5, 2, v5
	ds_bpermute_b32 v6, v5, v62
	ds_bpermute_b32 v12, v5, v63
	;; [unrolled: 1-line block ×4, first 2 shown]
	v_cmp_lt_i32_e32 vcc, v65, v66
	v_cndmask_b32_e32 v7, v22, v65, vcc
	v_cmp_lt_i32_e32 vcc, v68, v66
	v_cndmask_b32_e32 v9, v22, v68, vcc
	v_cmp_lt_i32_e32 vcc, v69, v66
	v_lshlrev_b32_e32 v7, 2, v7
	s_waitcnt lgkmcnt(3)
	v_add_f32_e32 v6, v62, v6
	v_cndmask_b32_e32 v10, v22, v69, vcc
	v_cmp_lt_i32_e32 vcc, v70, v66
	s_waitcnt lgkmcnt(2)
	v_add_f32_e32 v12, v63, v12
	s_waitcnt lgkmcnt(1)
	v_add_f32_e32 v20, v64, v20
	;; [unrolled: 2-line block ×3, first 2 shown]
	ds_bpermute_b32 v8, v7, v6
	v_cndmask_b32_e32 v11, v22, v70, vcc
	ds_bpermute_b32 v21, v7, v12
	ds_bpermute_b32 v22, v7, v20
	ds_bpermute_b32 v7, v7, v5
	v_lshlrev_b32_e32 v9, 2, v9
	s_waitcnt lgkmcnt(3)
	v_add_f32_e32 v6, v6, v8
	s_waitcnt lgkmcnt(2)
	v_add_f32_e32 v12, v12, v21
	s_waitcnt lgkmcnt(1)
	v_add_f32_e32 v20, v20, v22
	s_waitcnt lgkmcnt(0)
	v_add_f32_e32 v5, v5, v7
	ds_bpermute_b32 v8, v9, v6
	ds_bpermute_b32 v21, v9, v12
	ds_bpermute_b32 v22, v9, v20
	ds_bpermute_b32 v7, v9, v5
	v_lshlrev_b32_e32 v10, 2, v10
	s_waitcnt lgkmcnt(3)
	v_add_f32_e32 v6, v6, v8
	s_waitcnt lgkmcnt(2)
	v_add_f32_e32 v9, v12, v21
	s_waitcnt lgkmcnt(1)
	v_add_f32_e32 v20, v20, v22
	s_waitcnt lgkmcnt(0)
	v_add_f32_e32 v5, v5, v7
	ds_bpermute_b32 v8, v10, v6
	;; [unrolled: 13-line block ×3, first 2 shown]
	ds_bpermute_b32 v10, v11, v9
	ds_bpermute_b32 v20, v11, v12
	;; [unrolled: 1-line block ×3, first 2 shown]
	s_cmp_lg_u64 s[16:17], 0
	s_cselect_b64 s[0:1], -1, 0
	s_cmp_eq_u32 s7, 0
	s_cselect_b64 s[8:9], -1, 0
	s_and_b64 s[0:1], s[8:9], s[0:1]
	s_waitcnt lgkmcnt(3)
	v_add_f32_e32 v5, v6, v8
	s_waitcnt lgkmcnt(2)
	v_add_f32_e32 v6, v9, v10
	;; [unrolled: 2-line block ×4, first 2 shown]
	s_and_b64 vcc, exec, s[0:1]
	s_cbranch_vccz .LBB65_30
; %bb.8:
	s_ashr_i32 s29, s28, 31
	s_lshl_b64 s[0:1], s[28:29], 2
	s_add_u32 s0, s16, s0
	s_addc_u32 s1, s17, s1
	v_mov_b32_e32 v9, 0
	global_load_dwordx2 v[11:12], v9, s[0:1]
	v_max_f32_e32 v9, v1, v1
	v_max_f32_e32 v10, v2, v2
	;; [unrolled: 1-line block ×3, first 2 shown]
	s_mov_b32 s6, 0x3fb8aa3b
	s_mov_b32 s1, 0xc2ce8ed0
	;; [unrolled: 1-line block ×3, first 2 shown]
	v_mov_b32_e32 v24, 0x7f800000
	s_waitcnt vmcnt(0)
	v_max_f32_e32 v23, v11, v11
	v_max_f32_e32 v20, v9, v23
	v_max_f32_e32 v25, v12, v12
	v_sub_f32_e32 v1, v1, v20
	v_max_f32_e32 v21, v10, v25
	v_max_f32_e32 v22, v22, v23
	v_sub_f32_e32 v9, v11, v20
	v_mul_f32_e32 v23, 0x3fb8aa3b, v1
	v_sub_f32_e32 v2, v2, v21
	v_mul_f32_e32 v26, 0x3fb8aa3b, v9
	v_fma_f32 v31, v1, s6, -v23
	v_rndne_f32_e32 v32, v23
	v_sub_f32_e32 v10, v12, v21
	v_mul_f32_e32 v27, 0x3fb8aa3b, v2
	v_fma_f32 v33, v9, s6, -v26
	v_rndne_f32_e32 v35, v26
	v_fmac_f32_e32 v31, 0x32a5705f, v1
	v_sub_f32_e32 v23, v23, v32
	v_mul_f32_e32 v28, 0x3fb8aa3b, v10
	v_fma_f32 v36, v2, s6, -v27
	v_rndne_f32_e32 v37, v27
	v_fmac_f32_e32 v33, 0x32a5705f, v9
	v_sub_f32_e32 v26, v26, v35
	v_add_f32_e32 v23, v23, v31
	v_fma_f32 v38, v10, s6, -v28
	v_rndne_f32_e32 v54, v28
	v_cvt_i32_f32_e32 v32, v32
	v_fmac_f32_e32 v36, 0x32a5705f, v2
	v_sub_f32_e32 v27, v27, v37
	v_add_f32_e32 v26, v26, v33
	v_exp_f32_e32 v23, v23
	v_cvt_i32_f32_e32 v35, v35
	v_fmac_f32_e32 v38, 0x32a5705f, v10
	v_sub_f32_e32 v28, v28, v54
	v_add_f32_e32 v27, v27, v36
	v_exp_f32_e32 v26, v26
	v_cvt_i32_f32_e32 v37, v37
	v_add_f32_e32 v28, v28, v38
	v_exp_f32_e32 v27, v27
	v_cvt_i32_f32_e32 v54, v54
	v_exp_f32_e32 v28, v28
	v_ldexp_f32 v23, v23, v32
	v_cmp_ngt_f32_e32 vcc, s1, v1
	v_ldexp_f32 v26, v26, v35
	v_cndmask_b32_e32 v23, 0, v23, vcc
	v_cmp_ngt_f32_e32 vcc, s1, v9
	v_ldexp_f32 v27, v27, v37
	v_cndmask_b32_e32 v26, 0, v26, vcc
	;; [unrolled: 3-line block ×3, first 2 shown]
	v_cmp_ngt_f32_e32 vcc, s1, v10
	v_cndmask_b32_e32 v28, 0, v28, vcc
	v_cmp_nlt_f32_e32 vcc, s0, v1
	v_sub_f32_e32 v3, v3, v22
	v_cndmask_b32_e32 v1, v24, v23, vcc
	v_cmp_nlt_f32_e32 vcc, s0, v9
	v_mul_f32_e32 v29, 0x3fb8aa3b, v3
	v_cndmask_b32_e32 v9, v24, v26, vcc
	v_cmp_nlt_f32_e32 vcc, s0, v2
	v_fma_f32 v55, v3, s6, -v29
	v_rndne_f32_e32 v56, v29
	v_cndmask_b32_e32 v2, v24, v27, vcc
	v_cvt_f16_f32_e32 v23, v1
	v_sub_f32_e32 v11, v11, v22
	v_fmac_f32_e32 v55, 0x32a5705f, v3
	v_sub_f32_e32 v29, v29, v56
	v_cvt_f16_f32_e32 v26, v2
	v_mul_f32_e32 v30, 0x3fb8aa3b, v11
	v_add_f32_e32 v29, v29, v55
	v_fma_f32 v57, v11, s6, -v30
	v_rndne_f32_e32 v58, v30
	v_cvt_i32_f32_e32 v56, v56
	v_exp_f32_e32 v29, v29
	v_cmp_nlt_f32_e32 vcc, s0, v10
	v_fmac_f32_e32 v57, 0x32a5705f, v11
	v_sub_f32_e32 v30, v30, v58
	v_cndmask_b32_e32 v10, v24, v28, vcc
	v_fmac_f32_e32 v9, v5, v1
	v_mul_u32_u24_e32 v1, 0x10001, v23
	v_fmac_f32_e32 v10, v6, v2
	v_mul_u32_u24_e32 v2, 0x10001, v26
	v_pk_mul_f16 v50, v50, v1
	v_pk_mul_f16 v53, v53, v1
	;; [unrolled: 1-line block ×4, first 2 shown]
	v_add_f32_e32 v1, v30, v57
	v_pk_mul_f16 v46, v46, v2
	v_pk_mul_f16 v49, v49, v2
	;; [unrolled: 1-line block ×4, first 2 shown]
	v_exp_f32_e32 v1, v1
	v_cvt_i32_f32_e32 v2, v58
	v_ldexp_f32 v29, v29, v56
	v_cmp_ngt_f32_e32 vcc, s1, v3
	v_cndmask_b32_e32 v5, 0, v29, vcc
	v_cmp_nlt_f32_e32 vcc, s0, v3
	v_cndmask_b32_e32 v3, v24, v5, vcc
	v_ldexp_f32 v1, v1, v2
	v_cvt_f16_f32_e32 v2, v3
	v_cmp_ngt_f32_e32 vcc, s1, v11
	v_cndmask_b32_e32 v1, 0, v1, vcc
	v_cmp_nlt_f32_e32 vcc, s0, v11
	v_cndmask_b32_e32 v11, v24, v1, vcc
	v_mul_u32_u24_e32 v1, 0x10001, v2
	v_max_f32_e32 v2, v4, v4
	v_max_f32_e32 v23, v2, v25
	v_sub_f32_e32 v2, v4, v23
	v_fmac_f32_e32 v11, v7, v3
	v_mul_f32_e32 v3, 0x3fb8aa3b, v2
	v_fma_f32 v4, v2, s6, -v3
	v_rndne_f32_e32 v5, v3
	v_fmac_f32_e32 v4, 0x32a5705f, v2
	v_sub_f32_e32 v3, v3, v5
	v_add_f32_e32 v3, v3, v4
	v_exp_f32_e32 v3, v3
	v_cvt_i32_f32_e32 v4, v5
	v_pk_mul_f16 v42, v42, v1
	v_pk_mul_f16 v45, v45, v1
	;; [unrolled: 1-line block ×4, first 2 shown]
	v_ldexp_f32 v1, v3, v4
	v_sub_f32_e32 v3, v12, v23
	v_mul_f32_e32 v4, 0x3fb8aa3b, v3
	v_fma_f32 v5, v3, s6, -v4
	v_rndne_f32_e32 v6, v4
	v_fmac_f32_e32 v5, 0x32a5705f, v3
	v_sub_f32_e32 v4, v4, v6
	v_add_f32_e32 v4, v4, v5
	v_exp_f32_e32 v4, v4
	v_cvt_i32_f32_e32 v5, v6
	v_cmp_ngt_f32_e32 vcc, s1, v2
	v_cndmask_b32_e32 v1, 0, v1, vcc
	v_cmp_nlt_f32_e32 vcc, s0, v2
	v_cndmask_b32_e32 v1, v24, v1, vcc
	v_ldexp_f32 v2, v4, v5
	v_cvt_f16_f32_e32 v4, v1
	v_cmp_ngt_f32_e32 vcc, s1, v3
	v_cndmask_b32_e32 v2, 0, v2, vcc
	v_cmp_nlt_f32_e32 vcc, s0, v3
	v_cndmask_b32_e32 v12, v24, v2, vcc
	v_fmac_f32_e32 v12, v8, v1
	v_mul_u32_u24_e32 v1, 0x10001, v4
	v_pk_mul_f16 v40, v40, v1
	v_pk_mul_f16 v41, v41, v1
	v_pk_mul_f16 v39, v39, v1
	v_pk_mul_f16 v34, v34, v1
	v_mov_b32_e32 v1, v20
	v_mov_b32_e32 v2, v21
	v_mov_b32_e32 v3, v22
	v_mov_b32_e32 v4, v23
	v_mov_b32_e32 v5, v9
	v_mov_b32_e32 v6, v10
	v_mov_b32_e32 v7, v11
	v_mov_b32_e32 v8, v12
	v_cmp_gt_i32_e32 vcc, s2, v14
	s_and_saveexec_b64 s[0:1], vcc
	s_cbranch_execnz .LBB65_31
.LBB65_9:
	s_endpgm
.LBB65_10:
                                        ; implicit-def: $vgpr22
                                        ; implicit-def: $vgpr66
                                        ; implicit-def: $vgpr67
                                        ; implicit-def: $vgpr65
                                        ; implicit-def: $vgpr68
                                        ; implicit-def: $vgpr69
                                        ; implicit-def: $vgpr70
.LBB65_11:
	s_sub_i32 s8, 0, s29
	s_mul_i32 s8, s8, s38
	s_mul_hi_u32 s8, s38, s8
	s_add_i32 s38, s38, s8
	s_load_dwordx4 s[24:27], s[4:5], 0x98
	s_load_dword s15, s[4:5], 0x54
	s_load_dwordx2 s[8:9], s[4:5], 0x8c
	s_abs_i32 s36, s28
	s_mul_hi_u32 s40, s36, s38
	s_waitcnt lgkmcnt(0)
	s_ashr_i32 s18, s26, 2
	s_ashr_i32 s26, s37, 1
	;; [unrolled: 1-line block ×4, first 2 shown]
	s_mul_hi_u32 s37, s24, s33
	s_mul_i32 s42, s24, s8
	s_add_i32 s37, s37, s42
	s_mul_i32 s25, s25, s33
	s_ashr_i32 s41, s28, 31
	s_ashr_i32 s31, s31, 31
	s_add_i32 s37, s37, s25
	s_mul_i32 s24, s24, s33
	s_add_u32 s10, s10, s24
	s_mul_i32 s25, s40, s29
	s_addc_u32 s11, s11, s37
	s_sub_i32 s25, s36, s25
	s_xor_b32 s24, s41, s31
	s_add_i32 s31, s40, 1
	s_sub_i32 s36, s25, s29
	s_cmp_ge_u32 s25, s29
	s_cselect_b32 s31, s31, s40
	s_cselect_b32 s25, s36, s25
	s_add_i32 s36, s31, 1
	s_cmp_ge_u32 s25, s29
	s_load_dwordx2 s[38:39], s[4:5], 0xa8
	s_cselect_b32 s25, s36, s31
	s_xor_b32 s25, s25, s24
	s_sub_i32 s24, s25, s24
	s_mul_i32 s9, s24, s9
	s_ashr_i32 s25, s9, 31
	s_add_u32 s10, s10, s9
	s_waitcnt lgkmcnt(0)
	s_mul_hi_u32 s9, s38, s33
	s_mul_i32 s8, s38, s8
	s_addc_u32 s11, s11, s25
	s_add_i32 s8, s9, s8
	s_mul_i32 s9, s39, s33
	s_add_i32 s8, s8, s9
	s_mul_i32 s9, s38, s33
	s_add_u32 s9, s12, s9
	s_mul_i32 s24, s24, s27
	v_add3_u32 v9, s14, v13, 1
	s_addc_u32 s8, s13, s8
	s_ashr_i32 s13, s24, 31
	v_mul_hi_u32 v10, s0, v9
	s_add_u32 s12, s9, s24
	v_lshrrev_b32_e32 v4, 4, v0
	v_and_b32_e32 v11, 60, v19
	s_addc_u32 s13, s8, s13
	v_add_u32_e32 v5, v4, v13
	v_lshlrev_b32_e32 v6, 2, v11
	s_movk_i32 s8, 0x110
	v_mad_u32_u24 v6, v5, s8, v6
	v_add_u32_e32 v23, 0x4000, v6
	v_add_u32_e32 v24, 0x5100, v6
	;; [unrolled: 1-line block ×3, first 2 shown]
	v_lshrrev_b32_e32 v6, s1, v6
	v_mul_lo_u32 v6, v6, s2
	v_mul_lo_u32 v4, s19, v5
	;; [unrolled: 1-line block ×3, first 2 shown]
	v_lshlrev_b32_e32 v29, 2, v19
	v_sub_u32_e32 v2, v9, v6
	v_mul_lo_u32 v9, s18, v1
	v_mul_lo_u32 v27, v2, s26
	v_mov_b32_e32 v2, 0x6200
	v_lshl_add_u32 v28, v1, 8, v2
	v_lshl_add_u32 v1, v1, 9, v29
	;; [unrolled: 1-line block ×3, first 2 shown]
	v_mov_b32_e32 v10, 0x4000
	v_add_u32_e32 v30, 0x4000, v1
	v_add_u32_e32 v31, 0x5000, v1
	v_lshl_add_u32 v1, s18, 3, v9
	v_ashrrev_i32_e32 v5, 31, v4
	v_ashrrev_i32_e32 v8, 31, v7
	v_mad_u32_u24 v25, v0, s8, v10
	v_ashrrev_i32_e32 v10, 31, v9
	v_ashrrev_i32_e32 v2, 31, v1
	s_add_u32 s0, s4, 0xd0
	v_lshlrev_b64 v[5:6], 2, v[4:5]
	v_lshlrev_b32_e32 v32, 2, v11
	v_lshlrev_b64 v[7:8], 2, v[7:8]
	v_lshlrev_b64 v[9:10], 2, v[9:10]
	;; [unrolled: 1-line block ×3, first 2 shown]
	v_mov_b32_e32 v34, 0
	s_addc_u32 s1, s5, 0
	v_mov_b32_e32 v61, 0xfeffffff
	v_mov_b32_e32 v33, s35
	s_mov_b32 s24, 0x3f200000
	s_mov_b32 s25, 0x3fb8aa3b
	;; [unrolled: 1-line block ×4, first 2 shown]
	v_mov_b32_e32 v35, 0xbd5c1c4e
	v_mov_b32_e32 v36, 0x3e088382
	v_mov_b32_e32 v37, 0xbeaaaa99
	s_brev_b32 s29, -2
	s_mov_b32 s31, 0x10001
	v_mov_b32_e32 v38, 0x7f800000
	v_mbcnt_hi_u32_b32 v22, -1, v3
	v_mov_b32_e32 v39, 0
	v_mov_b32_e32 v41, 0
	v_mov_b32_e32 v40, 0
	v_mov_b32_e32 v44, 0
	v_mov_b32_e32 v43, 0
	v_mov_b32_e32 v45, 0
	v_mov_b32_e32 v42, 0
	v_mov_b32_e32 v48, 0
	v_mov_b32_e32 v47, 0
	v_mov_b32_e32 v49, 0
	v_mov_b32_e32 v46, 0
	v_mov_b32_e32 v52, 0
	v_mov_b32_e32 v51, 0
	v_mov_b32_e32 v53, 0
	v_mov_b32_e32 v50, 0
	v_mov_b32_e32 v59, 0xfeffffff
	v_mov_b32_e32 v57, 0xfeffffff
	v_mov_b32_e32 v55, 0xfeffffff
	v_mov_b32_e32 v60, 0
	v_mov_b32_e32 v58, 0
	v_mov_b32_e32 v56, 0
	v_mov_b32_e32 v54, 0
.LBB65_12:                              ; =>This Inner Loop Header: Depth=1
	s_mul_hi_i32 s9, s6, s19
	s_mul_i32 s8, s6, s19
	s_lshl_b64 s[8:9], s[8:9], 2
	s_add_u32 s8, s10, s8
	s_addc_u32 s9, s11, s9
	v_mov_b32_e32 v1, s9
	v_add_co_u32_e32 v2, vcc, s8, v5
	v_addc_co_u32_e32 v3, vcc, v1, v6, vcc
	v_add_co_u32_e32 v1, vcc, v2, v32
	v_addc_co_u32_e32 v2, vcc, 0, v3, vcc
	v_mov_b32_e32 v3, s9
	v_add_co_u32_e32 v4, vcc, s8, v7
	v_addc_co_u32_e32 v62, vcc, v3, v8, vcc
	v_add_co_u32_e32 v3, vcc, v4, v32
	v_addc_co_u32_e32 v4, vcc, 0, v62, vcc
	global_load_dwordx4 v[66:69], v[1:2], off
	global_load_dwordx4 v[70:73], v[3:4], off
	v_mov_b32_e32 v65, 0
	v_mov_b32_e32 v64, 0
	;; [unrolled: 1-line block ×4, first 2 shown]
	s_waitcnt vmcnt(1)
	ds_write_b128 v23, v[66:69]
	s_waitcnt vmcnt(0)
	ds_write_b128 v24, v[70:73]
	s_waitcnt lgkmcnt(0)
	s_barrier
	ds_read_b128 v[66:69], v25
	ds_read_b128 v[70:73], v21
	ds_read_b128 v[74:77], v21 offset:512
	ds_read_b128 v[78:81], v21 offset:1024
	ds_read_b128 v[82:85], v21 offset:1536
	s_waitcnt lgkmcnt(3)
	;;#ASMSTART
	v_dot2_f32_f16 v65, v66, v70, v65
	;;#ASMEND
	;;#ASMSTART
	v_dot2_f32_f16 v65, v67, v71, v65
	;;#ASMEND
	;;#ASMSTART
	v_dot2_f32_f16 v65, v68, v72, v65
	;;#ASMEND
	;;#ASMSTART
	v_dot2_f32_f16 v65, v69, v73, v65
	;;#ASMEND
	s_waitcnt lgkmcnt(2)
	;;#ASMSTART
	v_dot2_f32_f16 v64, v66, v74, v64
	;;#ASMEND
	;;#ASMSTART
	v_dot2_f32_f16 v64, v67, v75, v64
	;;#ASMEND
	;;#ASMSTART
	v_dot2_f32_f16 v64, v68, v76, v64
	;;#ASMEND
	;;#ASMSTART
	v_dot2_f32_f16 v64, v69, v77, v64
	;;#ASMEND
	s_waitcnt lgkmcnt(1)
	;;#ASMSTART
	v_dot2_f32_f16 v63, v66, v78, v63
	;;#ASMEND
	;;#ASMSTART
	v_dot2_f32_f16 v63, v67, v79, v63
	;;#ASMEND
	;;#ASMSTART
	v_dot2_f32_f16 v63, v68, v80, v63
	;;#ASMEND
	;;#ASMSTART
	v_dot2_f32_f16 v63, v69, v81, v63
	;;#ASMEND
	s_waitcnt lgkmcnt(0)
	;;#ASMSTART
	v_dot2_f32_f16 v62, v66, v82, v62
	;;#ASMEND
	;;#ASMSTART
	v_dot2_f32_f16 v62, v67, v83, v62
	;;#ASMEND
	;;#ASMSTART
	v_dot2_f32_f16 v62, v68, v84, v62
	;;#ASMEND
	;;#ASMSTART
	v_dot2_f32_f16 v62, v69, v85, v62
	;;#ASMEND
	ds_read_b128 v[66:69], v25 offset:16
	ds_read_b128 v[70:73], v21 offset:16
	ds_read_b128 v[74:77], v21 offset:528
	ds_read_b128 v[78:81], v21 offset:1040
	ds_read_b128 v[82:85], v21 offset:1552
	s_waitcnt lgkmcnt(3)
	;;#ASMSTART
	v_dot2_f32_f16 v65, v66, v70, v65
	;;#ASMEND
	;;#ASMSTART
	v_dot2_f32_f16 v65, v67, v71, v65
	;;#ASMEND
	;;#ASMSTART
	v_dot2_f32_f16 v65, v68, v72, v65
	;;#ASMEND
	;;#ASMSTART
	v_dot2_f32_f16 v65, v69, v73, v65
	;;#ASMEND
	s_waitcnt lgkmcnt(2)
	;;#ASMSTART
	v_dot2_f32_f16 v64, v66, v74, v64
	;;#ASMEND
	;;#ASMSTART
	v_dot2_f32_f16 v64, v67, v75, v64
	;;#ASMEND
	;;#ASMSTART
	v_dot2_f32_f16 v64, v68, v76, v64
	;;#ASMEND
	;;#ASMSTART
	v_dot2_f32_f16 v64, v69, v77, v64
	;;#ASMEND
	s_waitcnt lgkmcnt(1)
	;;#ASMSTART
	v_dot2_f32_f16 v63, v66, v78, v63
	;;#ASMEND
	;;#ASMSTART
	v_dot2_f32_f16 v63, v67, v79, v63
	;;#ASMEND
	;;#ASMSTART
	v_dot2_f32_f16 v63, v68, v80, v63
	;;#ASMEND
	;;#ASMSTART
	v_dot2_f32_f16 v63, v69, v81, v63
	;;#ASMEND
	s_waitcnt lgkmcnt(0)
	;;#ASMSTART
	v_dot2_f32_f16 v62, v66, v82, v62
	;;#ASMEND
	;;#ASMSTART
	v_dot2_f32_f16 v62, v67, v83, v62
	;;#ASMEND
	;;#ASMSTART
	v_dot2_f32_f16 v62, v68, v84, v62
	;;#ASMEND
	;;#ASMSTART
	v_dot2_f32_f16 v62, v69, v85, v62
	;;#ASMEND
	ds_read_b128 v[66:69], v25 offset:32
	ds_read_b128 v[70:73], v21 offset:32
	;; [unrolled: 57-line block ×15, first 2 shown]
	ds_read_b128 v[74:77], v21 offset:752
	ds_read_b128 v[78:81], v21 offset:1264
	;; [unrolled: 1-line block ×3, first 2 shown]
	s_waitcnt lgkmcnt(3)
	;;#ASMSTART
	v_dot2_f32_f16 v65, v66, v70, v65
	;;#ASMEND
	;;#ASMSTART
	v_dot2_f32_f16 v65, v67, v71, v65
	;;#ASMEND
	;;#ASMSTART
	v_dot2_f32_f16 v65, v68, v72, v65
	;;#ASMEND
	;;#ASMSTART
	v_dot2_f32_f16 v65, v69, v73, v65
	;;#ASMEND
	s_waitcnt lgkmcnt(2)
	;;#ASMSTART
	v_dot2_f32_f16 v64, v66, v74, v64
	;;#ASMEND
	;;#ASMSTART
	v_dot2_f32_f16 v64, v67, v75, v64
	;;#ASMEND
	;;#ASMSTART
	v_dot2_f32_f16 v64, v68, v76, v64
	;;#ASMEND
	;;#ASMSTART
	v_dot2_f32_f16 v64, v69, v77, v64
	;;#ASMEND
	;; [unrolled: 13-line block ×4, first 2 shown]
	s_barrier
	global_load_dwordx4 v[66:69], v[1:2], off offset:256
	s_nop 0
	global_load_dwordx4 v[1:4], v[3:4], off offset:256
	s_waitcnt vmcnt(1)
	ds_write_b128 v23, v[66:69]
	s_waitcnt vmcnt(0)
	ds_write_b128 v24, v[1:4]
	s_waitcnt lgkmcnt(0)
	s_barrier
	ds_read_b128 v[1:4], v25
	ds_read_b128 v[66:69], v21 offset:256
	ds_read_b128 v[70:73], v21 offset:768
	ds_read_b128 v[74:77], v21 offset:1280
	ds_read_b128 v[78:81], v21 offset:1792
	s_waitcnt lgkmcnt(3)
	;;#ASMSTART
	v_dot2_f32_f16 v65, v1, v66, v65
	;;#ASMEND
	;;#ASMSTART
	v_dot2_f32_f16 v65, v2, v67, v65
	;;#ASMEND
	;;#ASMSTART
	v_dot2_f32_f16 v65, v3, v68, v65
	;;#ASMEND
	;;#ASMSTART
	v_dot2_f32_f16 v65, v4, v69, v65
	;;#ASMEND
	s_waitcnt lgkmcnt(2)
	;;#ASMSTART
	v_dot2_f32_f16 v64, v1, v70, v64
	;;#ASMEND
	;;#ASMSTART
	v_dot2_f32_f16 v64, v2, v71, v64
	;;#ASMEND
	;;#ASMSTART
	v_dot2_f32_f16 v64, v3, v72, v64
	;;#ASMEND
	;;#ASMSTART
	v_dot2_f32_f16 v64, v4, v73, v64
	;;#ASMEND
	s_waitcnt lgkmcnt(1)
	;;#ASMSTART
	v_dot2_f32_f16 v63, v1, v74, v63
	;;#ASMEND
	;;#ASMSTART
	v_dot2_f32_f16 v63, v2, v75, v63
	;;#ASMEND
	;;#ASMSTART
	v_dot2_f32_f16 v63, v3, v76, v63
	;;#ASMEND
	;;#ASMSTART
	v_dot2_f32_f16 v63, v4, v77, v63
	;;#ASMEND
	s_waitcnt lgkmcnt(0)
	;;#ASMSTART
	v_dot2_f32_f16 v62, v1, v78, v62
	;;#ASMEND
	;;#ASMSTART
	v_dot2_f32_f16 v62, v2, v79, v62
	;;#ASMEND
	;;#ASMSTART
	v_dot2_f32_f16 v62, v3, v80, v62
	;;#ASMEND
	;;#ASMSTART
	v_dot2_f32_f16 v62, v4, v81, v62
	;;#ASMEND
	ds_read_b128 v[1:4], v25 offset:16
	ds_read_b128 v[66:69], v21 offset:272
	ds_read_b128 v[70:73], v21 offset:784
	ds_read_b128 v[74:77], v21 offset:1296
	ds_read_b128 v[78:81], v21 offset:1808
	s_waitcnt lgkmcnt(3)
	;;#ASMSTART
	v_dot2_f32_f16 v65, v1, v66, v65
	;;#ASMEND
	;;#ASMSTART
	v_dot2_f32_f16 v65, v2, v67, v65
	;;#ASMEND
	;;#ASMSTART
	v_dot2_f32_f16 v65, v3, v68, v65
	;;#ASMEND
	;;#ASMSTART
	v_dot2_f32_f16 v65, v4, v69, v65
	;;#ASMEND
	s_waitcnt lgkmcnt(2)
	;;#ASMSTART
	v_dot2_f32_f16 v64, v1, v70, v64
	;;#ASMEND
	;;#ASMSTART
	v_dot2_f32_f16 v64, v2, v71, v64
	;;#ASMEND
	;;#ASMSTART
	v_dot2_f32_f16 v64, v3, v72, v64
	;;#ASMEND
	;;#ASMSTART
	v_dot2_f32_f16 v64, v4, v73, v64
	;;#ASMEND
	s_waitcnt lgkmcnt(1)
	;;#ASMSTART
	v_dot2_f32_f16 v63, v1, v74, v63
	;;#ASMEND
	;;#ASMSTART
	v_dot2_f32_f16 v63, v2, v75, v63
	;;#ASMEND
	;;#ASMSTART
	v_dot2_f32_f16 v63, v3, v76, v63
	;;#ASMEND
	;;#ASMSTART
	v_dot2_f32_f16 v63, v4, v77, v63
	;;#ASMEND
	s_waitcnt lgkmcnt(0)
	;;#ASMSTART
	v_dot2_f32_f16 v62, v1, v78, v62
	;;#ASMEND
	;;#ASMSTART
	v_dot2_f32_f16 v62, v2, v79, v62
	;;#ASMEND
	;;#ASMSTART
	v_dot2_f32_f16 v62, v3, v80, v62
	;;#ASMEND
	;;#ASMSTART
	v_dot2_f32_f16 v62, v4, v81, v62
	;;#ASMEND
	ds_read_b128 v[1:4], v25 offset:32
	;; [unrolled: 57-line block ×15, first 2 shown]
	ds_read_b128 v[66:69], v21 offset:496
	ds_read_b128 v[70:73], v21 offset:1008
	;; [unrolled: 1-line block ×4, first 2 shown]
	s_waitcnt lgkmcnt(3)
	;;#ASMSTART
	v_dot2_f32_f16 v65, v1, v66, v65
	;;#ASMEND
	;;#ASMSTART
	v_dot2_f32_f16 v65, v2, v67, v65
	;;#ASMEND
	;; [unrolled: 3-line block ×4, first 2 shown]
	s_waitcnt lgkmcnt(2)
	;;#ASMSTART
	v_dot2_f32_f16 v64, v1, v70, v64
	;;#ASMEND
	;;#ASMSTART
	v_dot2_f32_f16 v64, v2, v71, v64
	;;#ASMEND
	;; [unrolled: 3-line block ×4, first 2 shown]
	s_waitcnt lgkmcnt(1)
	;;#ASMSTART
	v_dot2_f32_f16 v63, v1, v74, v63
	;;#ASMEND
	;;#ASMSTART
	v_dot2_f32_f16 v63, v2, v75, v63
	;;#ASMEND
	;; [unrolled: 3-line block ×3, first 2 shown]
	v_add_u32_e32 v74, s6, v0
	;;#ASMSTART
	v_dot2_f32_f16 v63, v4, v77, v63
	;;#ASMEND
	s_waitcnt lgkmcnt(0)
	;;#ASMSTART
	v_dot2_f32_f16 v62, v1, v78, v62
	;;#ASMEND
	v_add_u32_e32 v1, v74, v26
	;;#ASMSTART
	v_dot2_f32_f16 v62, v2, v79, v62
	;;#ASMEND
	v_ashrrev_i32_e32 v2, 31, v1
	v_lshlrev_b64 v[1:2], 1, v[1:2]
	;;#ASMSTART
	v_dot2_f32_f16 v62, v3, v80, v62
	;;#ASMEND
	v_add_co_u32_e32 v1, vcc, s34, v1
	v_addc_co_u32_e32 v2, vcc, v33, v2, vcc
	;;#ASMSTART
	v_dot2_f32_f16 v62, v4, v81, v62
	;;#ASMEND
	global_load_ushort v72, v[1:2], off
	v_cmp_nlt_f32_e64 s[8:9], |v65|, s24
                                        ; implicit-def: $vgpr2
	s_and_saveexec_b64 s[36:37], s[8:9]
	s_xor_b64 s[8:9], exec, s[36:37]
	s_cbranch_execz .LBB65_14
; %bb.13:                               ;   in Loop: Header=BB65_12 Depth=1
	v_add_f32_e64 v1, |v65|, |v65|
	v_mul_f32_e32 v2, 0x3fb8aa3b, v1
	v_rndne_f32_e32 v3, v2
	v_sub_f32_e32 v4, v2, v3
	v_fma_f32 v2, v1, s25, -v2
	v_fmac_f32_e32 v2, 0x32a5705f, v1
	v_add_f32_e32 v2, v4, v2
	v_cvt_i32_f32_e32 v3, v3
	v_exp_f32_e32 v2, v2
	v_cmp_ngt_f32_e32 vcc, s26, v1
	v_ldexp_f32 v2, v2, v3
	v_cndmask_b32_e32 v2, 0, v2, vcc
	v_cmp_nlt_f32_e32 vcc, s27, v1
	v_cndmask_b32_e32 v1, v38, v2, vcc
	v_add_f32_e32 v1, 1.0, v1
	v_rcp_f32_e32 v1, v1
	v_fma_f32 v2, v1, -2.0, 1.0
.LBB65_14:                              ;   in Loop: Header=BB65_12 Depth=1
	s_andn2_saveexec_b64 s[8:9], s[8:9]
; %bb.15:                               ;   in Loop: Header=BB65_12 Depth=1
	v_mul_f32_e32 v1, v65, v65
	v_mov_b32_e32 v2, 0x3ca908c9
	v_fmac_f32_e32 v2, 0xbbbac73d, v1
	v_fma_f32 v2, v1, v2, v35
	v_fma_f32 v2, v1, v2, v36
	;; [unrolled: 1-line block ×3, first 2 shown]
	v_mul_f32_e64 v2, |v65|, v2
	v_fma_f32 v2, v1, v2, |v65|
; %bb.16:                               ;   in Loop: Header=BB65_12 Depth=1
	s_or_b64 exec, exec, s[8:9]
	v_and_b32_e32 v1, 0x60, v22
	v_add_u32_e32 v66, 32, v1
	v_xor_b32_e32 v67, 16, v22
	v_bfi_b32 v2, s29, v2, v65
	v_cmp_lt_i32_e32 vcc, v67, v66
	s_waitcnt vmcnt(0)
	v_fma_mix_f32 v71, s15, v2, v72 op_sel_hi:[0,0,1]
	v_cndmask_b32_e32 v1, v22, v67, vcc
	v_add_f32_e32 v2, 0x40051340, v71
	v_max_f32_e32 v3, v61, v61
	v_lshlrev_b32_e32 v1, 2, v1
	v_max_f32_e32 v2, v3, v2
	ds_bpermute_b32 v3, v1, v2
	v_xor_b32_e32 v65, 8, v22
	v_cmp_lt_i32_e32 vcc, v65, v66
	v_cndmask_b32_e32 v4, v22, v65, vcc
	v_lshlrev_b32_e32 v73, 2, v4
	s_waitcnt lgkmcnt(0)
	v_max_f32_e32 v3, v3, v3
	v_max_f32_e32 v2, v2, v3
	ds_bpermute_b32 v4, v73, v2
	v_xor_b32_e32 v68, 4, v22
	v_cmp_lt_i32_e32 vcc, v68, v66
	v_cndmask_b32_e32 v3, v22, v68, vcc
	v_lshlrev_b32_e32 v3, 2, v3
	s_waitcnt lgkmcnt(0)
	v_max_f32_e32 v4, v4, v4
	;; [unrolled: 8-line block ×4, first 2 shown]
	v_max_f32_e32 v75, v75, v76
	ds_bpermute_b32 v76, v2, v75
	v_cmp_nlt_f32_e64 s[8:9], |v64|, s24
                                        ; implicit-def: $vgpr77
	s_and_saveexec_b64 s[36:37], s[8:9]
	s_xor_b64 s[8:9], exec, s[36:37]
	s_cbranch_execz .LBB65_18
; %bb.17:                               ;   in Loop: Header=BB65_12 Depth=1
	v_add_f32_e64 v77, |v64|, |v64|
	v_mul_f32_e32 v78, 0x3fb8aa3b, v77
	v_rndne_f32_e32 v79, v78
	v_sub_f32_e32 v80, v78, v79
	v_fma_f32 v78, v77, s25, -v78
	v_fmac_f32_e32 v78, 0x32a5705f, v77
	v_add_f32_e32 v78, v80, v78
	v_cvt_i32_f32_e32 v79, v79
	v_exp_f32_e32 v78, v78
	v_cmp_ngt_f32_e32 vcc, s26, v77
	v_ldexp_f32 v78, v78, v79
	v_cndmask_b32_e32 v78, 0, v78, vcc
	v_cmp_nlt_f32_e32 vcc, s27, v77
	v_cndmask_b32_e32 v77, v38, v78, vcc
	v_add_f32_e32 v77, 1.0, v77
	v_rcp_f32_e32 v77, v77
	v_fma_f32 v77, v77, -2.0, 1.0
.LBB65_18:                              ;   in Loop: Header=BB65_12 Depth=1
	s_andn2_saveexec_b64 s[8:9], s[8:9]
; %bb.19:                               ;   in Loop: Header=BB65_12 Depth=1
	v_mul_f32_e32 v77, v64, v64
	v_mov_b32_e32 v78, 0x3ca908c9
	v_fmac_f32_e32 v78, 0xbbbac73d, v77
	v_fma_f32 v78, v77, v78, v35
	v_fma_f32 v78, v77, v78, v36
	v_fma_f32 v78, v77, v78, v37
	v_mul_f32_e64 v78, |v64|, v78
	v_fma_f32 v77, v77, v78, |v64|
; %bb.20:                               ;   in Loop: Header=BB65_12 Depth=1
	s_or_b64 exec, exec, s[8:9]
	v_add_u32_e32 v78, v74, v27
	v_ashrrev_i32_e32 v79, 31, v78
	v_lshlrev_b64 v[78:79], 1, v[78:79]
	v_mov_b32_e32 v74, s35
	v_add_co_u32_e32 v78, vcc, s34, v78
	v_addc_co_u32_e32 v79, vcc, v74, v79, vcc
	global_load_ushort v79, v[78:79], off
	v_cvt_f32_f16_e32 v74, v72
	v_bfi_b32 v64, s29, v77, v64
	v_max_f32_e32 v72, v59, v59
	v_cmp_nlt_f32_e64 s[8:9], |v63|, s24
	v_fmac_f32_e32 v74, s15, v64
	v_add_f32_e32 v64, 0x40051340, v74
	v_max_f32_e32 v64, v72, v64
	ds_bpermute_b32 v72, v1, v64
	s_waitcnt lgkmcnt(0)
	v_max_f32_e32 v72, v72, v72
	v_max_f32_e32 v64, v64, v72
	ds_bpermute_b32 v72, v73, v64
	s_waitcnt lgkmcnt(0)
	v_max_f32_e32 v72, v72, v72
	v_max_f32_e32 v64, v64, v72
	ds_bpermute_b32 v72, v3, v64
	s_waitcnt lgkmcnt(0)
	v_max_f32_e32 v72, v72, v72
	v_max_f32_e32 v64, v64, v72
	ds_bpermute_b32 v72, v4, v64
	s_waitcnt lgkmcnt(0)
	v_max_f32_e32 v72, v72, v72
	v_max_f32_e32 v77, v64, v72
	ds_bpermute_b32 v78, v2, v77
                                        ; implicit-def: $vgpr64
	s_and_saveexec_b64 s[36:37], s[8:9]
	s_xor_b64 s[8:9], exec, s[36:37]
	s_cbranch_execz .LBB65_22
; %bb.21:                               ;   in Loop: Header=BB65_12 Depth=1
	v_add_f32_e64 v64, |v63|, |v63|
	v_mul_f32_e32 v72, 0x3fb8aa3b, v64
	v_rndne_f32_e32 v80, v72
	v_sub_f32_e32 v81, v72, v80
	v_fma_f32 v72, v64, s25, -v72
	v_fmac_f32_e32 v72, 0x32a5705f, v64
	v_add_f32_e32 v72, v81, v72
	v_cvt_i32_f32_e32 v80, v80
	v_exp_f32_e32 v72, v72
	v_cmp_ngt_f32_e32 vcc, s26, v64
	v_ldexp_f32 v72, v72, v80
	v_cndmask_b32_e32 v72, 0, v72, vcc
	v_cmp_nlt_f32_e32 vcc, s27, v64
	v_cndmask_b32_e32 v64, v38, v72, vcc
	v_add_f32_e32 v64, 1.0, v64
	v_rcp_f32_e32 v64, v64
	v_fma_f32 v64, v64, -2.0, 1.0
.LBB65_22:                              ;   in Loop: Header=BB65_12 Depth=1
	s_andn2_saveexec_b64 s[8:9], s[8:9]
; %bb.23:                               ;   in Loop: Header=BB65_12 Depth=1
	v_mul_f32_e32 v64, v63, v63
	v_mov_b32_e32 v72, 0x3ca908c9
	v_fmac_f32_e32 v72, 0xbbbac73d, v64
	v_fma_f32 v72, v64, v72, v35
	v_fma_f32 v72, v64, v72, v36
	;; [unrolled: 1-line block ×3, first 2 shown]
	v_mul_f32_e64 v72, |v63|, v72
	v_fma_f32 v64, v64, v72, |v63|
; %bb.24:                               ;   in Loop: Header=BB65_12 Depth=1
	s_or_b64 exec, exec, s[8:9]
	v_bfi_b32 v63, s29, v64, v63
	s_waitcnt vmcnt(0)
	v_fma_mix_f32 v64, s15, v63, v79 op_sel_hi:[0,0,1]
	v_add_f32_e32 v63, 0x40051340, v64
	v_max_f32_e32 v72, v57, v57
	v_max_f32_e32 v63, v72, v63
	ds_bpermute_b32 v72, v1, v63
	v_cmp_nlt_f32_e64 s[8:9], |v62|, s24
                                        ; implicit-def: $vgpr81
	s_waitcnt lgkmcnt(0)
	v_max_f32_e32 v72, v72, v72
	v_max_f32_e32 v63, v63, v72
	ds_bpermute_b32 v72, v73, v63
	s_waitcnt lgkmcnt(0)
	v_max_f32_e32 v72, v72, v72
	v_max_f32_e32 v63, v63, v72
	ds_bpermute_b32 v72, v3, v63
	;; [unrolled: 4-line block ×4, first 2 shown]
	s_and_saveexec_b64 s[36:37], s[8:9]
	s_xor_b64 s[8:9], exec, s[36:37]
	s_cbranch_execz .LBB65_26
; %bb.25:                               ;   in Loop: Header=BB65_12 Depth=1
	v_add_f32_e64 v72, |v62|, |v62|
	v_mul_f32_e32 v81, 0x3fb8aa3b, v72
	v_rndne_f32_e32 v82, v81
	v_sub_f32_e32 v83, v81, v82
	v_fma_f32 v81, v72, s25, -v81
	v_fmac_f32_e32 v81, 0x32a5705f, v72
	v_add_f32_e32 v81, v83, v81
	v_cvt_i32_f32_e32 v82, v82
	v_exp_f32_e32 v81, v81
	v_cmp_ngt_f32_e32 vcc, s26, v72
	v_ldexp_f32 v81, v81, v82
	v_cndmask_b32_e32 v81, 0, v81, vcc
	v_cmp_nlt_f32_e32 vcc, s27, v72
	v_cndmask_b32_e32 v72, v38, v81, vcc
	v_add_f32_e32 v72, 1.0, v72
	v_rcp_f32_e32 v72, v72
	v_fma_f32 v81, v72, -2.0, 1.0
.LBB65_26:                              ;   in Loop: Header=BB65_12 Depth=1
	s_andn2_saveexec_b64 s[8:9], s[8:9]
; %bb.27:                               ;   in Loop: Header=BB65_12 Depth=1
	v_mul_f32_e32 v72, v62, v62
	v_mov_b32_e32 v81, 0x3ca908c9
	v_fmac_f32_e32 v81, 0xbbbac73d, v72
	v_fma_f32 v81, v72, v81, v35
	v_fma_f32 v81, v72, v81, v36
	;; [unrolled: 1-line block ×3, first 2 shown]
	v_mul_f32_e64 v81, |v62|, v81
	v_fma_f32 v81, v72, v81, |v62|
; %bb.28:                               ;   in Loop: Header=BB65_12 Depth=1
	s_or_b64 exec, exec, s[8:9]
	v_cvt_f32_f16_e32 v72, v79
	v_bfi_b32 v62, s29, v81, v62
	s_waitcnt lgkmcnt(0)
	v_max_f32_e32 v79, v80, v80
	v_max_f32_e32 v80, v55, v55
	v_fmac_f32_e32 v72, s15, v62
	v_add_f32_e32 v62, 0x40051340, v72
	v_max_f32_e32 v62, v80, v62
	ds_bpermute_b32 v1, v1, v62
	v_max_f32_e32 v76, v76, v76
	v_max_f32_e32 v63, v63, v63
	v_max_f32_e32 v78, v78, v78
	v_max_f32_e32 v77, v77, v77
	s_waitcnt lgkmcnt(0)
	v_max_f32_e32 v1, v1, v1
	v_max_f32_e32 v1, v62, v1
	ds_bpermute_b32 v62, v73, v1
	v_max_f32_e32 v73, v75, v75
	s_mul_hi_i32 s9, s6, s18
	s_mul_i32 s8, s6, s18
	s_lshl_b64 s[8:9], s[8:9], 2
	s_waitcnt lgkmcnt(0)
	v_max_f32_e32 v62, v62, v62
	v_max_f32_e32 v62, v1, v62
	ds_bpermute_b32 v75, v3, v62
	v_max_f32_e32 v1, v73, v76
	v_sub_f32_e32 v61, v61, v1
	v_max_f32_e32 v3, v63, v79
	v_mul_f32_e32 v63, 0x3fb8aa3b, v61
	s_waitcnt lgkmcnt(0)
	v_max_f32_e32 v73, v75, v75
	v_max_f32_e32 v62, v62, v73
	ds_bpermute_b32 v4, v4, v62
	v_fma_f32 v73, v61, s25, -v63
	v_rndne_f32_e32 v75, v63
	v_fmac_f32_e32 v73, 0x32a5705f, v61
	v_sub_f32_e32 v63, v63, v75
	s_waitcnt lgkmcnt(0)
	v_max_f32_e32 v4, v4, v4
	v_max_f32_e32 v4, v62, v4
	ds_bpermute_b32 v62, v2, v4
	v_add_f32_e32 v2, v63, v73
	v_cvt_i32_f32_e32 v75, v75
	v_exp_f32_e32 v63, v2
	v_cmp_ngt_f32_e32 vcc, s26, v61
	s_waitcnt lgkmcnt(0)
	v_max_f32_e32 v62, v62, v62
	v_max_f32_e32 v4, v4, v62
	v_ldexp_f32 v62, v63, v75
	v_sub_f32_e32 v63, v71, v1
	v_mul_f32_e32 v71, 0x3fb8aa3b, v63
	v_fma_f32 v73, v63, s25, -v71
	v_rndne_f32_e32 v75, v71
	v_fmac_f32_e32 v73, 0x32a5705f, v63
	v_sub_f32_e32 v71, v71, v75
	v_add_f32_e32 v71, v71, v73
	v_exp_f32_e32 v71, v71
	v_cvt_i32_f32_e32 v73, v75
	v_cndmask_b32_e32 v62, 0, v62, vcc
	v_cmp_nlt_f32_e32 vcc, s27, v61
	v_cndmask_b32_e32 v61, v38, v62, vcc
	v_ldexp_f32 v62, v71, v73
	v_cmp_ngt_f32_e32 vcc, s26, v63
	v_cvt_f16_f32_e32 v71, v61
	v_max_f32_e32 v2, v77, v78
	v_cndmask_b32_e32 v62, 0, v62, vcc
	v_cmp_nlt_f32_e32 vcc, s27, v63
	v_cndmask_b32_e32 v62, v38, v62, vcc
	v_sub_f32_e32 v59, v59, v2
	v_cvt_f16_f32_e32 v81, v62
	v_fmac_f32_e32 v62, v60, v61
	v_mul_f32_e32 v61, 0x3fb8aa3b, v59
	v_mul_u32_u24_e32 v60, 0x10001, v71
	v_fma_f32 v63, v59, s25, -v61
	v_rndne_f32_e32 v71, v61
	v_fmac_f32_e32 v63, 0x32a5705f, v59
	v_sub_f32_e32 v61, v61, v71
	v_add_f32_e32 v61, v61, v63
	v_exp_f32_e32 v61, v61
	v_cvt_i32_f32_e32 v63, v71
	v_pk_mul_f16 v84, v53, v60
	v_sub_f32_e32 v53, v74, v2
	v_pk_mul_f16 v85, v51, v60
	v_pk_mul_f16 v51, v52, v60
	v_ldexp_f32 v52, v61, v63
	v_mul_f32_e32 v61, 0x3fb8aa3b, v53
	v_fma_f32 v63, v53, s25, -v61
	v_rndne_f32_e32 v71, v61
	v_fmac_f32_e32 v63, 0x32a5705f, v53
	v_sub_f32_e32 v61, v61, v71
	v_add_f32_e32 v61, v61, v63
	v_exp_f32_e32 v61, v61
	v_cvt_i32_f32_e32 v63, v71
	v_cmp_ngt_f32_e32 vcc, s26, v59
	v_cndmask_b32_e32 v52, 0, v52, vcc
	v_cmp_nlt_f32_e32 vcc, s27, v59
	v_cndmask_b32_e32 v52, v38, v52, vcc
	v_ldexp_f32 v59, v61, v63
	v_cmp_ngt_f32_e32 vcc, s26, v53
	v_cndmask_b32_e32 v59, 0, v59, vcc
	v_cmp_nlt_f32_e32 vcc, s27, v53
	s_add_u32 s8, s12, s8
	v_cndmask_b32_e32 v63, v38, v59, vcc
	s_addc_u32 s9, s13, s9
	v_cvt_f16_f32_e32 v61, v52
	v_cvt_f16_f32_e32 v82, v63
	v_fmac_f32_e32 v63, v58, v52
	v_mov_b32_e32 v52, s9
	v_add_co_u32_e32 v53, vcc, s8, v9
	v_addc_co_u32_e32 v58, vcc, v52, v10, vcc
	v_add_co_u32_e32 v52, vcc, v53, v29
	v_addc_co_u32_e32 v53, vcc, 0, v58, vcc
	v_mov_b32_e32 v58, s9
	v_add_co_u32_e32 v59, vcc, s8, v11
	v_addc_co_u32_e32 v71, vcc, v58, v12, vcc
	v_add_co_u32_e32 v58, vcc, v59, v29
	s_barrier
	v_addc_co_u32_e32 v59, vcc, 0, v71, vcc
	global_load_dwordx4 v[73:76], v[52:53], off
	global_load_dwordx4 v[77:80], v[58:59], off
	v_sub_f32_e32 v52, v57, v3
	v_mul_f32_e32 v53, 0x3fb8aa3b, v52
	v_fma_f32 v57, v52, s25, -v53
	v_rndne_f32_e32 v58, v53
	v_fmac_f32_e32 v57, 0x32a5705f, v52
	v_sub_f32_e32 v53, v53, v58
	v_add_f32_e32 v53, v53, v57
	v_exp_f32_e32 v53, v53
	v_cvt_i32_f32_e32 v57, v58
	v_cmp_ngt_f32_e32 vcc, s26, v52
	v_mul_u32_u24_e32 v61, 0x10001, v61
	v_pk_mul_f16 v49, v49, v61
	v_ldexp_f32 v53, v53, v57
	v_sub_f32_e32 v57, v64, v3
	v_mul_f32_e32 v58, 0x3fb8aa3b, v57
	v_fma_f32 v59, v57, s25, -v58
	v_rndne_f32_e32 v64, v58
	v_fmac_f32_e32 v59, 0x32a5705f, v57
	v_sub_f32_e32 v58, v58, v64
	v_add_f32_e32 v58, v58, v59
	v_exp_f32_e32 v58, v58
	v_cvt_i32_f32_e32 v59, v64
	v_cndmask_b32_e32 v53, 0, v53, vcc
	v_cmp_nlt_f32_e32 vcc, s27, v52
	v_cndmask_b32_e32 v52, v38, v53, vcc
	v_ldexp_f32 v53, v58, v59
	v_cmp_ngt_f32_e32 vcc, s26, v57
	v_cndmask_b32_e32 v53, 0, v53, vcc
	v_cmp_nlt_f32_e32 vcc, s27, v57
	v_cndmask_b32_e32 v64, v38, v53, vcc
	v_cvt_f16_f32_e32 v58, v52
	v_cvt_f16_f32_e32 v53, v64
	v_fmac_f32_e32 v64, v56, v52
	v_sub_f32_e32 v52, v55, v4
	v_mul_f32_e32 v55, 0x3fb8aa3b, v52
	v_fma_f32 v56, v52, s25, -v55
	v_rndne_f32_e32 v57, v55
	v_fmac_f32_e32 v56, 0x32a5705f, v52
	v_sub_f32_e32 v55, v55, v57
	v_add_f32_e32 v55, v55, v56
	v_exp_f32_e32 v55, v55
	v_cvt_i32_f32_e32 v56, v57
	v_mul_u32_u24_e32 v86, 0x10001, v58
	v_cmp_ngt_f32_e32 vcc, s26, v52
	v_pk_mul_f16 v45, v45, v86
	v_ldexp_f32 v55, v55, v56
	v_sub_f32_e32 v56, v72, v4
	v_mul_f32_e32 v57, 0x3fb8aa3b, v56
	v_fma_f32 v58, v56, s25, -v57
	v_rndne_f32_e32 v59, v57
	v_fmac_f32_e32 v58, 0x32a5705f, v56
	v_sub_f32_e32 v57, v57, v59
	v_add_f32_e32 v57, v57, v58
	v_exp_f32_e32 v57, v57
	v_cvt_i32_f32_e32 v58, v59
	v_cndmask_b32_e32 v55, 0, v55, vcc
	v_cmp_nlt_f32_e32 vcc, s27, v52
	v_cndmask_b32_e32 v52, v38, v55, vcc
	v_ldexp_f32 v55, v57, v58
	v_cmp_ngt_f32_e32 vcc, s26, v56
	v_cndmask_b32_e32 v55, 0, v55, vcc
	v_cmp_nlt_f32_e32 vcc, s27, v56
	v_cvt_f16_f32_e32 v57, v52
	v_cndmask_b32_e32 v71, v38, v55, vcc
	v_cvt_f16_f32_e32 v55, v71
	v_fmac_f32_e32 v71, v54, v52
	v_mul_u32_u24_e32 v52, 0x10001, v57
	v_pk_mul_f16 v87, v40, v52
	v_pk_mul_f16 v41, v41, v52
	;; [unrolled: 1-line block ×4, first 2 shown]
	v_add_u32_e32 v52, v28, v20
	v_pack_b32_f16 v40, v53, v55
	v_pack_b32_f16 v39, v81, v82
	ds_write_b64 v52, v[39:40]
	s_waitcnt vmcnt(1)
	ds_write_b128 v30, v[73:76]
	s_waitcnt vmcnt(0)
	ds_write_b128 v31, v[77:80]
	s_waitcnt lgkmcnt(0)
	s_barrier
	v_add_u32_e32 v40, 0x4000, v20
	ds_read_b128 v[52:55], v28
	ds_read2_b64 v[56:59], v40 offset1:32
	ds_read_b128 v[72:75], v28 offset:16
	ds_read_b128 v[76:79], v28 offset:32
	;; [unrolled: 1-line block ×3, first 2 shown]
	s_waitcnt lgkmcnt(4)
	v_mul_u32_u24_sdwa v39, v52, s31 dst_sel:DWORD dst_unused:UNUSED_PAD src0_sel:WORD_0 src1_sel:DWORD
	v_mul_u32_u24_sdwa v52, v52, s31 dst_sel:DWORD dst_unused:UNUSED_PAD src0_sel:WORD_1 src1_sel:DWORD
	s_waitcnt lgkmcnt(3)
	v_pk_mul_f16 v90, v56, v39
	v_mul_u32_u24_sdwa v89, v53, s31 dst_sel:DWORD dst_unused:UNUSED_PAD src0_sel:WORD_0 src1_sel:DWORD
	v_pk_fma_f16 v50, v50, v60, v90
	v_pk_mul_f16 v60, v56, v52
	v_pk_mul_f16 v43, v43, v86
	;; [unrolled: 1-line block ×3, first 2 shown]
	v_mul_u32_u24_sdwa v53, v53, s31 dst_sel:DWORD dst_unused:UNUSED_PAD src0_sel:WORD_1 src1_sel:DWORD
	v_pk_fma_f16 v46, v46, v61, v60
	v_pk_mul_f16 v60, v56, v89
	v_pk_mul_f16 v47, v47, v61
	;; [unrolled: 1-line block ×3, first 2 shown]
	v_pk_fma_f16 v60, v42, v86, v60
	v_pk_fma_f16 v61, v57, v39, v84
	;; [unrolled: 1-line block ×9, first 2 shown]
	ds_read2_b64 v[41:44], v40 offset0:64 offset1:96
	v_pk_fma_f16 v56, v56, v53, v87
	v_pk_fma_f16 v47, v58, v52, v47
	;; [unrolled: 1-line block ×5, first 2 shown]
	v_mul_u32_u24_sdwa v52, v54, s31 dst_sel:DWORD dst_unused:UNUSED_PAD src0_sel:WORD_0 src1_sel:DWORD
	v_mul_u32_u24_sdwa v53, v54, s31 dst_sel:DWORD dst_unused:UNUSED_PAD src0_sel:WORD_1 src1_sel:DWORD
	v_mul_u32_u24_sdwa v54, v55, s31 dst_sel:DWORD dst_unused:UNUSED_PAD src0_sel:WORD_0 src1_sel:DWORD
	v_mul_u32_u24_sdwa v55, v55, s31 dst_sel:DWORD dst_unused:UNUSED_PAD src0_sel:WORD_1 src1_sel:DWORD
	s_waitcnt lgkmcnt(0)
	v_pk_fma_f16 v50, v41, v52, v50
	v_pk_fma_f16 v46, v41, v53, v46
	;; [unrolled: 1-line block ×16, first 2 shown]
	ds_read2_b64 v[41:44], v40 offset0:128 offset1:160
	v_mul_u32_u24_sdwa v52, v72, s31 dst_sel:DWORD dst_unused:UNUSED_PAD src0_sel:WORD_0 src1_sel:DWORD
	v_mul_u32_u24_sdwa v53, v72, s31 dst_sel:DWORD dst_unused:UNUSED_PAD src0_sel:WORD_1 src1_sel:DWORD
	v_mul_u32_u24_sdwa v54, v73, s31 dst_sel:DWORD dst_unused:UNUSED_PAD src0_sel:WORD_0 src1_sel:DWORD
	v_mul_u32_u24_sdwa v55, v73, s31 dst_sel:DWORD dst_unused:UNUSED_PAD src0_sel:WORD_1 src1_sel:DWORD
	s_waitcnt lgkmcnt(0)
	v_pk_fma_f16 v50, v41, v52, v50
	v_pk_fma_f16 v46, v41, v53, v46
	;; [unrolled: 1-line block ×16, first 2 shown]
	ds_read2_b64 v[41:44], v40 offset0:192 offset1:224
	v_mul_u32_u24_sdwa v52, v74, s31 dst_sel:DWORD dst_unused:UNUSED_PAD src0_sel:WORD_0 src1_sel:DWORD
	v_mul_u32_u24_sdwa v53, v74, s31 dst_sel:DWORD dst_unused:UNUSED_PAD src0_sel:WORD_1 src1_sel:DWORD
	v_mul_u32_u24_sdwa v54, v75, s31 dst_sel:DWORD dst_unused:UNUSED_PAD src0_sel:WORD_0 src1_sel:DWORD
	v_mul_u32_u24_sdwa v55, v75, s31 dst_sel:DWORD dst_unused:UNUSED_PAD src0_sel:WORD_1 src1_sel:DWORD
	s_waitcnt lgkmcnt(0)
	v_pk_fma_f16 v50, v41, v52, v50
	v_pk_fma_f16 v46, v41, v53, v46
	v_pk_fma_f16 v59, v41, v54, v59
	v_pk_fma_f16 v56, v41, v55, v56
	v_add_u32_e32 v41, 0x4800, v20
	v_pk_fma_f16 v60, v42, v52, v60
	v_pk_fma_f16 v49, v42, v53, v49
	;; [unrolled: 1-line block ×12, first 2 shown]
	ds_read2_b64 v[42:45], v41 offset1:32
	v_mul_u32_u24_sdwa v52, v76, s31 dst_sel:DWORD dst_unused:UNUSED_PAD src0_sel:WORD_0 src1_sel:DWORD
	v_mul_u32_u24_sdwa v53, v76, s31 dst_sel:DWORD dst_unused:UNUSED_PAD src0_sel:WORD_1 src1_sel:DWORD
	v_mul_u32_u24_sdwa v54, v77, s31 dst_sel:DWORD dst_unused:UNUSED_PAD src0_sel:WORD_0 src1_sel:DWORD
	v_mul_u32_u24_sdwa v55, v77, s31 dst_sel:DWORD dst_unused:UNUSED_PAD src0_sel:WORD_1 src1_sel:DWORD
	s_waitcnt lgkmcnt(0)
	v_pk_fma_f16 v50, v42, v52, v50
	v_pk_fma_f16 v46, v42, v53, v46
	v_pk_fma_f16 v59, v42, v54, v59
	v_pk_fma_f16 v56, v42, v55, v56
	v_pk_fma_f16 v60, v43, v52, v60
	v_pk_fma_f16 v49, v43, v53, v49
	v_pk_fma_f16 v73, v43, v54, v73
	v_pk_fma_f16 v57, v43, v55, v57
	v_pk_fma_f16 v61, v44, v52, v61
	v_pk_fma_f16 v47, v44, v53, v47
	v_pk_fma_f16 v72, v44, v54, v72
	v_pk_fma_f16 v58, v44, v55, v58
	v_pk_fma_f16 v39, v45, v52, v39
	v_pk_fma_f16 v48, v45, v53, v48
	v_pk_fma_f16 v51, v45, v54, v51
	v_pk_fma_f16 v34, v45, v55, v34
	ds_read2_b64 v[42:45], v41 offset0:64 offset1:96
	v_mul_u32_u24_sdwa v52, v78, s31 dst_sel:DWORD dst_unused:UNUSED_PAD src0_sel:WORD_0 src1_sel:DWORD
	v_mul_u32_u24_sdwa v53, v78, s31 dst_sel:DWORD dst_unused:UNUSED_PAD src0_sel:WORD_1 src1_sel:DWORD
	v_mul_u32_u24_sdwa v54, v79, s31 dst_sel:DWORD dst_unused:UNUSED_PAD src0_sel:WORD_0 src1_sel:DWORD
	v_mul_u32_u24_sdwa v55, v79, s31 dst_sel:DWORD dst_unused:UNUSED_PAD src0_sel:WORD_1 src1_sel:DWORD
	s_waitcnt lgkmcnt(0)
	v_pk_fma_f16 v50, v42, v52, v50
	v_pk_fma_f16 v46, v42, v53, v46
	v_pk_fma_f16 v59, v42, v54, v59
	v_pk_fma_f16 v56, v42, v55, v56
	v_pk_fma_f16 v60, v43, v52, v60
	v_pk_fma_f16 v49, v43, v53, v49
	v_pk_fma_f16 v73, v43, v54, v73
	v_pk_fma_f16 v57, v43, v55, v57
	v_pk_fma_f16 v61, v44, v52, v61
	v_pk_fma_f16 v47, v44, v53, v47
	v_pk_fma_f16 v72, v44, v54, v72
	v_pk_fma_f16 v58, v44, v55, v58
	v_pk_fma_f16 v39, v45, v52, v39
	v_pk_fma_f16 v48, v45, v53, v48
	v_pk_fma_f16 v51, v45, v54, v51
	v_pk_fma_f16 v34, v45, v55, v34
	ds_read2_b64 v[42:45], v41 offset0:128 offset1:160
	;; [unrolled: 22-line block ×3, first 2 shown]
	v_mul_u32_u24_sdwa v53, v82, s31 dst_sel:DWORD dst_unused:UNUSED_PAD src0_sel:WORD_1 src1_sel:DWORD
	v_mul_u32_u24_sdwa v55, v83, s31 dst_sel:DWORD dst_unused:UNUSED_PAD src0_sel:WORD_1 src1_sel:DWORD
	v_mul_u32_u24_sdwa v52, v82, s31 dst_sel:DWORD dst_unused:UNUSED_PAD src0_sel:WORD_0 src1_sel:DWORD
	v_mul_u32_u24_sdwa v54, v83, s31 dst_sel:DWORD dst_unused:UNUSED_PAD src0_sel:WORD_0 src1_sel:DWORD
	s_waitcnt lgkmcnt(0)
	v_pk_fma_f16 v75, v42, v53, v46
	v_pk_fma_f16 v76, v43, v53, v49
	;; [unrolled: 1-line block ×4, first 2 shown]
	ds_read_b128 v[46:49], v28 offset:64
	v_pk_fma_f16 v56, v42, v55, v56
	v_pk_fma_f16 v57, v43, v55, v57
	;; [unrolled: 1-line block ×4, first 2 shown]
	v_add_u32_e32 v34, 0x5000, v20
	v_pk_fma_f16 v74, v42, v52, v50
	v_pk_fma_f16 v59, v42, v54, v59
	v_pk_fma_f16 v60, v43, v52, v60
	v_pk_fma_f16 v73, v43, v54, v73
	v_pk_fma_f16 v61, v44, v52, v61
	v_pk_fma_f16 v72, v44, v54, v72
	v_pk_fma_f16 v39, v45, v52, v39
	v_pk_fma_f16 v54, v45, v54, v51
	ds_read2_b64 v[42:45], v34 offset1:32
	ds_read_b128 v[50:53], v28 offset:80
	s_waitcnt lgkmcnt(2)
	v_mul_u32_u24_sdwa v79, v46, s31 dst_sel:DWORD dst_unused:UNUSED_PAD src0_sel:WORD_0 src1_sel:DWORD
	v_mul_u32_u24_sdwa v46, v46, s31 dst_sel:DWORD dst_unused:UNUSED_PAD src0_sel:WORD_1 src1_sel:DWORD
	v_mul_u32_u24_sdwa v80, v47, s31 dst_sel:DWORD dst_unused:UNUSED_PAD src0_sel:WORD_0 src1_sel:DWORD
	v_mul_u32_u24_sdwa v47, v47, s31 dst_sel:DWORD dst_unused:UNUSED_PAD src0_sel:WORD_1 src1_sel:DWORD
	s_waitcnt lgkmcnt(1)
	v_pk_fma_f16 v74, v42, v79, v74
	v_pk_fma_f16 v75, v42, v46, v75
	v_pk_fma_f16 v59, v42, v80, v59
	v_pk_fma_f16 v56, v42, v47, v56
	v_pk_fma_f16 v60, v43, v79, v60
	v_pk_fma_f16 v76, v43, v46, v76
	v_pk_fma_f16 v73, v43, v80, v73
	v_pk_fma_f16 v57, v43, v47, v57
	v_pk_fma_f16 v61, v44, v79, v61
	v_pk_fma_f16 v77, v44, v46, v77
	v_pk_fma_f16 v72, v44, v80, v72
	v_pk_fma_f16 v58, v44, v47, v58
	v_pk_fma_f16 v39, v45, v79, v39
	v_pk_fma_f16 v46, v45, v46, v78
	v_pk_fma_f16 v54, v45, v80, v54
	v_pk_fma_f16 v47, v45, v47, v55
	ds_read2_b64 v[42:45], v34 offset0:64 offset1:96
	v_mul_u32_u24_sdwa v55, v48, s31 dst_sel:DWORD dst_unused:UNUSED_PAD src0_sel:WORD_0 src1_sel:DWORD
	v_mul_u32_u24_sdwa v48, v48, s31 dst_sel:DWORD dst_unused:UNUSED_PAD src0_sel:WORD_1 src1_sel:DWORD
	v_mul_u32_u24_sdwa v78, v49, s31 dst_sel:DWORD dst_unused:UNUSED_PAD src0_sel:WORD_0 src1_sel:DWORD
	v_mul_u32_u24_sdwa v49, v49, s31 dst_sel:DWORD dst_unused:UNUSED_PAD src0_sel:WORD_1 src1_sel:DWORD
	s_waitcnt lgkmcnt(0)
	v_pk_fma_f16 v74, v42, v55, v74
	v_pk_fma_f16 v75, v42, v48, v75
	v_pk_fma_f16 v59, v42, v78, v59
	v_pk_fma_f16 v56, v42, v49, v56
	v_pk_fma_f16 v60, v43, v55, v60
	v_pk_fma_f16 v76, v43, v48, v76
	v_pk_fma_f16 v73, v43, v78, v73
	v_pk_fma_f16 v57, v43, v49, v57
	v_pk_fma_f16 v61, v44, v55, v61
	v_pk_fma_f16 v77, v44, v48, v77
	v_pk_fma_f16 v72, v44, v78, v72
	v_pk_fma_f16 v58, v44, v49, v58
	v_pk_fma_f16 v39, v45, v55, v39
	v_pk_fma_f16 v46, v45, v48, v46
	v_pk_fma_f16 v48, v45, v78, v54
	v_pk_fma_f16 v47, v45, v49, v47
	ds_read2_b64 v[42:45], v34 offset0:128 offset1:160
	;; [unrolled: 22-line block ×3, first 2 shown]
	s_or_b32 s8, s6, 16
	s_mul_hi_i32 s9, s8, s18
	s_mul_i32 s8, s8, s18
	s_lshl_b64 s[8:9], s[8:9], 2
	s_add_u32 s8, s12, s8
	v_mul_u32_u24_sdwa v49, v52, s31 dst_sel:DWORD dst_unused:UNUSED_PAD src0_sel:WORD_1 src1_sel:DWORD
	s_addc_u32 s9, s13, s9
	s_waitcnt lgkmcnt(0)
	v_pk_fma_f16 v93, v44, v49, v76
	v_mov_b32_e32 v76, s9
	v_add_co_u32_e32 v77, vcc, s8, v9
	v_addc_co_u32_e32 v78, vcc, v76, v10, vcc
	v_add_co_u32_e32 v76, vcc, v77, v29
	v_addc_co_u32_e32 v77, vcc, 0, v78, vcc
	v_mov_b32_e32 v78, s9
	v_add_co_u32_e32 v79, vcc, s8, v11
	v_addc_co_u32_e32 v78, vcc, v78, v12, vcc
	v_mul_u32_u24_sdwa v47, v52, s31 dst_sel:DWORD dst_unused:UNUSED_PAD src0_sel:WORD_0 src1_sel:DWORD
	v_add_co_u32_e32 v80, vcc, v79, v29
	v_mul_u32_u24_sdwa v51, v53, s31 dst_sel:DWORD dst_unused:UNUSED_PAD src0_sel:WORD_0 src1_sel:DWORD
	v_mul_u32_u24_sdwa v52, v53, s31 dst_sel:DWORD dst_unused:UNUSED_PAD src0_sel:WORD_1 src1_sel:DWORD
	v_pk_fma_f16 v96, v45, v47, v39
	v_add_u32_e32 v39, 0x5800, v20
	v_addc_co_u32_e32 v81, vcc, 0, v78, vcc
	v_pk_fma_f16 v84, v42, v47, v55
	v_pk_fma_f16 v85, v42, v49, v74
	;; [unrolled: 1-line block ×13, first 2 shown]
	ds_read_b128 v[46:49], v28 offset:96
	v_pk_fma_f16 v99, v45, v52, v50
	ds_read2_b64 v[42:45], v39 offset1:32
	ds_read_b128 v[50:53], v28 offset:112
	ds_read2_b64 v[54:57], v39 offset0:64 offset1:96
	ds_read2_b64 v[58:61], v39 offset0:128 offset1:160
	;; [unrolled: 1-line block ×3, first 2 shown]
	s_waitcnt lgkmcnt(0)
	s_barrier
	global_load_dwordx4 v[76:79], v[76:77], off
	s_nop 0
	global_load_dwordx4 v[80:83], v[80:81], off
	v_mul_u32_u24_sdwa v100, v46, s31 dst_sel:DWORD dst_unused:UNUSED_PAD src0_sel:WORD_0 src1_sel:DWORD
	v_mul_u32_u24_sdwa v46, v46, s31 dst_sel:DWORD dst_unused:UNUSED_PAD src0_sel:WORD_1 src1_sel:DWORD
	v_mul_u32_u24_sdwa v101, v47, s31 dst_sel:DWORD dst_unused:UNUSED_PAD src0_sel:WORD_0 src1_sel:DWORD
	v_mul_u32_u24_sdwa v47, v47, s31 dst_sel:DWORD dst_unused:UNUSED_PAD src0_sel:WORD_1 src1_sel:DWORD
	v_pk_fma_f16 v84, v42, v100, v84
	v_pk_fma_f16 v85, v42, v46, v85
	v_pk_fma_f16 v86, v42, v101, v86
	v_pk_fma_f16 v42, v42, v47, v87
	v_pk_fma_f16 v87, v43, v100, v88
	v_pk_fma_f16 v88, v43, v46, v89
	v_pk_fma_f16 v89, v43, v101, v90
	v_pk_fma_f16 v43, v43, v47, v91
	v_pk_fma_f16 v90, v44, v100, v92
	v_pk_fma_f16 v91, v44, v46, v93
	v_pk_fma_f16 v92, v44, v101, v94
	v_pk_fma_f16 v44, v44, v47, v95
	v_pk_fma_f16 v93, v45, v100, v96
	v_pk_fma_f16 v46, v45, v46, v97
	v_pk_fma_f16 v94, v45, v101, v98
	v_pk_fma_f16 v45, v45, v47, v99
	v_mul_u32_u24_sdwa v47, v48, s31 dst_sel:DWORD dst_unused:UNUSED_PAD src0_sel:WORD_0 src1_sel:DWORD
	v_mul_u32_u24_sdwa v48, v48, s31 dst_sel:DWORD dst_unused:UNUSED_PAD src0_sel:WORD_1 src1_sel:DWORD
	v_mul_u32_u24_sdwa v95, v49, s31 dst_sel:DWORD dst_unused:UNUSED_PAD src0_sel:WORD_0 src1_sel:DWORD
	v_mul_u32_u24_sdwa v49, v49, s31 dst_sel:DWORD dst_unused:UNUSED_PAD src0_sel:WORD_1 src1_sel:DWORD
	v_pk_fma_f16 v84, v54, v47, v84
	v_pk_fma_f16 v85, v54, v48, v85
	v_pk_fma_f16 v86, v54, v95, v86
	v_pk_fma_f16 v42, v54, v49, v42
	v_pk_fma_f16 v54, v55, v47, v87
	v_pk_fma_f16 v87, v55, v48, v88
	v_pk_fma_f16 v88, v55, v95, v89
	v_pk_fma_f16 v43, v55, v49, v43
	v_pk_fma_f16 v55, v56, v47, v90
	v_pk_fma_f16 v89, v56, v48, v91
	v_pk_fma_f16 v90, v56, v95, v92
	v_pk_fma_f16 v44, v56, v49, v44
	v_pk_fma_f16 v47, v57, v47, v93
	v_pk_fma_f16 v46, v57, v48, v46
	v_pk_fma_f16 v48, v57, v95, v94
	v_pk_fma_f16 v45, v57, v49, v45
	;; [unrolled: 20-line block ×4, first 2 shown]
	s_waitcnt vmcnt(1)
	ds_write_b128 v30, v[76:79]
	s_waitcnt vmcnt(0)
	ds_write_b128 v31, v[80:83]
	s_waitcnt lgkmcnt(0)
	s_barrier
	ds_read_b128 v[42:45], v28 offset:128
	ds_read2_b64 v[46:49], v40 offset1:32
	ds_read_b128 v[50:53], v28 offset:144
	ds_read_b128 v[54:57], v28 offset:160
	;; [unrolled: 1-line block ×3, first 2 shown]
	s_waitcnt lgkmcnt(4)
	v_mul_u32_u24_sdwa v76, v42, s31 dst_sel:DWORD dst_unused:UNUSED_PAD src0_sel:WORD_0 src1_sel:DWORD
	v_mul_u32_u24_sdwa v42, v42, s31 dst_sel:DWORD dst_unused:UNUSED_PAD src0_sel:WORD_1 src1_sel:DWORD
	v_mul_u32_u24_sdwa v77, v43, s31 dst_sel:DWORD dst_unused:UNUSED_PAD src0_sel:WORD_0 src1_sel:DWORD
	v_mul_u32_u24_sdwa v43, v43, s31 dst_sel:DWORD dst_unused:UNUSED_PAD src0_sel:WORD_1 src1_sel:DWORD
	s_waitcnt lgkmcnt(3)
	v_pk_fma_f16 v78, v46, v76, v88
	v_pk_fma_f16 v79, v46, v42, v84
	v_pk_fma_f16 v80, v46, v77, v85
	v_pk_fma_f16 v72, v46, v43, v72
	v_pk_fma_f16 v81, v47, v76, v89
	v_pk_fma_f16 v82, v47, v42, v90
	v_pk_fma_f16 v83, v47, v77, v86
	v_pk_fma_f16 v73, v47, v43, v73
	v_pk_fma_f16 v84, v48, v76, v91
	v_pk_fma_f16 v85, v48, v42, v92
	v_pk_fma_f16 v86, v48, v77, v87
	v_pk_fma_f16 v74, v48, v43, v74
	v_pk_fma_f16 v76, v49, v76, v93
	v_pk_fma_f16 v42, v49, v42, v94
	v_pk_fma_f16 v77, v49, v77, v95
	v_pk_fma_f16 v43, v49, v43, v75
	ds_read2_b64 v[46:49], v40 offset0:64 offset1:96
	v_mul_u32_u24_sdwa v75, v44, s31 dst_sel:DWORD dst_unused:UNUSED_PAD src0_sel:WORD_0 src1_sel:DWORD
	v_mul_u32_u24_sdwa v44, v44, s31 dst_sel:DWORD dst_unused:UNUSED_PAD src0_sel:WORD_1 src1_sel:DWORD
	v_mul_u32_u24_sdwa v87, v45, s31 dst_sel:DWORD dst_unused:UNUSED_PAD src0_sel:WORD_0 src1_sel:DWORD
	v_mul_u32_u24_sdwa v45, v45, s31 dst_sel:DWORD dst_unused:UNUSED_PAD src0_sel:WORD_1 src1_sel:DWORD
	s_waitcnt lgkmcnt(0)
	v_pk_fma_f16 v78, v46, v75, v78
	v_pk_fma_f16 v79, v46, v44, v79
	v_pk_fma_f16 v80, v46, v87, v80
	v_pk_fma_f16 v46, v46, v45, v72
	v_pk_fma_f16 v72, v47, v75, v81
	v_pk_fma_f16 v81, v47, v44, v82
	v_pk_fma_f16 v82, v47, v87, v83
	v_pk_fma_f16 v47, v47, v45, v73
	v_pk_fma_f16 v73, v48, v75, v84
	v_pk_fma_f16 v83, v48, v44, v85
	v_pk_fma_f16 v84, v48, v87, v86
	v_pk_fma_f16 v48, v48, v45, v74
	v_pk_fma_f16 v74, v49, v75, v76
	v_pk_fma_f16 v75, v49, v44, v42
	v_pk_fma_f16 v76, v49, v87, v77
	v_pk_fma_f16 v49, v49, v45, v43
	ds_read2_b64 v[42:45], v40 offset0:128 offset1:160
	;; [unrolled: 22-line block ×3, first 2 shown]
	v_mul_u32_u24_sdwa v40, v52, s31 dst_sel:DWORD dst_unused:UNUSED_PAD src0_sel:WORD_0 src1_sel:DWORD
	v_mul_u32_u24_sdwa v51, v52, s31 dst_sel:DWORD dst_unused:UNUSED_PAD src0_sel:WORD_1 src1_sel:DWORD
	v_mul_u32_u24_sdwa v52, v53, s31 dst_sel:DWORD dst_unused:UNUSED_PAD src0_sel:WORD_0 src1_sel:DWORD
	v_mul_u32_u24_sdwa v53, v53, s31 dst_sel:DWORD dst_unused:UNUSED_PAD src0_sel:WORD_1 src1_sel:DWORD
	s_waitcnt lgkmcnt(0)
	v_pk_fma_f16 v76, v42, v40, v78
	v_pk_fma_f16 v77, v42, v51, v79
	;; [unrolled: 1-line block ×16, first 2 shown]
	ds_read2_b64 v[42:45], v41 offset1:32
	v_mul_u32_u24_sdwa v52, v54, s31 dst_sel:DWORD dst_unused:UNUSED_PAD src0_sel:WORD_0 src1_sel:DWORD
	v_mul_u32_u24_sdwa v53, v54, s31 dst_sel:DWORD dst_unused:UNUSED_PAD src0_sel:WORD_1 src1_sel:DWORD
	v_mul_u32_u24_sdwa v54, v55, s31 dst_sel:DWORD dst_unused:UNUSED_PAD src0_sel:WORD_0 src1_sel:DWORD
	v_mul_u32_u24_sdwa v55, v55, s31 dst_sel:DWORD dst_unused:UNUSED_PAD src0_sel:WORD_1 src1_sel:DWORD
	s_waitcnt lgkmcnt(0)
	v_pk_fma_f16 v74, v42, v52, v76
	v_pk_fma_f16 v75, v42, v53, v77
	;; [unrolled: 1-line block ×16, first 2 shown]
	ds_read2_b64 v[42:45], v41 offset0:64 offset1:96
	v_mul_u32_u24_sdwa v52, v56, s31 dst_sel:DWORD dst_unused:UNUSED_PAD src0_sel:WORD_0 src1_sel:DWORD
	v_mul_u32_u24_sdwa v53, v56, s31 dst_sel:DWORD dst_unused:UNUSED_PAD src0_sel:WORD_1 src1_sel:DWORD
	v_mul_u32_u24_sdwa v54, v57, s31 dst_sel:DWORD dst_unused:UNUSED_PAD src0_sel:WORD_0 src1_sel:DWORD
	v_mul_u32_u24_sdwa v55, v57, s31 dst_sel:DWORD dst_unused:UNUSED_PAD src0_sel:WORD_1 src1_sel:DWORD
	s_waitcnt lgkmcnt(0)
	v_pk_fma_f16 v56, v42, v52, v74
	v_pk_fma_f16 v57, v42, v53, v75
	;; [unrolled: 1-line block ×16, first 2 shown]
	ds_read2_b64 v[42:45], v41 offset0:128 offset1:160
	v_mul_u32_u24_sdwa v52, v58, s31 dst_sel:DWORD dst_unused:UNUSED_PAD src0_sel:WORD_0 src1_sel:DWORD
	v_mul_u32_u24_sdwa v53, v58, s31 dst_sel:DWORD dst_unused:UNUSED_PAD src0_sel:WORD_1 src1_sel:DWORD
	v_mul_u32_u24_sdwa v54, v59, s31 dst_sel:DWORD dst_unused:UNUSED_PAD src0_sel:WORD_0 src1_sel:DWORD
	v_mul_u32_u24_sdwa v55, v59, s31 dst_sel:DWORD dst_unused:UNUSED_PAD src0_sel:WORD_1 src1_sel:DWORD
	s_waitcnt lgkmcnt(0)
	v_pk_fma_f16 v56, v42, v52, v56
	v_pk_fma_f16 v57, v42, v53, v57
	;; [unrolled: 1-line block ×13, first 2 shown]
	ds_read2_b64 v[40:43], v41 offset0:192 offset1:224
	v_pk_fma_f16 v50, v45, v53, v50
	v_pk_fma_f16 v51, v45, v54, v51
	;; [unrolled: 1-line block ×3, first 2 shown]
	v_mul_u32_u24_sdwa v45, v60, s31 dst_sel:DWORD dst_unused:UNUSED_PAD src0_sel:WORD_0 src1_sel:DWORD
	v_mul_u32_u24_sdwa v52, v60, s31 dst_sel:DWORD dst_unused:UNUSED_PAD src0_sel:WORD_1 src1_sel:DWORD
	v_mul_u32_u24_sdwa v53, v61, s31 dst_sel:DWORD dst_unused:UNUSED_PAD src0_sel:WORD_0 src1_sel:DWORD
	v_mul_u32_u24_sdwa v54, v61, s31 dst_sel:DWORD dst_unused:UNUSED_PAD src0_sel:WORD_1 src1_sel:DWORD
	s_waitcnt lgkmcnt(0)
	v_pk_fma_f16 v55, v40, v45, v56
	v_pk_fma_f16 v56, v40, v52, v57
	;; [unrolled: 1-line block ×13, first 2 shown]
	ds_read_b128 v[44:47], v28 offset:192
	v_pk_fma_f16 v52, v43, v52, v50
	v_pk_fma_f16 v53, v43, v53, v51
	;; [unrolled: 1-line block ×3, first 2 shown]
	ds_read2_b64 v[40:43], v34 offset1:32
	ds_read_b128 v[48:51], v28 offset:208
	s_waitcnt lgkmcnt(2)
	v_mul_u32_u24_sdwa v78, v44, s31 dst_sel:DWORD dst_unused:UNUSED_PAD src0_sel:WORD_0 src1_sel:DWORD
	v_mul_u32_u24_sdwa v44, v44, s31 dst_sel:DWORD dst_unused:UNUSED_PAD src0_sel:WORD_1 src1_sel:DWORD
	v_mul_u32_u24_sdwa v79, v45, s31 dst_sel:DWORD dst_unused:UNUSED_PAD src0_sel:WORD_0 src1_sel:DWORD
	v_mul_u32_u24_sdwa v45, v45, s31 dst_sel:DWORD dst_unused:UNUSED_PAD src0_sel:WORD_1 src1_sel:DWORD
	s_waitcnt lgkmcnt(1)
	v_pk_fma_f16 v55, v40, v78, v55
	v_pk_fma_f16 v56, v40, v44, v56
	v_pk_fma_f16 v57, v40, v79, v57
	v_pk_fma_f16 v58, v40, v45, v58
	v_pk_fma_f16 v59, v41, v78, v59
	v_pk_fma_f16 v60, v41, v44, v60
	v_pk_fma_f16 v61, v41, v79, v61
	v_pk_fma_f16 v72, v41, v45, v72
	v_pk_fma_f16 v73, v42, v78, v73
	v_pk_fma_f16 v74, v42, v44, v74
	v_pk_fma_f16 v75, v42, v79, v75
	v_pk_fma_f16 v76, v42, v45, v76
	v_pk_fma_f16 v77, v43, v78, v77
	v_pk_fma_f16 v44, v43, v44, v52
	v_pk_fma_f16 v52, v43, v79, v53
	v_pk_fma_f16 v45, v43, v45, v54
	ds_read2_b64 v[40:43], v34 offset0:64 offset1:96
	v_mul_u32_u24_sdwa v53, v46, s31 dst_sel:DWORD dst_unused:UNUSED_PAD src0_sel:WORD_0 src1_sel:DWORD
	v_mul_u32_u24_sdwa v46, v46, s31 dst_sel:DWORD dst_unused:UNUSED_PAD src0_sel:WORD_1 src1_sel:DWORD
	v_mul_u32_u24_sdwa v54, v47, s31 dst_sel:DWORD dst_unused:UNUSED_PAD src0_sel:WORD_0 src1_sel:DWORD
	v_mul_u32_u24_sdwa v47, v47, s31 dst_sel:DWORD dst_unused:UNUSED_PAD src0_sel:WORD_1 src1_sel:DWORD
	s_waitcnt lgkmcnt(0)
	v_pk_fma_f16 v55, v40, v53, v55
	v_pk_fma_f16 v56, v40, v46, v56
	v_pk_fma_f16 v57, v40, v54, v57
	v_pk_fma_f16 v58, v40, v47, v58
	v_pk_fma_f16 v59, v41, v53, v59
	v_pk_fma_f16 v60, v41, v46, v60
	v_pk_fma_f16 v61, v41, v54, v61
	v_pk_fma_f16 v72, v41, v47, v72
	v_pk_fma_f16 v73, v42, v53, v73
	v_pk_fma_f16 v74, v42, v46, v74
	v_pk_fma_f16 v75, v42, v54, v75
	v_pk_fma_f16 v76, v42, v47, v76
	v_pk_fma_f16 v53, v43, v53, v77
	v_pk_fma_f16 v44, v43, v46, v44
	v_pk_fma_f16 v46, v43, v54, v52
	v_pk_fma_f16 v45, v43, v47, v45
	ds_read2_b64 v[40:43], v34 offset0:128 offset1:160
	;; [unrolled: 22-line block ×3, first 2 shown]
	v_mul_u32_u24_sdwa v34, v50, s31 dst_sel:DWORD dst_unused:UNUSED_PAD src0_sel:WORD_0 src1_sel:DWORD
	v_mul_u32_u24_sdwa v45, v50, s31 dst_sel:DWORD dst_unused:UNUSED_PAD src0_sel:WORD_1 src1_sel:DWORD
	v_mul_u32_u24_sdwa v50, v51, s31 dst_sel:DWORD dst_unused:UNUSED_PAD src0_sel:WORD_0 src1_sel:DWORD
	v_mul_u32_u24_sdwa v51, v51, s31 dst_sel:DWORD dst_unused:UNUSED_PAD src0_sel:WORD_1 src1_sel:DWORD
	s_waitcnt lgkmcnt(0)
	v_pk_fma_f16 v52, v40, v34, v54
	v_pk_fma_f16 v53, v40, v45, v55
	;; [unrolled: 1-line block ×13, first 2 shown]
	ds_read_b128 v[44:47], v28 offset:224
	v_pk_fma_f16 v73, v42, v51, v75
	v_pk_fma_f16 v75, v43, v50, v48
	;; [unrolled: 1-line block ×3, first 2 shown]
	ds_read2_b64 v[40:43], v39 offset1:32
	ds_read_b128 v[48:51], v28 offset:240
	s_waitcnt lgkmcnt(2)
	v_mul_u32_u24_sdwa v77, v44, s31 dst_sel:DWORD dst_unused:UNUSED_PAD src0_sel:WORD_0 src1_sel:DWORD
	v_mul_u32_u24_sdwa v44, v44, s31 dst_sel:DWORD dst_unused:UNUSED_PAD src0_sel:WORD_1 src1_sel:DWORD
	v_mul_u32_u24_sdwa v78, v45, s31 dst_sel:DWORD dst_unused:UNUSED_PAD src0_sel:WORD_0 src1_sel:DWORD
	v_mul_u32_u24_sdwa v45, v45, s31 dst_sel:DWORD dst_unused:UNUSED_PAD src0_sel:WORD_1 src1_sel:DWORD
	s_waitcnt lgkmcnt(1)
	v_pk_fma_f16 v52, v40, v77, v52
	v_pk_fma_f16 v53, v40, v44, v53
	;; [unrolled: 1-line block ×16, first 2 shown]
	ds_read2_b64 v[40:43], v39 offset0:64 offset1:96
	v_mul_u32_u24_sdwa v75, v46, s31 dst_sel:DWORD dst_unused:UNUSED_PAD src0_sel:WORD_0 src1_sel:DWORD
	v_mul_u32_u24_sdwa v46, v46, s31 dst_sel:DWORD dst_unused:UNUSED_PAD src0_sel:WORD_1 src1_sel:DWORD
	v_mul_u32_u24_sdwa v76, v47, s31 dst_sel:DWORD dst_unused:UNUSED_PAD src0_sel:WORD_0 src1_sel:DWORD
	v_mul_u32_u24_sdwa v47, v47, s31 dst_sel:DWORD dst_unused:UNUSED_PAD src0_sel:WORD_1 src1_sel:DWORD
	s_waitcnt lgkmcnt(0)
	v_pk_fma_f16 v52, v40, v75, v52
	v_pk_fma_f16 v53, v40, v46, v53
	;; [unrolled: 1-line block ×16, first 2 shown]
	ds_read2_b64 v[40:43], v39 offset0:128 offset1:160
	v_mul_u32_u24_sdwa v47, v48, s31 dst_sel:DWORD dst_unused:UNUSED_PAD src0_sel:WORD_0 src1_sel:DWORD
	v_mul_u32_u24_sdwa v48, v48, s31 dst_sel:DWORD dst_unused:UNUSED_PAD src0_sel:WORD_1 src1_sel:DWORD
	v_mul_u32_u24_sdwa v74, v49, s31 dst_sel:DWORD dst_unused:UNUSED_PAD src0_sel:WORD_0 src1_sel:DWORD
	v_mul_u32_u24_sdwa v49, v49, s31 dst_sel:DWORD dst_unused:UNUSED_PAD src0_sel:WORD_1 src1_sel:DWORD
	s_waitcnt lgkmcnt(0)
	v_pk_fma_f16 v52, v40, v47, v52
	v_pk_fma_f16 v75, v40, v48, v53
	;; [unrolled: 1-line block ×5, first 2 shown]
	ds_read2_b64 v[53:56], v39 offset0:192 offset1:224
	s_waitcnt lgkmcnt(0)
	s_barrier
	s_load_dword s8, s[0:1], 0x4
	v_pk_fma_f16 v57, v41, v48, v57
	v_pk_fma_f16 v58, v41, v74, v58
	;; [unrolled: 1-line block ×4, first 2 shown]
	s_waitcnt lgkmcnt(0)
	s_lshl_b32 s8, s8, 5
	v_pk_fma_f16 v60, v42, v48, v61
	v_pk_fma_f16 v61, v42, v74, v72
	v_pk_fma_f16 v72, v42, v49, v73
	v_pk_fma_f16 v34, v43, v47, v34
	v_pk_fma_f16 v44, v43, v48, v44
	v_pk_fma_f16 v73, v43, v74, v46
	v_pk_fma_f16 v74, v43, v49, v45
	v_mul_u32_u24_sdwa v48, v50, s31 dst_sel:DWORD dst_unused:UNUSED_PAD src0_sel:WORD_0 src1_sel:DWORD
	v_mul_u32_u24_sdwa v78, v50, s31 dst_sel:DWORD dst_unused:UNUSED_PAD src0_sel:WORD_1 src1_sel:DWORD
	v_mul_u32_u24_sdwa v79, v51, s31 dst_sel:DWORD dst_unused:UNUSED_PAD src0_sel:WORD_0 src1_sel:DWORD
	v_mul_u32_u24_sdwa v80, v51, s31 dst_sel:DWORD dst_unused:UNUSED_PAD src0_sel:WORD_1 src1_sel:DWORD
	s_add_i32 s6, s8, s6
	v_pk_fma_f16 v50, v53, v48, v52
	v_pk_fma_f16 v46, v53, v78, v75
	;; [unrolled: 1-line block ×15, first 2 shown]
	s_cmp_ge_i32 s6, s30
	v_pk_fma_f16 v34, v56, v80, v74
	s_cbranch_scc1 .LBB65_7
; %bb.29:                               ;   in Loop: Header=BB65_12 Depth=1
	v_mov_b32_e32 v61, v1
	v_mov_b32_e32 v59, v2
	;; [unrolled: 1-line block ×8, first 2 shown]
	s_branch .LBB65_12
.LBB65_30:
	v_mov_b32_e32 v12, v8
	v_mov_b32_e32 v11, v7
	v_mov_b32_e32 v10, v6
	v_mov_b32_e32 v9, v5
	v_cmp_gt_i32_e32 vcc, s2, v14
	s_and_saveexec_b64 s[0:1], vcc
	s_cbranch_execz .LBB65_9
.LBB65_31:
	s_load_dword s6, s[4:5], 0xd4
	v_mov_b32_e32 v14, 1.0
	s_waitcnt lgkmcnt(0)
	s_cmp_lg_u32 s6, 1
	s_cselect_b64 s[4:5], -1, 0
	s_cmp_eq_u32 s6, 1
	s_cselect_b64 s[8:9], -1, 0
	s_and_b64 vcc, exec, s[4:5]
	s_cbranch_vccnz .LBB65_33
; %bb.32:
	v_div_scale_f32 v14, s[0:1], v5, v5, 1.0
	v_div_scale_f32 v20, vcc, 1.0, v5, 1.0
	v_rcp_f32_e32 v21, v14
	v_fma_f32 v22, -v14, v21, 1.0
	v_fmac_f32_e32 v21, v22, v21
	v_mul_f32_e32 v22, v20, v21
	v_fma_f32 v23, -v14, v22, v20
	v_fmac_f32_e32 v22, v23, v21
	v_fma_f32 v14, -v14, v22, v20
	v_div_fmas_f32 v14, v14, v21, v22
	v_div_fixup_f32 v14, v14, v5, 1.0
.LBB65_33:
	s_mul_i32 s10, s33, s2
	s_add_i32 s10, s10, s14
	v_add_u32_e32 v5, s10, v13
	v_mul_lo_u32 v5, v5, s3
	v_cvt_f32_f16_e32 v20, v53
	v_cvt_f32_f16_e32 v25, v50
	v_cmp_eq_u32_e32 vcc, 0, v0
	v_add_u32_e32 v13, s28, v5
	v_mul_lo_u32 v13, s6, v13
	v_cvt_f32_f16_sdwa v0, v53 dst_sel:DWORD dst_unused:UNUSED_PAD src0_sel:WORD_1
	v_cvt_f32_f16_sdwa v21, v50 dst_sel:DWORD dst_unused:UNUSED_PAD src0_sel:WORD_1
	v_mul_f32_e32 v22, v14, v20
	v_add_u32_e32 v13, s7, v13
	v_lshl_add_u32 v24, v13, 8, v19
	v_mul_f32_e32 v20, v14, v25
	v_mov_b32_e32 v25, 0
	v_lshlrev_b64 v[26:27], 2, v[24:25]
	v_mul_f32_e32 v23, v14, v0
	v_mov_b32_e32 v0, s21
	v_add_co_u32_e64 v26, s[0:1], s20, v26
	v_mul_f32_e32 v21, v14, v21
	v_addc_co_u32_e64 v27, s[0:1], v0, v27, s[0:1]
	v_cvt_f32_f16_sdwa v0, v52 dst_sel:DWORD dst_unused:UNUSED_PAD src0_sel:WORD_1
	global_store_dwordx4 v[26:27], v[20:23], off
	v_cvt_f32_f16_e32 v26, v51
	v_cvt_f32_f16_e32 v20, v52
	v_cvt_f32_f16_sdwa v21, v51 dst_sel:DWORD dst_unused:UNUSED_PAD src0_sel:WORD_1
	v_add_u32_e32 v24, 0x80, v24
	v_lshlrev_b64 v[24:25], 2, v[24:25]
	v_mul_f32_e32 v23, v14, v0
	v_mov_b32_e32 v0, s21
	v_add_co_u32_e64 v24, s[0:1], s20, v24
	v_mul_f32_e32 v22, v14, v20
	v_mul_f32_e32 v21, v14, v21
	;; [unrolled: 1-line block ×3, first 2 shown]
	v_addc_co_u32_e64 v25, s[0:1], v0, v25, s[0:1]
	s_and_b64 s[4:5], vcc, s[4:5]
	global_store_dwordx4 v[24:25], v[20:23], off
	s_and_saveexec_b64 s[0:1], s[4:5]
	s_cbranch_execz .LBB65_35
; %bb.34:
	v_ashrrev_i32_e32 v14, 31, v13
	v_lshlrev_b64 v[13:14], 3, v[13:14]
	v_mov_b32_e32 v0, s23
	v_add_co_u32_e32 v13, vcc, s22, v13
	v_addc_co_u32_e32 v14, vcc, v0, v14, vcc
	v_mov_b32_e32 v0, v1
	v_mov_b32_e32 v1, v9
	global_store_dwordx2 v[13:14], v[0:1], off
.LBB65_35:
	s_or_b64 exec, exec, s[0:1]
	v_cndmask_b32_e64 v0, 0, 1, s[8:9]
	v_cmp_ne_u32_e64 s[0:1], 1, v0
	s_andn2_b64 vcc, exec, s[8:9]
	v_mov_b32_e32 v1, 1.0
	s_cbranch_vccnz .LBB65_37
; %bb.36:
	v_div_scale_f32 v0, s[8:9], v6, v6, 1.0
	v_div_scale_f32 v1, vcc, 1.0, v6, 1.0
	v_rcp_f32_e32 v9, v0
	v_fma_f32 v13, -v0, v9, 1.0
	v_fmac_f32_e32 v9, v13, v9
	v_mul_f32_e32 v13, v1, v9
	v_fma_f32 v14, -v0, v13, v1
	v_fmac_f32_e32 v13, v14, v9
	v_fma_f32 v0, -v0, v13, v1
	v_div_fmas_f32 v0, v0, v9, v13
	v_div_fixup_f32 v1, v0, v6, 1.0
.LBB65_37:
	s_add_i32 s11, s28, 1
	v_add_u32_e32 v0, s11, v5
	v_mul_lo_u32 v0, s6, v0
	v_cvt_f32_f16_sdwa v6, v49 dst_sel:DWORD dst_unused:UNUSED_PAD src0_sel:WORD_1
	v_cvt_f32_f16_sdwa v13, v46 dst_sel:DWORD dst_unused:UNUSED_PAD src0_sel:WORD_1
	v_cvt_f32_f16_e32 v14, v46
	v_cvt_f32_f16_e32 v9, v49
	v_add_u32_e32 v0, s7, v0
	v_lshl_add_u32 v5, v0, 8, v19
	v_mul_f32_e32 v23, v1, v6
	v_mov_b32_e32 v6, 0
	v_mul_f32_e32 v21, v1, v13
	v_mul_f32_e32 v20, v1, v14
	v_lshlrev_b64 v[13:14], 2, v[5:6]
	v_mul_f32_e32 v22, v1, v9
	v_mov_b32_e32 v9, s21
	v_add_co_u32_e32 v13, vcc, s20, v13
	v_addc_co_u32_e32 v14, vcc, v9, v14, vcc
	global_store_dwordx4 v[13:14], v[20:23], off
	v_cvt_f32_f16_sdwa v9, v48 dst_sel:DWORD dst_unused:UNUSED_PAD src0_sel:WORD_1
	v_cvt_f32_f16_e32 v13, v48
	v_cvt_f32_f16_sdwa v14, v47 dst_sel:DWORD dst_unused:UNUSED_PAD src0_sel:WORD_1
	v_cvt_f32_f16_e32 v20, v47
	v_add_u32_e32 v5, 0x80, v5
	v_lshlrev_b64 v[5:6], 2, v[5:6]
	v_mul_f32_e32 v23, v1, v9
	v_mul_f32_e32 v22, v1, v13
	;; [unrolled: 1-line block ×4, first 2 shown]
	v_mov_b32_e32 v1, s21
	v_add_co_u32_e32 v5, vcc, s20, v5
	v_addc_co_u32_e32 v6, vcc, v1, v6, vcc
	global_store_dwordx4 v[5:6], v[20:23], off
	s_and_saveexec_b64 s[8:9], s[4:5]
	s_cbranch_execz .LBB65_39
; %bb.38:
	v_ashrrev_i32_e32 v1, 31, v0
	v_lshlrev_b64 v[0:1], 3, v[0:1]
	v_mov_b32_e32 v5, s23
	v_add_co_u32_e32 v0, vcc, s22, v0
	v_addc_co_u32_e32 v1, vcc, v5, v1, vcc
	v_mov_b32_e32 v9, v2
	global_store_dwordx2 v[0:1], v[9:10], off
.LBB65_39:
	s_or_b64 exec, exec, s[8:9]
	v_cmp_gt_i32_e32 vcc, s2, v18
	s_and_b64 exec, exec, vcc
	s_cbranch_execz .LBB65_9
; %bb.40:
	s_and_b64 vcc, exec, s[0:1]
	v_mov_b32_e32 v1, 1.0
	s_cbranch_vccnz .LBB65_42
; %bb.41:
	v_div_scale_f32 v0, s[8:9], v7, v7, 1.0
	v_div_scale_f32 v1, vcc, 1.0, v7, 1.0
	v_rcp_f32_e32 v2, v0
	v_fma_f32 v5, -v0, v2, 1.0
	v_fmac_f32_e32 v2, v5, v2
	v_mul_f32_e32 v5, v1, v2
	v_fma_f32 v6, -v0, v5, v1
	v_fmac_f32_e32 v5, v6, v2
	v_fma_f32 v0, -v0, v5, v1
	v_div_fmas_f32 v0, v0, v2, v5
	v_div_fixup_f32 v1, v0, v7, 1.0
.LBB65_42:
	v_add_u32_e32 v0, s10, v17
	v_mul_lo_u32 v0, v0, s3
	v_cvt_f32_f16_e32 v5, v45
	v_cvt_f32_f16_sdwa v6, v42 dst_sel:DWORD dst_unused:UNUSED_PAD src0_sel:WORD_1
	v_cvt_f32_f16_sdwa v2, v45 dst_sel:DWORD dst_unused:UNUSED_PAD src0_sel:WORD_1
	v_add_u32_e32 v0, s28, v0
	v_mul_lo_u32 v0, s6, v0
	v_cvt_f32_f16_e32 v7, v42
	v_mul_f32_e32 v22, v1, v5
	v_mul_f32_e32 v21, v1, v6
	v_add_u32_e32 v0, s7, v0
	v_lshl_add_u32 v5, v0, 8, v19
	v_mov_b32_e32 v6, 0
	v_lshlrev_b64 v[9:10], 2, v[5:6]
	v_mul_f32_e32 v23, v1, v2
	v_mov_b32_e32 v2, s21
	v_add_co_u32_e32 v9, vcc, s20, v9
	v_mul_f32_e32 v20, v1, v7
	v_addc_co_u32_e32 v10, vcc, v2, v10, vcc
	global_store_dwordx4 v[9:10], v[20:23], off
	v_cvt_f32_f16_sdwa v2, v44 dst_sel:DWORD dst_unused:UNUSED_PAD src0_sel:WORD_1
	v_cvt_f32_f16_e32 v7, v44
	v_cvt_f32_f16_sdwa v9, v43 dst_sel:DWORD dst_unused:UNUSED_PAD src0_sel:WORD_1
	v_cvt_f32_f16_e32 v10, v43
	v_add_u32_e32 v5, 0x80, v5
	v_mul_f32_e32 v23, v1, v2
	v_mul_f32_e32 v22, v1, v7
	;; [unrolled: 1-line block ×4, first 2 shown]
	v_lshlrev_b64 v[1:2], 2, v[5:6]
	v_mov_b32_e32 v5, s21
	v_add_co_u32_e32 v1, vcc, s20, v1
	v_addc_co_u32_e32 v2, vcc, v5, v2, vcc
	global_store_dwordx4 v[1:2], v[20:23], off
	s_and_saveexec_b64 s[8:9], s[4:5]
	s_cbranch_execz .LBB65_44
; %bb.43:
	v_ashrrev_i32_e32 v1, 31, v0
	v_lshlrev_b64 v[0:1], 3, v[0:1]
	v_mov_b32_e32 v2, s23
	v_add_co_u32_e32 v0, vcc, s22, v0
	v_addc_co_u32_e32 v1, vcc, v2, v1, vcc
	v_mov_b32_e32 v10, v3
	global_store_dwordx2 v[0:1], v[10:11], off
.LBB65_44:
	s_or_b64 exec, exec, s[8:9]
	v_cmp_gt_i32_e32 vcc, s2, v16
	s_and_b64 exec, exec, vcc
	s_cbranch_execz .LBB65_9
; %bb.45:
	s_and_b64 vcc, exec, s[0:1]
	v_mov_b32_e32 v1, 1.0
	s_cbranch_vccnz .LBB65_47
; %bb.46:
	v_div_scale_f32 v0, s[0:1], v8, v8, 1.0
	v_div_scale_f32 v1, vcc, 1.0, v8, 1.0
	v_rcp_f32_e32 v2, v0
	v_fma_f32 v3, -v0, v2, 1.0
	v_fmac_f32_e32 v2, v3, v2
	v_mul_f32_e32 v3, v1, v2
	v_fma_f32 v5, -v0, v3, v1
	v_fmac_f32_e32 v3, v5, v2
	v_fma_f32 v0, -v0, v3, v1
	v_div_fmas_f32 v0, v0, v2, v3
	v_div_fixup_f32 v1, v0, v8, 1.0
.LBB65_47:
	v_add_u32_e32 v0, s10, v15
	v_mul_lo_u32 v0, v0, s3
	v_cvt_f32_f16_sdwa v2, v41 dst_sel:DWORD dst_unused:UNUSED_PAD src0_sel:WORD_1
	v_cvt_f32_f16_e32 v3, v41
	v_cvt_f32_f16_sdwa v5, v40 dst_sel:DWORD dst_unused:UNUSED_PAD src0_sel:WORD_1
	v_add_u32_e32 v0, s11, v0
	v_mul_lo_u32 v0, s6, v0
	v_cvt_f32_f16_e32 v9, v40
	v_mul_f32_e32 v8, v1, v2
	v_mul_f32_e32 v7, v1, v3
	v_add_u32_e32 v0, s7, v0
	v_lshl_add_u32 v2, v0, 8, v19
	v_mov_b32_e32 v3, 0
	v_mul_f32_e32 v6, v1, v5
	v_mul_f32_e32 v5, v1, v9
	v_lshlrev_b64 v[9:10], 2, v[2:3]
	v_mov_b32_e32 v11, s21
	v_add_co_u32_e32 v9, vcc, s20, v9
	v_addc_co_u32_e32 v10, vcc, v11, v10, vcc
	global_store_dwordx4 v[9:10], v[5:8], off
	v_cvt_f32_f16_sdwa v9, v39 dst_sel:DWORD dst_unused:UNUSED_PAD src0_sel:WORD_1
	v_cvt_f32_f16_sdwa v5, v34 dst_sel:DWORD dst_unused:UNUSED_PAD src0_sel:WORD_1
	v_cvt_f32_f16_e32 v6, v34
	v_cvt_f32_f16_e32 v10, v39
	v_add_u32_e32 v2, 0x80, v2
	v_mul_f32_e32 v8, v1, v5
	v_mul_f32_e32 v7, v1, v6
	;; [unrolled: 1-line block ×4, first 2 shown]
	v_lshlrev_b64 v[1:2], 2, v[2:3]
	v_mov_b32_e32 v3, s21
	v_add_co_u32_e32 v1, vcc, s20, v1
	v_addc_co_u32_e32 v2, vcc, v3, v2, vcc
	global_store_dwordx4 v[1:2], v[5:8], off
	s_and_b64 exec, exec, s[4:5]
	s_cbranch_execz .LBB65_9
; %bb.48:
	v_ashrrev_i32_e32 v1, 31, v0
	v_lshlrev_b64 v[0:1], 3, v[0:1]
	v_mov_b32_e32 v2, s23
	v_add_co_u32_e32 v0, vcc, s22, v0
	v_addc_co_u32_e32 v1, vcc, v2, v1, vcc
	v_mov_b32_e32 v11, v4
	global_store_dwordx2 v[0:1], v[11:12], off
	s_endpgm
	.section	.rodata,"a",@progbits
	.p2align	6, 0x0
	.amdhsa_kernel _ZL15flash_attn_tileILi256ELi256ELi16ELi2ELb1EEvPKcS1_S1_S1_S1_PKiPfP15HIP_vector_typeIfLj2EEffffjfiS5_IjLj3EEiiiiiiiiiiiliiliiiiil
		.amdhsa_group_segment_fixed_size 27136
		.amdhsa_private_segment_fixed_size 0
		.amdhsa_kernarg_size 464
		.amdhsa_user_sgpr_count 6
		.amdhsa_user_sgpr_private_segment_buffer 1
		.amdhsa_user_sgpr_dispatch_ptr 0
		.amdhsa_user_sgpr_queue_ptr 0
		.amdhsa_user_sgpr_kernarg_segment_ptr 1
		.amdhsa_user_sgpr_dispatch_id 0
		.amdhsa_user_sgpr_flat_scratch_init 0
		.amdhsa_user_sgpr_private_segment_size 0
		.amdhsa_uses_dynamic_stack 0
		.amdhsa_system_sgpr_private_segment_wavefront_offset 0
		.amdhsa_system_sgpr_workgroup_id_x 1
		.amdhsa_system_sgpr_workgroup_id_y 1
		.amdhsa_system_sgpr_workgroup_id_z 1
		.amdhsa_system_sgpr_workgroup_info 0
		.amdhsa_system_vgpr_workitem_id 1
		.amdhsa_next_free_vgpr 102
		.amdhsa_next_free_sgpr 98
		.amdhsa_reserve_vcc 1
		.amdhsa_reserve_flat_scratch 0
		.amdhsa_float_round_mode_32 0
		.amdhsa_float_round_mode_16_64 0
		.amdhsa_float_denorm_mode_32 3
		.amdhsa_float_denorm_mode_16_64 3
		.amdhsa_dx10_clamp 1
		.amdhsa_ieee_mode 1
		.amdhsa_fp16_overflow 0
		.amdhsa_exception_fp_ieee_invalid_op 0
		.amdhsa_exception_fp_denorm_src 0
		.amdhsa_exception_fp_ieee_div_zero 0
		.amdhsa_exception_fp_ieee_overflow 0
		.amdhsa_exception_fp_ieee_underflow 0
		.amdhsa_exception_fp_ieee_inexact 0
		.amdhsa_exception_int_div_zero 0
	.end_amdhsa_kernel
	.section	.text._ZL15flash_attn_tileILi256ELi256ELi16ELi2ELb1EEvPKcS1_S1_S1_S1_PKiPfP15HIP_vector_typeIfLj2EEffffjfiS5_IjLj3EEiiiiiiiiiiiliiliiiiil,"axG",@progbits,_ZL15flash_attn_tileILi256ELi256ELi16ELi2ELb1EEvPKcS1_S1_S1_S1_PKiPfP15HIP_vector_typeIfLj2EEffffjfiS5_IjLj3EEiiiiiiiiiiiliiliiiiil,comdat
.Lfunc_end65:
	.size	_ZL15flash_attn_tileILi256ELi256ELi16ELi2ELb1EEvPKcS1_S1_S1_S1_PKiPfP15HIP_vector_typeIfLj2EEffffjfiS5_IjLj3EEiiiiiiiiiiiliiliiiiil, .Lfunc_end65-_ZL15flash_attn_tileILi256ELi256ELi16ELi2ELb1EEvPKcS1_S1_S1_S1_PKiPfP15HIP_vector_typeIfLj2EEffffjfiS5_IjLj3EEiiiiiiiiiiiliiliiiiil
                                        ; -- End function
	.set _ZL15flash_attn_tileILi256ELi256ELi16ELi2ELb1EEvPKcS1_S1_S1_S1_PKiPfP15HIP_vector_typeIfLj2EEffffjfiS5_IjLj3EEiiiiiiiiiiiliiliiiiil.num_vgpr, 102
	.set _ZL15flash_attn_tileILi256ELi256ELi16ELi2ELb1EEvPKcS1_S1_S1_S1_PKiPfP15HIP_vector_typeIfLj2EEffffjfiS5_IjLj3EEiiiiiiiiiiiliiliiiiil.num_agpr, 0
	.set _ZL15flash_attn_tileILi256ELi256ELi16ELi2ELb1EEvPKcS1_S1_S1_S1_PKiPfP15HIP_vector_typeIfLj2EEffffjfiS5_IjLj3EEiiiiiiiiiiiliiliiiiil.numbered_sgpr, 43
	.set _ZL15flash_attn_tileILi256ELi256ELi16ELi2ELb1EEvPKcS1_S1_S1_S1_PKiPfP15HIP_vector_typeIfLj2EEffffjfiS5_IjLj3EEiiiiiiiiiiiliiliiiiil.num_named_barrier, 0
	.set _ZL15flash_attn_tileILi256ELi256ELi16ELi2ELb1EEvPKcS1_S1_S1_S1_PKiPfP15HIP_vector_typeIfLj2EEffffjfiS5_IjLj3EEiiiiiiiiiiiliiliiiiil.private_seg_size, 0
	.set _ZL15flash_attn_tileILi256ELi256ELi16ELi2ELb1EEvPKcS1_S1_S1_S1_PKiPfP15HIP_vector_typeIfLj2EEffffjfiS5_IjLj3EEiiiiiiiiiiiliiliiiiil.uses_vcc, 1
	.set _ZL15flash_attn_tileILi256ELi256ELi16ELi2ELb1EEvPKcS1_S1_S1_S1_PKiPfP15HIP_vector_typeIfLj2EEffffjfiS5_IjLj3EEiiiiiiiiiiiliiliiiiil.uses_flat_scratch, 0
	.set _ZL15flash_attn_tileILi256ELi256ELi16ELi2ELb1EEvPKcS1_S1_S1_S1_PKiPfP15HIP_vector_typeIfLj2EEffffjfiS5_IjLj3EEiiiiiiiiiiiliiliiiiil.has_dyn_sized_stack, 0
	.set _ZL15flash_attn_tileILi256ELi256ELi16ELi2ELb1EEvPKcS1_S1_S1_S1_PKiPfP15HIP_vector_typeIfLj2EEffffjfiS5_IjLj3EEiiiiiiiiiiiliiliiiiil.has_recursion, 0
	.set _ZL15flash_attn_tileILi256ELi256ELi16ELi2ELb1EEvPKcS1_S1_S1_S1_PKiPfP15HIP_vector_typeIfLj2EEffffjfiS5_IjLj3EEiiiiiiiiiiiliiliiiiil.has_indirect_call, 0
	.section	.AMDGPU.csdata,"",@progbits
; Kernel info:
; codeLenInByte = 19496
; TotalNumSgprs: 47
; NumVgprs: 102
; ScratchSize: 0
; MemoryBound: 0
; FloatMode: 240
; IeeeMode: 1
; LDSByteSize: 27136 bytes/workgroup (compile time only)
; SGPRBlocks: 12
; VGPRBlocks: 25
; NumSGPRsForWavesPerEU: 102
; NumVGPRsForWavesPerEU: 102
; Occupancy: 2
; WaveLimiterHint : 1
; COMPUTE_PGM_RSRC2:SCRATCH_EN: 0
; COMPUTE_PGM_RSRC2:USER_SGPR: 6
; COMPUTE_PGM_RSRC2:TRAP_HANDLER: 0
; COMPUTE_PGM_RSRC2:TGID_X_EN: 1
; COMPUTE_PGM_RSRC2:TGID_Y_EN: 1
; COMPUTE_PGM_RSRC2:TGID_Z_EN: 1
; COMPUTE_PGM_RSRC2:TIDIG_COMP_CNT: 1
	.section	.text._ZL15flash_attn_tileILi256ELi256ELi8ELi2ELb1EEvPKcS1_S1_S1_S1_PKiPfP15HIP_vector_typeIfLj2EEffffjfiS5_IjLj3EEiiiiiiiiiiiliiliiiiil,"axG",@progbits,_ZL15flash_attn_tileILi256ELi256ELi8ELi2ELb1EEvPKcS1_S1_S1_S1_PKiPfP15HIP_vector_typeIfLj2EEffffjfiS5_IjLj3EEiiiiiiiiiiiliiliiiiil,comdat
	.globl	_ZL15flash_attn_tileILi256ELi256ELi8ELi2ELb1EEvPKcS1_S1_S1_S1_PKiPfP15HIP_vector_typeIfLj2EEffffjfiS5_IjLj3EEiiiiiiiiiiiliiliiiiil ; -- Begin function _ZL15flash_attn_tileILi256ELi256ELi8ELi2ELb1EEvPKcS1_S1_S1_S1_PKiPfP15HIP_vector_typeIfLj2EEffffjfiS5_IjLj3EEiiiiiiiiiiiliiliiiiil
	.p2align	8
	.type	_ZL15flash_attn_tileILi256ELi256ELi8ELi2ELb1EEvPKcS1_S1_S1_S1_PKiPfP15HIP_vector_typeIfLj2EEffffjfiS5_IjLj3EEiiiiiiiiiiiliiliiiiil,@function
_ZL15flash_attn_tileILi256ELi256ELi8ELi2ELb1EEvPKcS1_S1_S1_S1_PKiPfP15HIP_vector_typeIfLj2EEffffjfiS5_IjLj3EEiiiiiiiiiiiliiliiiiil: ; @_ZL15flash_attn_tileILi256ELi256ELi8ELi2ELb1EEvPKcS1_S1_S1_S1_PKiPfP15HIP_vector_typeIfLj2EEffffjfiS5_IjLj3EEiiiiiiiiiiiliiliiiiil
; %bb.0:
	s_load_dwordx4 s[0:3], s[4:5], 0x5c
	s_load_dwordx2 s[30:31], s[4:5], 0x80
	s_load_dwordx2 s[36:37], s[4:5], 0xb8
	s_mov_b64 s[34:35], 0
	s_waitcnt lgkmcnt(0)
	s_lshr_b32 s9, s3, 31
	s_add_i32 s9, s3, s9
	s_ashr_i32 s9, s9, 1
	v_cvt_f32_u32_e32 v2, s9
	s_sub_i32 s10, 0, s9
	v_rcp_iflag_f32_e32 v2, v2
	v_mul_f32_e32 v2, 0x4f7ffffe, v2
	v_cvt_u32_f32_e32 v2, v2
	v_readfirstlane_b32 s11, v2
	s_mul_i32 s10, s10, s11
	s_mul_hi_u32 s10, s11, s10
	s_add_i32 s11, s11, s10
	s_mul_hi_u32 s10, s8, s11
	s_mul_i32 s11, s10, s9
	s_sub_i32 s11, s8, s11
	s_add_i32 s12, s10, 1
	s_sub_i32 s13, s11, s9
	s_cmp_ge_u32 s11, s9
	s_cselect_b32 s10, s12, s10
	s_cselect_b32 s11, s13, s11
	s_add_i32 s12, s10, 1
	s_cmp_ge_u32 s11, s9
	s_cselect_b32 s33, s12, s10
	s_abs_i32 s9, s31
	v_cvt_f32_u32_e32 v2, s9
	s_lshl_b32 s8, s8, 1
	s_mul_i32 s12, s33, s3
	s_sub_i32 s13, 0, s9
	v_rcp_iflag_f32_e32 v2, v2
	s_sub_i32 s28, s8, s12
	s_abs_i32 s11, s3
	s_xor_b32 s10, s3, s31
	v_mul_f32_e32 v2, 0x4f7ffffe, v2
	v_cvt_u32_f32_e32 v2, v2
	s_ashr_i32 s10, s10, 31
	v_readfirstlane_b32 s8, v2
	s_mul_i32 s13, s13, s8
	s_mul_hi_u32 s12, s8, s13
	s_add_i32 s8, s8, s12
	s_mul_hi_u32 s8, s11, s8
	s_mul_i32 s12, s8, s9
	s_sub_i32 s11, s11, s12
	s_add_i32 s13, s8, 1
	s_sub_i32 s12, s11, s9
	s_cmp_ge_u32 s11, s9
	s_cselect_b32 s8, s13, s8
	s_cselect_b32 s11, s12, s11
	s_add_i32 s12, s8, 1
	s_cmp_ge_u32 s11, s9
	s_cselect_b32 s8, s12, s8
	s_xor_b32 s8, s8, s10
	s_sub_i32 s31, s8, s10
	s_abs_i32 s29, s31
	v_cvt_f32_u32_e32 v2, s29
	s_load_dwordx16 s[8:23], s[4:5], 0x0
	v_rcp_iflag_f32_e32 v2, v2
	s_waitcnt lgkmcnt(0)
	s_cmp_eq_u64 s[14:15], 0
	v_mul_f32_e32 v2, 0x4f7ffffe, v2
	v_cvt_u32_f32_e32 v2, v2
	v_readfirstlane_b32 s38, v2
	s_cbranch_scc1 .LBB66_2
; %bb.1:
	s_abs_i32 s26, s36
	v_cvt_f32_u32_e32 v2, s26
	s_sub_i32 s35, 0, s26
	s_abs_i32 s34, s33
	s_ashr_i32 s27, s33, 31
	v_rcp_iflag_f32_e32 v2, v2
	s_load_dwordx2 s[24:25], s[4:5], 0xc8
	v_mul_f32_e32 v2, 0x4f7ffffe, v2
	v_cvt_u32_f32_e32 v2, v2
	v_readfirstlane_b32 s36, v2
	s_mul_i32 s35, s35, s36
	s_mul_hi_u32 s35, s36, s35
	s_add_i32 s36, s36, s35
	s_mul_hi_u32 s35, s34, s36
	s_mul_i32 s35, s35, s26
	s_sub_i32 s34, s34, s35
	s_sub_i32 s35, s34, s26
	s_cmp_ge_u32 s34, s26
	s_cselect_b32 s34, s35, s34
	s_sub_i32 s35, s34, s26
	s_cmp_ge_u32 s34, s26
	s_cselect_b32 s26, s35, s34
	s_xor_b32 s26, s26, s27
	s_sub_i32 s26, s26, s27
	s_ashr_i32 s27, s26, 31
	s_waitcnt lgkmcnt(0)
	s_mul_hi_u32 s34, s24, s26
	s_mul_i32 s27, s24, s27
	s_mul_i32 s25, s25, s26
	s_add_i32 s27, s34, s27
	s_add_i32 s27, s27, s25
	s_mul_i32 s24, s24, s26
	s_add_u32 s34, s14, s24
	s_addc_u32 s35, s15, s27
.LBB66_2:
	s_load_dwordx4 s[24:27], s[4:5], 0x70
	v_lshl_add_u32 v16, s6, 3, v1
	v_mul_hi_u32 v2, s0, v16
	v_mov_b32_e32 v15, 0x2200
	v_lshl_add_u32 v19, v1, 10, v15
	s_waitcnt lgkmcnt(0)
	s_mul_i32 s0, s33, s26
	v_add_u32_e32 v2, v16, v2
	s_ashr_i32 s15, s0, 31
	v_lshrrev_b32_e32 v2, s1, v2
	s_mul_i32 s14, s28, s25
	s_add_u32 s0, s8, s0
	v_mul_lo_u32 v2, v2, s2
	s_addc_u32 s8, s9, s15
	s_ashr_i32 s1, s14, 31
	s_add_u32 s14, s0, s14
	s_addc_u32 s15, s8, s1
	s_ashr_i32 s1, s24, 31
	s_mov_b32 s0, s24
	v_sub_u32_e32 v2, v16, v2
	s_lshr_b64 s[8:9], s[0:1], 2
	v_mad_u64_u32 v[3:4], s[8:9], s8, v2, 0
	s_lshr_b32 s0, s1, 2
	v_mad_u64_u32 v[4:5], s[0:1], s0, v2, v[4:5]
	v_mov_b32_e32 v5, s15
	s_ashr_i32 s0, s25, 31
	v_lshlrev_b64 v[3:4], 2, v[3:4]
	s_and_b32 s1, s25, -4
	v_add_co_u32_e32 v3, vcc, s14, v3
	v_addc_co_u32_e32 v4, vcc, v5, v4, vcc
	v_lshlrev_b32_e32 v5, 4, v0
	v_add_co_u32_e32 v11, vcc, v3, v5
	v_addc_co_u32_e32 v12, vcc, 0, v4, vcc
	v_mov_b32_e32 v13, s0
	v_add_co_u32_e32 v17, vcc, s1, v11
	global_load_dwordx4 v[3:6], v[11:12], off
	global_load_dwordx4 v[7:10], v[11:12], off offset:512
	v_addc_co_u32_e32 v18, vcc, v12, v13, vcc
	global_load_dwordx4 v[11:14], v[17:18], off
	global_load_dwordx4 v[20:23], v[17:18], off offset:512
	s_load_dword s0, s[4:5], 0x40
	v_lshlrev_b32_e32 v18, 3, v0
	v_add_u32_e32 v15, v19, v18
	s_cmp_eq_u64 s[18:19], 0
	s_waitcnt vmcnt(3) lgkmcnt(0)
	v_fma_mixlo_f16 v3, s0, v3, 0
	v_fma_mixlo_f16 v4, s0, v4, 0
	;; [unrolled: 1-line block ×4, first 2 shown]
	s_waitcnt vmcnt(2)
	v_fma_mixlo_f16 v7, s0, v7, 0
	v_fma_mixlo_f16 v8, s0, v8, 0
	;; [unrolled: 1-line block ×4, first 2 shown]
	v_lshlrev_b32_e32 v4, 16, v4
	v_and_b32_e32 v3, 0xffff, v3
	v_lshlrev_b32_e32 v6, 16, v6
	v_and_b32_e32 v5, 0xffff, v5
	;; [unrolled: 2-line block ×4, first 2 shown]
	s_waitcnt vmcnt(1)
	v_fma_mixlo_f16 v11, s0, v11, 0
	v_fma_mixlo_f16 v12, s0, v12, 0
	;; [unrolled: 1-line block ×4, first 2 shown]
	s_waitcnt vmcnt(0)
	v_fma_mixlo_f16 v17, s0, v20, 0
	v_fma_mixlo_f16 v20, s0, v21, 0
	;; [unrolled: 1-line block ×4, first 2 shown]
	v_or_b32_e32 v3, v4, v3
	v_or3_b32 v4, v6, v5, 0
	v_or_b32_e32 v5, v8, v7
	v_or3_b32 v6, v10, v9, 0
	v_lshlrev_b32_e32 v7, 16, v12
	v_and_b32_e32 v8, 0xffff, v11
	v_lshlrev_b32_e32 v9, 16, v14
	v_and_b32_e32 v10, 0xffff, v13
	;; [unrolled: 2-line block ×4, first 2 shown]
	v_or3_b32 v3, 0, 0, v3
	v_or3_b32 v5, 0, 0, v5
	v_or_b32_e32 v8, v7, v8
	v_or3_b32 v7, v9, v10, 0
	v_or_b32_e32 v10, v11, v12
	v_or3_b32 v9, v13, v14, 0
	ds_write2_b64 v15, v[3:4], v[5:6] offset1:32
	v_or3_b32 v6, 0, 0, v8
	v_or3_b32 v8, 0, 0, v10
	ds_write2_b64 v15, v[6:7], v[8:9] offset0:64 offset1:96
	s_waitcnt lgkmcnt(0)
	s_barrier
	s_cbranch_scc1 .LBB66_4
; %bb.3:
	s_load_dword s0, s[4:5], 0xd0
	s_mov_b32 s1, 0
	s_waitcnt lgkmcnt(0)
	s_mul_i32 s0, s0, s33
	s_add_i32 s0, s0, s6
	s_lshl_b64 s[0:1], s[0:1], 2
	s_add_u32 s0, s18, s0
	s_addc_u32 s1, s19, s1
	s_load_dword s30, s[0:1], 0x0
.LBB66_4:
	s_lshl_b32 s6, s7, 5
	v_lshlrev_b32_e32 v17, 2, v0
	s_waitcnt lgkmcnt(0)
	s_cmp_lt_i32 s6, s30
	v_mbcnt_lo_u32_b32 v3, -1, 0
	s_cbranch_scc1 .LBB66_10
; %bb.5:
	v_mbcnt_hi_u32_b32 v20, -1, v3
	v_and_b32_e32 v4, 0x60, v20
	v_add_u32_e32 v46, 32, v4
	v_xor_b32_e32 v47, 16, v20
	v_xor_b32_e32 v48, 8, v20
	;; [unrolled: 1-line block ×5, first 2 shown]
	s_cbranch_execz .LBB66_11
; %bb.6:
	v_mov_b32_e32 v35, 0
	v_mov_b32_e32 v53, 0
	;; [unrolled: 1-line block ×12, first 2 shown]
.LBB66_7:
	v_cmp_lt_i32_e32 vcc, v47, v46
	v_cndmask_b32_e32 v1, v20, v47, vcc
	v_lshlrev_b32_e32 v1, 2, v1
	ds_bpermute_b32 v2, v1, v52
	ds_bpermute_b32 v1, v1, v53
	v_cmp_lt_i32_e32 vcc, v48, v46
	v_cndmask_b32_e32 v3, v20, v48, vcc
	v_lshlrev_b32_e32 v3, 2, v3
	s_waitcnt lgkmcnt(1)
	v_add_f32_e32 v2, v52, v2
	s_waitcnt lgkmcnt(0)
	v_add_f32_e32 v1, v53, v1
	ds_bpermute_b32 v4, v3, v2
	ds_bpermute_b32 v3, v3, v1
	v_cmp_lt_i32_e32 vcc, v49, v46
	v_cndmask_b32_e32 v5, v20, v49, vcc
	v_lshlrev_b32_e32 v5, 2, v5
	s_waitcnt lgkmcnt(1)
	v_add_f32_e32 v2, v2, v4
	s_waitcnt lgkmcnt(0)
	v_add_f32_e32 v1, v1, v3
	;; [unrolled: 9-line block ×4, first 2 shown]
	ds_bpermute_b32 v4, v5, v2
	ds_bpermute_b32 v5, v5, v3
	s_cmp_lg_u64 s[16:17], 0
	s_cselect_b64 s[0:1], -1, 0
	s_cmp_eq_u32 s7, 0
	s_cselect_b64 s[8:9], -1, 0
	s_and_b64 s[0:1], s[8:9], s[0:1]
	s_waitcnt lgkmcnt(1)
	v_add_f32_e32 v1, v2, v4
	s_waitcnt lgkmcnt(0)
	v_add_f32_e32 v2, v3, v5
	s_and_b64 vcc, exec, s[0:1]
	s_cbranch_vccz .LBB66_22
; %bb.8:
	s_ashr_i32 s29, s28, 31
	s_lshl_b64 s[0:1], s[28:29], 2
	s_add_u32 s0, s16, s0
	s_addc_u32 s1, s17, s1
	v_mov_b32_e32 v3, 0
	global_load_dwordx2 v[3:4], v3, s[0:1]
	v_max_f32_e32 v5, v14, v14
	v_max_f32_e32 v6, v15, v15
	s_mov_b32 s0, 0x3fb8aa3b
	s_mov_b32 s1, 0xc2ce8ed0
	s_mov_b32 s6, 0x42b17218
	v_mov_b32_e32 v7, 0x7f800000
	s_waitcnt vmcnt(0)
	v_max_f32_e32 v8, v3, v3
	v_max_f32_e32 v9, v4, v4
	;; [unrolled: 1-line block ×4, first 2 shown]
	v_sub_f32_e32 v8, v14, v5
	v_sub_f32_e32 v9, v15, v6
	v_mov_b32_e32 v15, v6
	v_sub_f32_e32 v3, v3, v5
	v_mov_b32_e32 v14, v5
	v_mul_f32_e32 v5, 0x3fb8aa3b, v8
	v_sub_f32_e32 v4, v4, v6
	v_mul_f32_e32 v6, 0x3fb8aa3b, v3
	v_fma_f32 v12, v8, s0, -v5
	v_rndne_f32_e32 v13, v5
	v_mul_f32_e32 v10, 0x3fb8aa3b, v9
	v_fma_f32 v18, v3, s0, -v6
	v_rndne_f32_e32 v19, v6
	v_fmac_f32_e32 v12, 0x32a5705f, v8
	v_sub_f32_e32 v5, v5, v13
	v_mul_f32_e32 v11, 0x3fb8aa3b, v4
	v_fma_f32 v20, v9, s0, -v10
	v_rndne_f32_e32 v21, v10
	v_fmac_f32_e32 v18, 0x32a5705f, v3
	v_sub_f32_e32 v6, v6, v19
	v_add_f32_e32 v5, v5, v12
	v_fma_f32 v22, v4, s0, -v11
	v_rndne_f32_e32 v23, v11
	v_cvt_i32_f32_e32 v13, v13
	v_fmac_f32_e32 v20, 0x32a5705f, v9
	v_sub_f32_e32 v10, v10, v21
	v_add_f32_e32 v6, v6, v18
	v_exp_f32_e32 v5, v5
	v_cvt_i32_f32_e32 v19, v19
	v_fmac_f32_e32 v22, 0x32a5705f, v4
	v_sub_f32_e32 v11, v11, v23
	v_add_f32_e32 v10, v10, v20
	v_exp_f32_e32 v6, v6
	v_cvt_i32_f32_e32 v21, v21
	v_add_f32_e32 v11, v11, v22
	v_exp_f32_e32 v10, v10
	v_cvt_i32_f32_e32 v23, v23
	v_exp_f32_e32 v11, v11
	v_ldexp_f32 v5, v5, v13
	v_cmp_ngt_f32_e32 vcc, s1, v8
	v_ldexp_f32 v6, v6, v19
	v_cndmask_b32_e32 v5, 0, v5, vcc
	v_cmp_ngt_f32_e32 vcc, s1, v3
	v_ldexp_f32 v10, v10, v21
	v_cndmask_b32_e32 v6, 0, v6, vcc
	;; [unrolled: 3-line block ×3, first 2 shown]
	v_cmp_ngt_f32_e32 vcc, s1, v4
	v_cndmask_b32_e32 v11, 0, v11, vcc
	v_cmp_nlt_f32_e32 vcc, s6, v8
	v_cndmask_b32_e32 v5, v7, v5, vcc
	v_cmp_nlt_f32_e32 vcc, s6, v3
	;; [unrolled: 2-line block ×4, first 2 shown]
	v_cndmask_b32_e32 v4, v7, v11, vcc
	v_fmac_f32_e32 v3, v1, v5
	v_cvt_f16_f32_e32 v5, v5
	v_cvt_f16_f32_e32 v7, v6
	v_fmac_f32_e32 v4, v2, v6
	v_mov_b32_e32 v1, v3
	v_mul_u32_u24_e32 v2, 0x10001, v5
	v_mul_u32_u24_e32 v5, 0x10001, v7
	v_pk_mul_f16 v35, v35, v2
	v_pk_mul_f16 v41, v41, v2
	;; [unrolled: 1-line block ×8, first 2 shown]
	v_mov_b32_e32 v2, v4
	v_cmp_gt_i32_e32 vcc, s2, v16
	s_and_saveexec_b64 s[0:1], vcc
	s_cbranch_execnz .LBB66_23
.LBB66_9:
	s_endpgm
.LBB66_10:
                                        ; implicit-def: $vgpr20
                                        ; implicit-def: $vgpr46
                                        ; implicit-def: $vgpr47
                                        ; implicit-def: $vgpr48
                                        ; implicit-def: $vgpr49
                                        ; implicit-def: $vgpr50
                                        ; implicit-def: $vgpr51
.LBB66_11:
	s_sub_i32 s0, 0, s29
	s_mul_i32 s0, s0, s38
	s_mul_hi_u32 s0, s38, s0
	s_add_i32 s38, s38, s0
	s_load_dwordx4 s[24:27], s[4:5], 0x98
	s_load_dword s14, s[4:5], 0x54
	s_load_dwordx2 s[0:1], s[4:5], 0x8c
	s_abs_i32 s19, s28
	s_mul_hi_u32 s36, s19, s38
	s_waitcnt lgkmcnt(0)
	s_ashr_i32 s15, s26, 2
	s_ashr_i32 s26, s37, 1
	;; [unrolled: 1-line block ×4, first 2 shown]
	s_mul_hi_u32 s37, s24, s33
	s_mul_i32 s39, s24, s0
	s_add_i32 s37, s37, s39
	s_mul_i32 s25, s25, s33
	s_ashr_i32 s38, s28, 31
	s_ashr_i32 s31, s31, 31
	s_add_i32 s37, s37, s25
	s_mul_i32 s24, s24, s33
	s_add_u32 s10, s10, s24
	s_mul_i32 s25, s36, s29
	s_addc_u32 s11, s11, s37
	s_sub_i32 s19, s19, s25
	s_xor_b32 s24, s38, s31
	s_add_i32 s25, s36, 1
	s_sub_i32 s31, s19, s29
	s_cmp_ge_u32 s19, s29
	s_cselect_b32 s25, s25, s36
	s_cselect_b32 s19, s31, s19
	s_add_i32 s31, s25, 1
	s_cmp_ge_u32 s19, s29
	s_load_dwordx2 s[8:9], s[4:5], 0xa8
	s_cselect_b32 s19, s31, s25
	s_xor_b32 s19, s19, s24
	s_sub_i32 s19, s19, s24
	s_mul_i32 s1, s19, s1
	s_ashr_i32 s24, s1, 31
	s_add_u32 s10, s10, s1
	s_waitcnt lgkmcnt(0)
	s_mul_hi_u32 s1, s8, s33
	s_mul_i32 s0, s8, s0
	s_addc_u32 s11, s11, s24
	s_add_i32 s0, s1, s0
	s_mul_i32 s1, s9, s33
	s_add_i32 s0, s0, s1
	s_mul_i32 s1, s8, s33
	v_lshrrev_b32_e32 v4, 4, v0
	s_add_u32 s1, s12, s1
	s_mul_i32 s19, s19, s27
	v_lshl_add_u32 v4, v1, 1, v4
	s_addc_u32 s0, s13, s0
	s_ashr_i32 s8, s19, 31
	v_mul_lo_u32 v7, s18, v4
	v_mul_lo_u32 v11, s15, v1
	s_add_u32 s12, s1, s19
	v_and_b32_e32 v13, 60, v17
	s_addc_u32 s13, s0, s8
	v_lshlrev_b32_e32 v5, 2, v13
	s_movk_i32 s0, 0x110
	v_mad_u32_u24 v21, v4, s0, v5
	v_mad_u64_u32 v[5:6], s[0:1], v2, s26, v[0:1]
	v_mov_b32_e32 v2, 0x4200
	v_lshlrev_b32_e32 v25, 2, v17
	v_lshl_add_u32 v9, s18, 4, v7
	v_lshl_add_u32 v24, v1, 7, v2
	;; [unrolled: 1-line block ×4, first 2 shown]
	v_ashrrev_i32_e32 v8, 31, v7
	v_ashrrev_i32_e32 v10, 31, v9
	;; [unrolled: 1-line block ×4, first 2 shown]
	s_add_u32 s0, s4, 0xd0
	v_lshlrev_b64 v[6:7], 2, v[7:8]
	v_lshlrev_b32_e32 v28, 2, v13
	v_lshlrev_b64 v[8:9], 2, v[9:10]
	v_lshlrev_b64 v[10:11], 2, v[11:12]
	;; [unrolled: 1-line block ×3, first 2 shown]
	v_mov_b32_e32 v36, 0
	v_add_u32_e32 v22, 0x1100, v21
	v_mul_u32_u24_e32 v23, 0x110, v0
	v_add_u32_e32 v27, 0x1000, v26
	s_addc_u32 s1, s5, 0
	v_mov_b32_e32 v44, 0xfeffffff
	v_mov_b32_e32 v29, s35
	s_mov_b32 s19, 0x3f200000
	s_mov_b32 s24, 0x3fb8aa3b
	;; [unrolled: 1-line block ×4, first 2 shown]
	v_mov_b32_e32 v30, 0xbd5c1c4e
	v_mov_b32_e32 v31, 0x3e088382
	;; [unrolled: 1-line block ×3, first 2 shown]
	s_brev_b32 s27, -2
	s_mov_b32 s29, 0x10001
	v_mov_b32_e32 v33, 0x7f800000
	v_mbcnt_hi_u32_b32 v20, -1, v3
	v_mov_b32_e32 v37, 0
	v_mov_b32_e32 v38, 0
	;; [unrolled: 1-line block ×10, first 2 shown]
.LBB66_12:                              ; =>This Inner Loop Header: Depth=1
	s_mul_hi_i32 s9, s6, s18
	s_mul_i32 s8, s6, s18
	s_lshl_b64 s[8:9], s[8:9], 2
	s_add_u32 s8, s10, s8
	s_addc_u32 s9, s11, s9
	v_mov_b32_e32 v1, s9
	v_add_co_u32_e32 v2, vcc, s8, v6
	v_addc_co_u32_e32 v3, vcc, v1, v7, vcc
	v_add_co_u32_e32 v1, vcc, v2, v28
	v_addc_co_u32_e32 v2, vcc, 0, v3, vcc
	v_mov_b32_e32 v3, s9
	v_add_co_u32_e32 v4, vcc, s8, v8
	v_addc_co_u32_e32 v14, vcc, v3, v9, vcc
	v_add_co_u32_e32 v3, vcc, v4, v28
	v_addc_co_u32_e32 v4, vcc, 0, v14, vcc
	global_load_dwordx4 v[46:49], v[1:2], off
	global_load_dwordx4 v[50:53], v[3:4], off
	v_mov_b32_e32 v14, 0
	v_mov_b32_e32 v15, 0
	s_waitcnt vmcnt(1)
	ds_write_b128 v21, v[46:49]
	s_waitcnt vmcnt(0)
	ds_write_b128 v22, v[50:53]
	s_waitcnt lgkmcnt(0)
	s_barrier
	ds_read_b128 v[46:49], v23
	ds_read_b128 v[50:53], v19
	ds_read_b128 v[54:57], v19 offset:512
	s_waitcnt lgkmcnt(1)
	;;#ASMSTART
	v_dot2_f32_f16 v14, v46, v50, v14
	;;#ASMEND
	;;#ASMSTART
	v_dot2_f32_f16 v14, v47, v51, v14
	;;#ASMEND
	;;#ASMSTART
	v_dot2_f32_f16 v14, v48, v52, v14
	;;#ASMEND
	;;#ASMSTART
	v_dot2_f32_f16 v14, v49, v53, v14
	;;#ASMEND
	s_waitcnt lgkmcnt(0)
	;;#ASMSTART
	v_dot2_f32_f16 v15, v46, v54, v15
	;;#ASMEND
	;;#ASMSTART
	v_dot2_f32_f16 v15, v47, v55, v15
	;;#ASMEND
	;;#ASMSTART
	v_dot2_f32_f16 v15, v48, v56, v15
	;;#ASMEND
	;;#ASMSTART
	v_dot2_f32_f16 v15, v49, v57, v15
	;;#ASMEND
	ds_read_b128 v[46:49], v23 offset:16
	ds_read_b128 v[50:53], v19 offset:16
	ds_read_b128 v[54:57], v19 offset:528
	s_waitcnt lgkmcnt(1)
	;;#ASMSTART
	v_dot2_f32_f16 v14, v46, v50, v14
	;;#ASMEND
	;;#ASMSTART
	v_dot2_f32_f16 v14, v47, v51, v14
	;;#ASMEND
	;;#ASMSTART
	v_dot2_f32_f16 v14, v48, v52, v14
	;;#ASMEND
	;;#ASMSTART
	v_dot2_f32_f16 v14, v49, v53, v14
	;;#ASMEND
	s_waitcnt lgkmcnt(0)
	;;#ASMSTART
	v_dot2_f32_f16 v15, v46, v54, v15
	;;#ASMEND
	;;#ASMSTART
	v_dot2_f32_f16 v15, v47, v55, v15
	;;#ASMEND
	;;#ASMSTART
	v_dot2_f32_f16 v15, v48, v56, v15
	;;#ASMEND
	;;#ASMSTART
	v_dot2_f32_f16 v15, v49, v57, v15
	;;#ASMEND
	ds_read_b128 v[46:49], v23 offset:32
	ds_read_b128 v[50:53], v19 offset:32
	;; [unrolled: 29-line block ×15, first 2 shown]
	ds_read_b128 v[54:57], v19 offset:752
	s_waitcnt lgkmcnt(1)
	;;#ASMSTART
	v_dot2_f32_f16 v14, v46, v50, v14
	;;#ASMEND
	;;#ASMSTART
	v_dot2_f32_f16 v14, v47, v51, v14
	;;#ASMEND
	;; [unrolled: 3-line block ×4, first 2 shown]
	s_waitcnt lgkmcnt(0)
	;;#ASMSTART
	v_dot2_f32_f16 v15, v46, v54, v15
	;;#ASMEND
	;;#ASMSTART
	v_dot2_f32_f16 v15, v47, v55, v15
	;;#ASMEND
	;; [unrolled: 3-line block ×4, first 2 shown]
	s_barrier
	global_load_dwordx4 v[46:49], v[1:2], off offset:256
	global_load_dwordx4 v[50:53], v[3:4], off offset:256
	s_waitcnt vmcnt(1)
	ds_write_b128 v21, v[46:49]
	s_waitcnt vmcnt(0)
	ds_write_b128 v22, v[50:53]
	s_waitcnt lgkmcnt(0)
	s_barrier
	ds_read_b128 v[1:4], v23
	ds_read_b128 v[46:49], v19 offset:256
	ds_read_b128 v[50:53], v19 offset:768
	s_waitcnt lgkmcnt(1)
	;;#ASMSTART
	v_dot2_f32_f16 v14, v1, v46, v14
	;;#ASMEND
	;;#ASMSTART
	v_dot2_f32_f16 v14, v2, v47, v14
	;;#ASMEND
	;;#ASMSTART
	v_dot2_f32_f16 v14, v3, v48, v14
	;;#ASMEND
	;;#ASMSTART
	v_dot2_f32_f16 v14, v4, v49, v14
	;;#ASMEND
	s_waitcnt lgkmcnt(0)
	;;#ASMSTART
	v_dot2_f32_f16 v15, v1, v50, v15
	;;#ASMEND
	;;#ASMSTART
	v_dot2_f32_f16 v15, v2, v51, v15
	;;#ASMEND
	;;#ASMSTART
	v_dot2_f32_f16 v15, v3, v52, v15
	;;#ASMEND
	;;#ASMSTART
	v_dot2_f32_f16 v15, v4, v53, v15
	;;#ASMEND
	ds_read_b128 v[1:4], v23 offset:16
	ds_read_b128 v[46:49], v19 offset:272
	ds_read_b128 v[50:53], v19 offset:784
	s_waitcnt lgkmcnt(1)
	;;#ASMSTART
	v_dot2_f32_f16 v14, v1, v46, v14
	;;#ASMEND
	;;#ASMSTART
	v_dot2_f32_f16 v14, v2, v47, v14
	;;#ASMEND
	;;#ASMSTART
	v_dot2_f32_f16 v14, v3, v48, v14
	;;#ASMEND
	;;#ASMSTART
	v_dot2_f32_f16 v14, v4, v49, v14
	;;#ASMEND
	s_waitcnt lgkmcnt(0)
	;;#ASMSTART
	v_dot2_f32_f16 v15, v1, v50, v15
	;;#ASMEND
	;;#ASMSTART
	v_dot2_f32_f16 v15, v2, v51, v15
	;;#ASMEND
	;;#ASMSTART
	v_dot2_f32_f16 v15, v3, v52, v15
	;;#ASMEND
	;;#ASMSTART
	v_dot2_f32_f16 v15, v4, v53, v15
	;;#ASMEND
	ds_read_b128 v[1:4], v23 offset:32
	;; [unrolled: 29-line block ×14, first 2 shown]
	ds_read_b128 v[46:49], v19 offset:480
	v_add_u32_e32 v50, s6, v5
	v_ashrrev_i32_e32 v51, 31, v50
	v_lshlrev_b64 v[54:55], 1, v[50:51]
	ds_read_b128 v[50:53], v19 offset:992
	s_waitcnt lgkmcnt(1)
	;;#ASMSTART
	v_dot2_f32_f16 v14, v1, v46, v14
	;;#ASMEND
	;;#ASMSTART
	v_dot2_f32_f16 v14, v2, v47, v14
	;;#ASMEND
	;; [unrolled: 3-line block ×4, first 2 shown]
	s_waitcnt lgkmcnt(0)
	;;#ASMSTART
	v_dot2_f32_f16 v15, v1, v50, v15
	;;#ASMEND
	;;#ASMSTART
	v_dot2_f32_f16 v15, v2, v51, v15
	;;#ASMEND
	;; [unrolled: 3-line block ×4, first 2 shown]
	ds_read_b128 v[1:4], v23 offset:240
	ds_read_b128 v[46:49], v19 offset:496
	;; [unrolled: 1-line block ×3, first 2 shown]
	s_waitcnt lgkmcnt(1)
	;;#ASMSTART
	v_dot2_f32_f16 v14, v1, v46, v14
	;;#ASMEND
	;;#ASMSTART
	v_dot2_f32_f16 v14, v2, v47, v14
	;;#ASMEND
	;;#ASMSTART
	v_dot2_f32_f16 v14, v3, v48, v14
	;;#ASMEND
	;;#ASMSTART
	v_dot2_f32_f16 v14, v4, v49, v14
	;;#ASMEND
	s_waitcnt lgkmcnt(0)
	;;#ASMSTART
	v_dot2_f32_f16 v15, v1, v50, v15
	;;#ASMEND
	v_add_co_u32_e32 v54, vcc, s34, v54
	;;#ASMSTART
	v_dot2_f32_f16 v15, v2, v51, v15
	;;#ASMEND
	v_addc_co_u32_e32 v55, vcc, v29, v55, vcc
	;;#ASMSTART
	v_dot2_f32_f16 v15, v3, v52, v15
	;;#ASMEND
	;;#ASMSTART
	v_dot2_f32_f16 v15, v4, v53, v15
	;;#ASMEND
	global_load_ushort v1, v[54:55], off
	v_cmp_nlt_f32_e64 s[8:9], |v14|, s19
                                        ; implicit-def: $vgpr2
	s_and_saveexec_b64 s[36:37], s[8:9]
	s_xor_b64 s[8:9], exec, s[36:37]
	s_cbranch_execz .LBB66_14
; %bb.13:                               ;   in Loop: Header=BB66_12 Depth=1
	v_add_f32_e64 v2, |v14|, |v14|
	v_mul_f32_e32 v3, 0x3fb8aa3b, v2
	v_rndne_f32_e32 v4, v3
	v_sub_f32_e32 v46, v3, v4
	v_fma_f32 v3, v2, s24, -v3
	v_fmac_f32_e32 v3, 0x32a5705f, v2
	v_add_f32_e32 v3, v46, v3
	v_cvt_i32_f32_e32 v4, v4
	v_exp_f32_e32 v3, v3
	v_cmp_ngt_f32_e32 vcc, s25, v2
	v_ldexp_f32 v3, v3, v4
	v_cndmask_b32_e32 v3, 0, v3, vcc
	v_cmp_nlt_f32_e32 vcc, s26, v2
	v_cndmask_b32_e32 v2, v33, v3, vcc
	v_add_f32_e32 v2, 1.0, v2
	v_rcp_f32_e32 v2, v2
	v_fma_f32 v2, v2, -2.0, 1.0
.LBB66_14:                              ;   in Loop: Header=BB66_12 Depth=1
	s_andn2_saveexec_b64 s[8:9], s[8:9]
; %bb.15:                               ;   in Loop: Header=BB66_12 Depth=1
	v_mul_f32_e32 v2, v14, v14
	v_mov_b32_e32 v3, 0x3ca908c9
	v_fmac_f32_e32 v3, 0xbbbac73d, v2
	v_fma_f32 v3, v2, v3, v30
	v_fma_f32 v3, v2, v3, v31
	;; [unrolled: 1-line block ×3, first 2 shown]
	v_mul_f32_e64 v3, |v14|, v3
	v_fma_f32 v2, v2, v3, |v14|
; %bb.16:                               ;   in Loop: Header=BB66_12 Depth=1
	s_or_b64 exec, exec, s[8:9]
	v_and_b32_e32 v3, 0x60, v20
	v_add_u32_e32 v46, 32, v3
	v_xor_b32_e32 v47, 16, v20
	v_bfi_b32 v2, s27, v2, v14
	v_cmp_lt_i32_e32 vcc, v47, v46
	s_waitcnt vmcnt(0)
	v_fma_mix_f32 v2, s14, v2, v1 op_sel_hi:[0,0,1]
	v_cndmask_b32_e32 v3, v20, v47, vcc
	v_add_f32_e32 v4, 0x40051340, v2
	v_max_f32_e32 v14, v44, v44
	v_lshlrev_b32_e32 v3, 2, v3
	v_max_f32_e32 v14, v14, v4
	ds_bpermute_b32 v49, v3, v14
	v_xor_b32_e32 v48, 8, v20
	v_cmp_lt_i32_e32 vcc, v48, v46
	v_cndmask_b32_e32 v4, v20, v48, vcc
	v_lshlrev_b32_e32 v4, 2, v4
	s_waitcnt lgkmcnt(0)
	v_max_f32_e32 v49, v49, v49
	v_max_f32_e32 v14, v14, v49
	ds_bpermute_b32 v50, v4, v14
	v_xor_b32_e32 v49, 4, v20
	v_cmp_lt_i32_e32 vcc, v49, v46
	v_cndmask_b32_e32 v51, v20, v49, vcc
	v_lshlrev_b32_e32 v52, 2, v51
	s_waitcnt lgkmcnt(0)
	v_max_f32_e32 v50, v50, v50
	;; [unrolled: 8-line block ×4, first 2 shown]
	v_max_f32_e32 v14, v14, v55
	ds_bpermute_b32 v55, v54, v14
	v_cmp_nlt_f32_e64 s[8:9], |v15|, s19
                                        ; implicit-def: $vgpr56
	s_and_saveexec_b64 s[36:37], s[8:9]
	s_xor_b64 s[8:9], exec, s[36:37]
	s_cbranch_execz .LBB66_18
; %bb.17:                               ;   in Loop: Header=BB66_12 Depth=1
	v_add_f32_e64 v56, |v15|, |v15|
	v_mul_f32_e32 v57, 0x3fb8aa3b, v56
	v_rndne_f32_e32 v58, v57
	v_sub_f32_e32 v59, v57, v58
	v_fma_f32 v57, v56, s24, -v57
	v_fmac_f32_e32 v57, 0x32a5705f, v56
	v_add_f32_e32 v57, v59, v57
	v_cvt_i32_f32_e32 v58, v58
	v_exp_f32_e32 v57, v57
	v_cmp_ngt_f32_e32 vcc, s25, v56
	v_ldexp_f32 v57, v57, v58
	v_cndmask_b32_e32 v57, 0, v57, vcc
	v_cmp_nlt_f32_e32 vcc, s26, v56
	v_cndmask_b32_e32 v56, v33, v57, vcc
	v_add_f32_e32 v56, 1.0, v56
	v_rcp_f32_e32 v56, v56
	v_fma_f32 v56, v56, -2.0, 1.0
.LBB66_18:                              ;   in Loop: Header=BB66_12 Depth=1
	s_andn2_saveexec_b64 s[8:9], s[8:9]
; %bb.19:                               ;   in Loop: Header=BB66_12 Depth=1
	v_mul_f32_e32 v56, v15, v15
	v_mov_b32_e32 v57, 0x3ca908c9
	v_fmac_f32_e32 v57, 0xbbbac73d, v56
	v_fma_f32 v57, v56, v57, v30
	v_fma_f32 v57, v56, v57, v31
	;; [unrolled: 1-line block ×3, first 2 shown]
	v_mul_f32_e64 v57, |v15|, v57
	v_fma_f32 v56, v56, v57, |v15|
; %bb.20:                               ;   in Loop: Header=BB66_12 Depth=1
	s_or_b64 exec, exec, s[8:9]
	v_cvt_f32_f16_e32 v1, v1
	v_bfi_b32 v15, s27, v56, v15
	s_waitcnt lgkmcnt(0)
	v_max_f32_e32 v55, v55, v55
	v_max_f32_e32 v14, v14, v14
	v_fmac_f32_e32 v1, s14, v15
	v_max_f32_e32 v14, v14, v55
	v_add_f32_e32 v15, 0x40051340, v1
	v_max_f32_e32 v55, v43, v43
	v_max_f32_e32 v15, v55, v15
	ds_bpermute_b32 v3, v3, v15
	v_sub_f32_e32 v2, v2, v14
	s_mul_hi_i32 s9, s6, s15
	s_mul_i32 s8, s6, s15
	s_lshl_b64 s[8:9], s[8:9], 2
	s_waitcnt lgkmcnt(0)
	v_max_f32_e32 v3, v3, v3
	v_max_f32_e32 v3, v15, v3
	ds_bpermute_b32 v4, v4, v3
	s_add_u32 s8, s12, s8
	s_addc_u32 s9, s13, s9
	s_waitcnt lgkmcnt(0)
	s_barrier
	v_max_f32_e32 v4, v4, v4
	v_max_f32_e32 v3, v3, v4
	ds_bpermute_b32 v4, v52, v3
	s_waitcnt lgkmcnt(0)
	v_max_f32_e32 v4, v4, v4
	v_max_f32_e32 v3, v3, v4
	ds_bpermute_b32 v4, v53, v3
	s_waitcnt lgkmcnt(0)
	;; [unrolled: 4-line block ×3, first 2 shown]
	v_max_f32_e32 v4, v4, v4
	v_max_f32_e32 v15, v3, v4
	v_sub_f32_e32 v3, v44, v14
	v_mul_f32_e32 v4, 0x3fb8aa3b, v3
	v_fma_f32 v44, v3, s24, -v4
	v_rndne_f32_e32 v52, v4
	v_fmac_f32_e32 v44, 0x32a5705f, v3
	v_sub_f32_e32 v4, v4, v52
	v_add_f32_e32 v4, v4, v44
	v_exp_f32_e32 v4, v4
	v_cvt_i32_f32_e32 v44, v52
	v_cmp_ngt_f32_e32 vcc, s25, v3
	v_sub_f32_e32 v1, v1, v15
	v_ldexp_f32 v4, v4, v44
	v_cndmask_b32_e32 v4, 0, v4, vcc
	v_cmp_nlt_f32_e32 vcc, s26, v3
	v_cndmask_b32_e32 v3, v33, v4, vcc
	v_mul_f32_e32 v4, 0x3fb8aa3b, v2
	v_fma_f32 v44, v2, s24, -v4
	v_rndne_f32_e32 v52, v4
	v_fmac_f32_e32 v44, 0x32a5705f, v2
	v_sub_f32_e32 v4, v4, v52
	v_add_f32_e32 v4, v4, v44
	v_exp_f32_e32 v4, v4
	v_cvt_i32_f32_e32 v44, v52
	v_cmp_ngt_f32_e32 vcc, s25, v2
	v_ldexp_f32 v4, v4, v44
	v_cndmask_b32_e32 v4, 0, v4, vcc
	v_cmp_nlt_f32_e32 vcc, s26, v2
	v_cndmask_b32_e32 v52, v33, v4, vcc
	v_cvt_f16_f32_e32 v2, v52
	v_fmac_f32_e32 v52, v45, v3
	v_cvt_f16_f32_e32 v3, v3
	v_mul_u32_u24_e32 v66, 0x10001, v3
	v_sub_f32_e32 v3, v43, v15
	v_mul_f32_e32 v4, 0x3fb8aa3b, v3
	v_pk_mul_f16 v67, v41, v66
	v_pk_mul_f16 v41, v39, v66
	;; [unrolled: 1-line block ×3, first 2 shown]
	v_fma_f32 v40, v3, s24, -v4
	v_rndne_f32_e32 v43, v4
	v_fmac_f32_e32 v40, 0x32a5705f, v3
	v_sub_f32_e32 v4, v4, v43
	v_add_f32_e32 v4, v4, v40
	v_exp_f32_e32 v4, v4
	v_cvt_i32_f32_e32 v40, v43
	v_cmp_ngt_f32_e32 vcc, s25, v3
	v_ldexp_f32 v4, v4, v40
	v_cndmask_b32_e32 v4, 0, v4, vcc
	v_cmp_nlt_f32_e32 vcc, s26, v3
	v_cndmask_b32_e32 v3, v33, v4, vcc
	v_mul_f32_e32 v4, 0x3fb8aa3b, v1
	v_fma_f32 v40, v1, s24, -v4
	v_rndne_f32_e32 v43, v4
	v_fmac_f32_e32 v40, 0x32a5705f, v1
	v_sub_f32_e32 v4, v4, v43
	v_add_f32_e32 v4, v4, v40
	v_exp_f32_e32 v4, v4
	v_cvt_i32_f32_e32 v40, v43
	v_cmp_ngt_f32_e32 vcc, s25, v1
	v_ldexp_f32 v4, v4, v40
	v_cndmask_b32_e32 v4, 0, v4, vcc
	v_cmp_nlt_f32_e32 vcc, s26, v1
	v_cndmask_b32_e32 v53, v33, v4, vcc
	v_cvt_f16_f32_e32 v1, v53
	v_fmac_f32_e32 v53, v42, v3
	v_cvt_f16_f32_e32 v3, v3
	v_pack_b32_f16 v1, v2, v1
	v_mov_b32_e32 v2, s9
	v_mul_u32_u24_e32 v40, 0x10001, v3
	v_add_u32_e32 v3, v24, v17
	ds_write_b32 v3, v1
	v_add_co_u32_e32 v1, vcc, s8, v10
	v_addc_co_u32_e32 v2, vcc, v2, v11, vcc
	v_add_co_u32_e32 v1, vcc, v1, v25
	v_addc_co_u32_e32 v2, vcc, 0, v2, vcc
	global_load_dwordx4 v[1:4], v[1:2], off
	v_pk_mul_f16 v38, v38, v40
	v_pk_mul_f16 v37, v37, v40
	;; [unrolled: 1-line block ×3, first 2 shown]
	s_waitcnt vmcnt(0)
	ds_write_b128 v26, v[1:4]
	v_add_co_u32_e32 v1, vcc, s8, v12
	v_mov_b32_e32 v2, s9
	v_addc_co_u32_e32 v2, vcc, v2, v13, vcc
	v_add_co_u32_e32 v1, vcc, v1, v25
	v_addc_co_u32_e32 v2, vcc, 0, v2, vcc
	global_load_dwordx4 v[1:4], v[1:2], off
	s_or_b32 s8, s6, 16
	s_mul_hi_i32 s9, s8, s15
	s_mul_i32 s8, s8, s15
	s_lshl_b64 s[8:9], s[8:9], 2
	s_add_u32 s8, s12, s8
	s_addc_u32 s9, s13, s9
	s_waitcnt vmcnt(0)
	ds_write_b128 v27, v[1:4]
	s_waitcnt lgkmcnt(0)
	s_barrier
	ds_read2_b64 v[42:45], v18 offset1:32
	ds_read_b128 v[54:57], v24
	ds_read_b128 v[58:61], v24 offset:16
	ds_read_b128 v[62:65], v24 offset:32
	;; [unrolled: 1-line block ×3, first 2 shown]
	s_waitcnt lgkmcnt(3)
	v_mul_u32_u24_sdwa v68, v54, s29 dst_sel:DWORD dst_unused:UNUSED_PAD src0_sel:WORD_0 src1_sel:DWORD
	v_mul_u32_u24_sdwa v54, v54, s29 dst_sel:DWORD dst_unused:UNUSED_PAD src0_sel:WORD_1 src1_sel:DWORD
	v_pk_mul_f16 v69, v42, v68
	v_pk_fma_f16 v66, v35, v66, v69
	v_pk_mul_f16 v35, v42, v54
	v_pk_fma_f16 v40, v34, v40, v35
	v_pk_fma_f16 v42, v43, v68, v67
	;; [unrolled: 1-line block ×6, first 2 shown]
	ds_read2_b64 v[34:37], v18 offset0:64 offset1:96
	v_pk_fma_f16 v39, v45, v68, v39
	v_mul_u32_u24_sdwa v45, v55, s29 dst_sel:DWORD dst_unused:UNUSED_PAD src0_sel:WORD_0 src1_sel:DWORD
	v_mul_u32_u24_sdwa v54, v55, s29 dst_sel:DWORD dst_unused:UNUSED_PAD src0_sel:WORD_1 src1_sel:DWORD
	s_waitcnt lgkmcnt(0)
	v_pk_fma_f16 v55, v34, v45, v66
	v_pk_fma_f16 v40, v34, v54, v40
	;; [unrolled: 1-line block ×8, first 2 shown]
	ds_read2_b64 v[34:37], v18 offset0:128 offset1:160
	v_mul_u32_u24_sdwa v45, v56, s29 dst_sel:DWORD dst_unused:UNUSED_PAD src0_sel:WORD_0 src1_sel:DWORD
	v_mul_u32_u24_sdwa v54, v56, s29 dst_sel:DWORD dst_unused:UNUSED_PAD src0_sel:WORD_1 src1_sel:DWORD
	v_mul_u32_u24_sdwa v56, v58, s29 dst_sel:DWORD dst_unused:UNUSED_PAD src0_sel:WORD_1 src1_sel:DWORD
	s_waitcnt lgkmcnt(0)
	v_pk_fma_f16 v55, v34, v45, v55
	v_pk_fma_f16 v40, v34, v54, v40
	;; [unrolled: 1-line block ×8, first 2 shown]
	ds_read2_b64 v[34:37], v18 offset0:192 offset1:224
	v_mul_u32_u24_sdwa v45, v57, s29 dst_sel:DWORD dst_unused:UNUSED_PAD src0_sel:WORD_0 src1_sel:DWORD
	v_mul_u32_u24_sdwa v54, v57, s29 dst_sel:DWORD dst_unused:UNUSED_PAD src0_sel:WORD_1 src1_sel:DWORD
	s_waitcnt lgkmcnt(0)
	v_pk_fma_f16 v55, v34, v45, v55
	v_pk_fma_f16 v34, v34, v54, v40
	;; [unrolled: 1-line block ×4, first 2 shown]
	v_add_u32_e32 v35, 0x800, v18
	v_pk_fma_f16 v41, v36, v45, v41
	v_pk_fma_f16 v43, v36, v54, v43
	;; [unrolled: 1-line block ×4, first 2 shown]
	ds_read2_b64 v[36:39], v35 offset1:32
	v_mul_u32_u24_sdwa v54, v58, s29 dst_sel:DWORD dst_unused:UNUSED_PAD src0_sel:WORD_0 src1_sel:DWORD
	s_waitcnt lgkmcnt(0)
	v_pk_fma_f16 v55, v36, v54, v55
	v_pk_fma_f16 v34, v36, v56, v34
	;; [unrolled: 1-line block ×8, first 2 shown]
	ds_read2_b64 v[36:39], v35 offset0:64 offset1:96
	v_mul_u32_u24_sdwa v54, v59, s29 dst_sel:DWORD dst_unused:UNUSED_PAD src0_sel:WORD_0 src1_sel:DWORD
	v_mul_u32_u24_sdwa v56, v59, s29 dst_sel:DWORD dst_unused:UNUSED_PAD src0_sel:WORD_1 src1_sel:DWORD
	s_waitcnt lgkmcnt(0)
	v_pk_fma_f16 v55, v36, v54, v55
	v_pk_fma_f16 v34, v36, v56, v34
	;; [unrolled: 1-line block ×8, first 2 shown]
	ds_read2_b64 v[36:39], v35 offset0:128 offset1:160
	v_mul_u32_u24_sdwa v54, v60, s29 dst_sel:DWORD dst_unused:UNUSED_PAD src0_sel:WORD_0 src1_sel:DWORD
	v_mul_u32_u24_sdwa v56, v60, s29 dst_sel:DWORD dst_unused:UNUSED_PAD src0_sel:WORD_1 src1_sel:DWORD
	s_waitcnt lgkmcnt(0)
	v_pk_fma_f16 v55, v36, v54, v55
	v_pk_fma_f16 v34, v36, v56, v34
	v_pk_fma_f16 v40, v37, v54, v40
	v_pk_fma_f16 v42, v37, v56, v42
	v_pk_fma_f16 v41, v38, v54, v41
	v_pk_fma_f16 v43, v38, v56, v43
	v_pk_fma_f16 v45, v39, v54, v45
	v_pk_fma_f16 v44, v39, v56, v44
	ds_read2_b64 v[36:39], v35 offset0:192 offset1:224
	v_mul_u32_u24_sdwa v56, v61, s29 dst_sel:DWORD dst_unused:UNUSED_PAD src0_sel:WORD_1 src1_sel:DWORD
	v_mul_u32_u24_sdwa v54, v61, s29 dst_sel:DWORD dst_unused:UNUSED_PAD src0_sel:WORD_0 src1_sel:DWORD
	s_waitcnt lgkmcnt(0)
	v_pk_fma_f16 v57, v36, v56, v34
	v_add_u32_e32 v34, 0x1000, v18
	v_pk_fma_f16 v55, v36, v54, v55
	v_pk_fma_f16 v40, v37, v54, v40
	v_pk_fma_f16 v42, v37, v56, v42
	v_pk_fma_f16 v41, v38, v54, v41
	v_pk_fma_f16 v43, v38, v56, v43
	v_pk_fma_f16 v45, v39, v54, v45
	v_pk_fma_f16 v44, v39, v56, v44
	ds_read2_b64 v[36:39], v34 offset1:32
	v_mul_u32_u24_sdwa v54, v62, s29 dst_sel:DWORD dst_unused:UNUSED_PAD src0_sel:WORD_0 src1_sel:DWORD
	v_mul_u32_u24_sdwa v56, v62, s29 dst_sel:DWORD dst_unused:UNUSED_PAD src0_sel:WORD_1 src1_sel:DWORD
	s_waitcnt lgkmcnt(0)
	v_pk_fma_f16 v55, v36, v54, v55
	v_pk_fma_f16 v57, v36, v56, v57
	v_pk_fma_f16 v40, v37, v54, v40
	v_pk_fma_f16 v42, v37, v56, v42
	v_pk_fma_f16 v41, v38, v54, v41
	v_pk_fma_f16 v43, v38, v56, v43
	v_pk_fma_f16 v45, v39, v54, v45
	v_pk_fma_f16 v44, v39, v56, v44
	ds_read2_b64 v[36:39], v34 offset0:64 offset1:96
	v_mul_u32_u24_sdwa v54, v63, s29 dst_sel:DWORD dst_unused:UNUSED_PAD src0_sel:WORD_0 src1_sel:DWORD
	v_mul_u32_u24_sdwa v56, v63, s29 dst_sel:DWORD dst_unused:UNUSED_PAD src0_sel:WORD_1 src1_sel:DWORD
	s_waitcnt lgkmcnt(0)
	v_pk_fma_f16 v55, v36, v54, v55
	v_pk_fma_f16 v57, v36, v56, v57
	v_pk_fma_f16 v40, v37, v54, v40
	v_pk_fma_f16 v42, v37, v56, v42
	v_pk_fma_f16 v41, v38, v54, v41
	v_pk_fma_f16 v43, v38, v56, v43
	v_pk_fma_f16 v45, v39, v54, v45
	v_pk_fma_f16 v44, v39, v56, v44
	ds_read2_b64 v[36:39], v34 offset0:128 offset1:160
	;; [unrolled: 12-line block ×3, first 2 shown]
	v_mul_u32_u24_sdwa v54, v65, s29 dst_sel:DWORD dst_unused:UNUSED_PAD src0_sel:WORD_0 src1_sel:DWORD
	v_mul_u32_u24_sdwa v56, v65, s29 dst_sel:DWORD dst_unused:UNUSED_PAD src0_sel:WORD_1 src1_sel:DWORD
	s_waitcnt lgkmcnt(0)
	v_pk_fma_f16 v55, v36, v54, v55
	v_pk_fma_f16 v57, v36, v56, v57
	v_add_u32_e32 v36, 0x1800, v18
	v_pk_fma_f16 v58, v37, v54, v40
	v_pk_fma_f16 v42, v37, v56, v42
	;; [unrolled: 1-line block ×6, first 2 shown]
	ds_read2_b64 v[37:40], v36 offset1:32
	v_mul_u32_u24_sdwa v54, v1, s29 dst_sel:DWORD dst_unused:UNUSED_PAD src0_sel:WORD_0 src1_sel:DWORD
	v_mul_u32_u24_sdwa v1, v1, s29 dst_sel:DWORD dst_unused:UNUSED_PAD src0_sel:WORD_1 src1_sel:DWORD
	s_waitcnt lgkmcnt(0)
	v_pk_fma_f16 v55, v37, v54, v55
	v_pk_fma_f16 v56, v37, v1, v57
	v_pk_fma_f16 v57, v38, v54, v58
	v_pk_fma_f16 v42, v38, v1, v42
	v_pk_fma_f16 v41, v39, v54, v41
	v_pk_fma_f16 v43, v39, v1, v43
	v_pk_fma_f16 v45, v40, v54, v45
	v_pk_fma_f16 v1, v40, v1, v44
	ds_read2_b64 v[37:40], v36 offset0:64 offset1:96
	v_mul_u32_u24_sdwa v44, v2, s29 dst_sel:DWORD dst_unused:UNUSED_PAD src0_sel:WORD_0 src1_sel:DWORD
	v_mul_u32_u24_sdwa v2, v2, s29 dst_sel:DWORD dst_unused:UNUSED_PAD src0_sel:WORD_1 src1_sel:DWORD
	s_waitcnt lgkmcnt(0)
	v_pk_fma_f16 v54, v37, v44, v55
	v_pk_fma_f16 v55, v37, v2, v56
	v_pk_fma_f16 v56, v38, v44, v57
	v_pk_fma_f16 v42, v38, v2, v42
	v_pk_fma_f16 v41, v39, v44, v41
	v_pk_fma_f16 v43, v39, v2, v43
	v_pk_fma_f16 v44, v40, v44, v45
	v_pk_fma_f16 v1, v40, v2, v1
	ds_read2_b64 v[37:40], v36 offset0:128 offset1:160
	;; [unrolled: 12-line block ×3, first 2 shown]
	v_mul_u32_u24_sdwa v3, v4, s29 dst_sel:DWORD dst_unused:UNUSED_PAD src0_sel:WORD_0 src1_sel:DWORD
	v_mul_u32_u24_sdwa v4, v4, s29 dst_sel:DWORD dst_unused:UNUSED_PAD src0_sel:WORD_1 src1_sel:DWORD
	s_waitcnt lgkmcnt(0)
	s_barrier
	v_pk_fma_f16 v67, v40, v3, v2
	v_pk_fma_f16 v68, v40, v4, v1
	v_add_co_u32_e32 v1, vcc, s8, v10
	v_mov_b32_e32 v2, s9
	v_addc_co_u32_e32 v2, vcc, v2, v11, vcc
	v_add_co_u32_e32 v1, vcc, v1, v25
	v_addc_co_u32_e32 v2, vcc, 0, v2, vcc
	v_pk_fma_f16 v45, v37, v3, v45
	v_pk_fma_f16 v62, v37, v4, v54
	;; [unrolled: 1-line block ×6, first 2 shown]
	global_load_dwordx4 v[1:4], v[1:2], off
	s_waitcnt vmcnt(0)
	ds_write_b128 v26, v[1:4]
	v_add_co_u32_e32 v1, vcc, s8, v12
	v_mov_b32_e32 v2, s9
	v_addc_co_u32_e32 v2, vcc, v2, v13, vcc
	v_add_co_u32_e32 v1, vcc, v1, v25
	v_addc_co_u32_e32 v2, vcc, 0, v2, vcc
	global_load_dwordx4 v[1:4], v[1:2], off
	s_waitcnt vmcnt(0)
	ds_write_b128 v27, v[1:4]
	s_waitcnt lgkmcnt(0)
	s_barrier
	ds_read2_b64 v[37:40], v18 offset1:32
	ds_read_b128 v[41:44], v24 offset:64
	ds_read_b128 v[54:57], v24 offset:80
	;; [unrolled: 1-line block ×4, first 2 shown]
	s_waitcnt lgkmcnt(3)
	v_mul_u32_u24_sdwa v69, v41, s29 dst_sel:DWORD dst_unused:UNUSED_PAD src0_sel:WORD_0 src1_sel:DWORD
	v_mul_u32_u24_sdwa v41, v41, s29 dst_sel:DWORD dst_unused:UNUSED_PAD src0_sel:WORD_1 src1_sel:DWORD
	v_pk_fma_f16 v45, v37, v69, v45
	v_pk_fma_f16 v62, v37, v41, v62
	v_pk_fma_f16 v63, v38, v69, v63
	v_pk_fma_f16 v64, v38, v41, v64
	v_pk_fma_f16 v65, v39, v69, v65
	v_pk_fma_f16 v66, v39, v41, v66
	v_pk_fma_f16 v67, v40, v69, v67
	v_pk_fma_f16 v41, v40, v41, v68
	ds_read2_b64 v[37:40], v18 offset0:64 offset1:96
	v_mul_u32_u24_sdwa v68, v42, s29 dst_sel:DWORD dst_unused:UNUSED_PAD src0_sel:WORD_0 src1_sel:DWORD
	v_mul_u32_u24_sdwa v42, v42, s29 dst_sel:DWORD dst_unused:UNUSED_PAD src0_sel:WORD_1 src1_sel:DWORD
	s_waitcnt lgkmcnt(0)
	v_pk_fma_f16 v45, v37, v68, v45
	v_pk_fma_f16 v62, v37, v42, v62
	v_pk_fma_f16 v63, v38, v68, v63
	v_pk_fma_f16 v64, v38, v42, v64
	v_pk_fma_f16 v65, v39, v68, v65
	v_pk_fma_f16 v66, v39, v42, v66
	v_pk_fma_f16 v67, v40, v68, v67
	v_pk_fma_f16 v41, v40, v42, v41
	ds_read2_b64 v[37:40], v18 offset0:128 offset1:160
	v_mul_u32_u24_sdwa v42, v43, s29 dst_sel:DWORD dst_unused:UNUSED_PAD src0_sel:WORD_0 src1_sel:DWORD
	v_mul_u32_u24_sdwa v43, v43, s29 dst_sel:DWORD dst_unused:UNUSED_PAD src0_sel:WORD_1 src1_sel:DWORD
	s_waitcnt lgkmcnt(0)
	v_pk_fma_f16 v45, v37, v42, v45
	v_pk_fma_f16 v62, v37, v43, v62
	v_pk_fma_f16 v63, v38, v42, v63
	v_pk_fma_f16 v64, v38, v43, v64
	v_pk_fma_f16 v65, v39, v42, v65
	v_pk_fma_f16 v66, v39, v43, v66
	v_pk_fma_f16 v42, v40, v42, v67
	v_pk_fma_f16 v41, v40, v43, v41
	ds_read2_b64 v[37:40], v18 offset0:192 offset1:224
	v_mul_u32_u24_sdwa v43, v44, s29 dst_sel:DWORD dst_unused:UNUSED_PAD src0_sel:WORD_0 src1_sel:DWORD
	v_mul_u32_u24_sdwa v44, v44, s29 dst_sel:DWORD dst_unused:UNUSED_PAD src0_sel:WORD_1 src1_sel:DWORD
	s_waitcnt lgkmcnt(0)
	v_pk_fma_f16 v45, v37, v43, v45
	v_pk_fma_f16 v62, v37, v44, v62
	v_pk_fma_f16 v63, v38, v43, v63
	v_pk_fma_f16 v64, v38, v44, v64
	v_pk_fma_f16 v65, v39, v43, v65
	v_pk_fma_f16 v66, v39, v44, v66
	v_pk_fma_f16 v42, v40, v43, v42
	v_pk_fma_f16 v41, v40, v44, v41
	ds_read2_b64 v[37:40], v35 offset1:32
	v_mul_u32_u24_sdwa v43, v54, s29 dst_sel:DWORD dst_unused:UNUSED_PAD src0_sel:WORD_0 src1_sel:DWORD
	v_mul_u32_u24_sdwa v44, v54, s29 dst_sel:DWORD dst_unused:UNUSED_PAD src0_sel:WORD_1 src1_sel:DWORD
	s_waitcnt lgkmcnt(0)
	v_pk_fma_f16 v45, v37, v43, v45
	v_pk_fma_f16 v54, v37, v44, v62
	v_pk_fma_f16 v62, v38, v43, v63
	v_pk_fma_f16 v63, v38, v44, v64
	v_pk_fma_f16 v64, v39, v43, v65
	v_pk_fma_f16 v65, v39, v44, v66
	v_pk_fma_f16 v42, v40, v43, v42
	v_pk_fma_f16 v41, v40, v44, v41
	ds_read2_b64 v[37:40], v35 offset0:64 offset1:96
	v_mul_u32_u24_sdwa v43, v55, s29 dst_sel:DWORD dst_unused:UNUSED_PAD src0_sel:WORD_0 src1_sel:DWORD
	v_mul_u32_u24_sdwa v44, v55, s29 dst_sel:DWORD dst_unused:UNUSED_PAD src0_sel:WORD_1 src1_sel:DWORD
	s_waitcnt lgkmcnt(0)
	v_pk_fma_f16 v45, v37, v43, v45
	v_pk_fma_f16 v54, v37, v44, v54
	v_pk_fma_f16 v55, v38, v43, v62
	v_pk_fma_f16 v62, v38, v44, v63
	v_pk_fma_f16 v63, v39, v43, v64
	v_pk_fma_f16 v64, v39, v44, v65
	v_pk_fma_f16 v42, v40, v43, v42
	v_pk_fma_f16 v41, v40, v44, v41
	ds_read2_b64 v[37:40], v35 offset0:128 offset1:160
	v_mul_u32_u24_sdwa v43, v56, s29 dst_sel:DWORD dst_unused:UNUSED_PAD src0_sel:WORD_0 src1_sel:DWORD
	v_mul_u32_u24_sdwa v44, v56, s29 dst_sel:DWORD dst_unused:UNUSED_PAD src0_sel:WORD_1 src1_sel:DWORD
	s_waitcnt lgkmcnt(0)
	v_pk_fma_f16 v45, v37, v43, v45
	v_pk_fma_f16 v54, v37, v44, v54
	v_pk_fma_f16 v55, v38, v43, v55
	v_pk_fma_f16 v56, v38, v44, v62
	v_pk_fma_f16 v62, v39, v43, v63
	v_pk_fma_f16 v63, v39, v44, v64
	v_pk_fma_f16 v42, v40, v43, v42
	v_pk_fma_f16 v41, v40, v44, v41
	ds_read2_b64 v[37:40], v35 offset0:192 offset1:224
	v_mul_u32_u24_sdwa v35, v57, s29 dst_sel:DWORD dst_unused:UNUSED_PAD src0_sel:WORD_0 src1_sel:DWORD
	v_mul_u32_u24_sdwa v43, v57, s29 dst_sel:DWORD dst_unused:UNUSED_PAD src0_sel:WORD_1 src1_sel:DWORD
	s_waitcnt lgkmcnt(0)
	v_pk_fma_f16 v44, v37, v35, v45
	v_pk_fma_f16 v45, v37, v43, v54
	v_pk_fma_f16 v54, v38, v35, v55
	v_pk_fma_f16 v55, v38, v43, v56
	v_pk_fma_f16 v56, v39, v35, v62
	v_pk_fma_f16 v57, v39, v43, v63
	v_pk_fma_f16 v35, v40, v35, v42
	v_pk_fma_f16 v41, v40, v43, v41
	ds_read2_b64 v[37:40], v34 offset1:32
	v_mul_u32_u24_sdwa v42, v58, s29 dst_sel:DWORD dst_unused:UNUSED_PAD src0_sel:WORD_0 src1_sel:DWORD
	v_mul_u32_u24_sdwa v43, v58, s29 dst_sel:DWORD dst_unused:UNUSED_PAD src0_sel:WORD_1 src1_sel:DWORD
	s_waitcnt lgkmcnt(0)
	;; [unrolled: 48-line block ×3, first 2 shown]
	v_pk_fma_f16 v42, v37, v41, v43
	v_pk_fma_f16 v43, v37, v1, v44
	;; [unrolled: 1-line block ×8, first 2 shown]
	ds_read2_b64 v[37:40], v36 offset0:64 offset1:96
	v_mul_u32_u24_sdwa v35, v2, s29 dst_sel:DWORD dst_unused:UNUSED_PAD src0_sel:WORD_0 src1_sel:DWORD
	v_mul_u32_u24_sdwa v2, v2, s29 dst_sel:DWORD dst_unused:UNUSED_PAD src0_sel:WORD_1 src1_sel:DWORD
	s_waitcnt lgkmcnt(0)
	v_pk_fma_f16 v41, v37, v35, v42
	v_pk_fma_f16 v42, v37, v2, v43
	;; [unrolled: 1-line block ×8, first 2 shown]
	ds_read2_b64 v[37:40], v36 offset0:128 offset1:160
	v_mul_u32_u24_sdwa v2, v3, s29 dst_sel:DWORD dst_unused:UNUSED_PAD src0_sel:WORD_0 src1_sel:DWORD
	v_mul_u32_u24_sdwa v3, v3, s29 dst_sel:DWORD dst_unused:UNUSED_PAD src0_sel:WORD_1 src1_sel:DWORD
	s_waitcnt lgkmcnt(0)
	v_pk_fma_f16 v35, v37, v2, v41
	v_pk_fma_f16 v37, v37, v3, v42
	;; [unrolled: 1-line block ×4, first 2 shown]
	ds_read2_b64 v[41:44], v36 offset0:192 offset1:224
	s_waitcnt lgkmcnt(0)
	s_barrier
	s_load_dword s8, s[0:1], 0x4
	v_pk_fma_f16 v45, v39, v2, v45
	v_pk_fma_f16 v54, v39, v3, v54
	;; [unrolled: 1-line block ×4, first 2 shown]
	s_waitcnt lgkmcnt(0)
	s_lshl_b32 s8, s8, 5
	v_mul_u32_u24_sdwa v3, v4, s29 dst_sel:DWORD dst_unused:UNUSED_PAD src0_sel:WORD_0 src1_sel:DWORD
	v_mul_u32_u24_sdwa v4, v4, s29 dst_sel:DWORD dst_unused:UNUSED_PAD src0_sel:WORD_1 src1_sel:DWORD
	s_add_i32 s6, s8, s6
	v_pk_fma_f16 v35, v41, v3, v35
	v_pk_fma_f16 v34, v41, v4, v37
	;; [unrolled: 1-line block ×8, first 2 shown]
	s_cmp_ge_i32 s6, s30
	s_cbranch_scc1 .LBB66_7
; %bb.21:                               ;   in Loop: Header=BB66_12 Depth=1
	v_mov_b32_e32 v44, v14
	v_mov_b32_e32 v43, v15
	;; [unrolled: 1-line block ×4, first 2 shown]
	s_branch .LBB66_12
.LBB66_22:
	v_mov_b32_e32 v4, v2
	v_mov_b32_e32 v3, v1
	v_cmp_gt_i32_e32 vcc, s2, v16
	s_and_saveexec_b64 s[0:1], vcc
	s_cbranch_execz .LBB66_9
.LBB66_23:
	s_load_dword s6, s[4:5], 0xd4
	v_mov_b32_e32 v5, 1.0
	s_waitcnt lgkmcnt(0)
	s_cmp_lg_u32 s6, 1
	s_cselect_b64 s[0:1], -1, 0
	s_cmp_eq_u32 s6, 1
	s_cselect_b64 s[4:5], -1, 0
	s_and_b64 vcc, exec, s[0:1]
	s_cbranch_vccnz .LBB66_25
; %bb.24:
	v_div_scale_f32 v5, s[8:9], v1, v1, 1.0
	v_div_scale_f32 v6, vcc, 1.0, v1, 1.0
	v_rcp_f32_e32 v7, v5
	v_fma_f32 v8, -v5, v7, 1.0
	v_fmac_f32_e32 v7, v8, v7
	v_mul_f32_e32 v8, v6, v7
	v_fma_f32 v9, -v5, v8, v6
	v_fmac_f32_e32 v8, v9, v7
	v_fma_f32 v5, -v5, v8, v6
	v_div_fmas_f32 v5, v5, v7, v8
	v_div_fixup_f32 v5, v5, v1, 1.0
.LBB66_25:
	s_mul_i32 s33, s33, s2
	v_add_u32_e32 v1, s33, v16
	v_mul_lo_u32 v1, v1, s3
	v_cmp_eq_u32_e32 vcc, 0, v0
	v_cvt_f32_f16_sdwa v6, v41 dst_sel:DWORD dst_unused:UNUSED_PAD src0_sel:WORD_1
	v_cvt_f32_f16_e32 v11, v35
	v_add_u32_e32 v0, s28, v1
	v_mul_lo_u32 v0, s6, v0
	v_cvt_f32_f16_e32 v7, v41
	v_cvt_f32_f16_sdwa v1, v35 dst_sel:DWORD dst_unused:UNUSED_PAD src0_sel:WORD_1
	v_mul_f32_e32 v9, v5, v6
	v_add_u32_e32 v0, s7, v0
	v_lshl_add_u32 v10, v0, 8, v17
	v_mul_f32_e32 v6, v5, v11
	v_mov_b32_e32 v11, 0
	v_lshlrev_b64 v[12:13], 2, v[10:11]
	s_and_b64 s[0:1], vcc, s[0:1]
	v_mul_f32_e32 v8, v5, v7
	v_mul_f32_e32 v7, v5, v1
	v_mov_b32_e32 v1, s21
	v_add_co_u32_e32 v12, vcc, s20, v12
	v_addc_co_u32_e32 v13, vcc, v1, v13, vcc
	global_store_dwordx4 v[12:13], v[6:9], off
	v_cvt_f32_f16_sdwa v1, v40 dst_sel:DWORD dst_unused:UNUSED_PAD src0_sel:WORD_1
	v_cvt_f32_f16_e32 v6, v40
	v_cvt_f32_f16_sdwa v9, v39 dst_sel:DWORD dst_unused:UNUSED_PAD src0_sel:WORD_1
	v_cvt_f32_f16_e32 v12, v39
	v_add_u32_e32 v10, 0x80, v10
	v_mul_f32_e32 v7, v5, v6
	v_mul_f32_e32 v6, v5, v9
	v_lshlrev_b64 v[9:10], 2, v[10:11]
	v_mul_f32_e32 v8, v5, v1
	v_mov_b32_e32 v1, s21
	v_add_co_u32_e32 v9, vcc, s20, v9
	v_mul_f32_e32 v5, v5, v12
	v_addc_co_u32_e32 v10, vcc, v1, v10, vcc
	global_store_dwordx4 v[9:10], v[5:8], off
	s_and_saveexec_b64 s[2:3], s[0:1]
	s_cbranch_execz .LBB66_27
; %bb.26:
	v_ashrrev_i32_e32 v1, 31, v0
	v_lshlrev_b64 v[5:6], 3, v[0:1]
	v_mov_b32_e32 v1, s23
	v_add_co_u32_e32 v5, vcc, s22, v5
	v_addc_co_u32_e32 v6, vcc, v1, v6, vcc
	v_mov_b32_e32 v7, v14
	v_mov_b32_e32 v8, v3
	global_store_dwordx2 v[5:6], v[7:8], off
.LBB66_27:
	s_or_b64 exec, exec, s[2:3]
	s_andn2_b64 vcc, exec, s[4:5]
	v_mov_b32_e32 v1, 1.0
	s_cbranch_vccnz .LBB66_29
; %bb.28:
	v_div_scale_f32 v1, s[2:3], v2, v2, 1.0
	v_div_scale_f32 v3, vcc, 1.0, v2, 1.0
	v_rcp_f32_e32 v5, v1
	v_fma_f32 v6, -v1, v5, 1.0
	v_fmac_f32_e32 v5, v6, v5
	v_mul_f32_e32 v6, v3, v5
	v_fma_f32 v7, -v1, v6, v3
	v_fmac_f32_e32 v6, v7, v5
	v_fma_f32 v1, -v1, v6, v3
	v_div_fmas_f32 v1, v1, v5, v6
	v_div_fixup_f32 v1, v1, v2, 1.0
.LBB66_29:
	v_cvt_f32_f16_sdwa v3, v38 dst_sel:DWORD dst_unused:UNUSED_PAD src0_sel:WORD_1
	v_cvt_f32_f16_e32 v5, v38
	v_cvt_f32_f16_e32 v9, v34
	v_add_u32_e32 v0, s6, v0
	v_lshl_add_u32 v2, v0, 8, v17
	v_cvt_f32_f16_sdwa v6, v34 dst_sel:DWORD dst_unused:UNUSED_PAD src0_sel:WORD_1
	v_mul_f32_e32 v8, v1, v3
	v_mov_b32_e32 v3, 0
	v_mul_f32_e32 v7, v1, v5
	v_mul_f32_e32 v5, v1, v9
	v_lshlrev_b64 v[9:10], 2, v[2:3]
	v_mov_b32_e32 v11, s21
	v_add_co_u32_e32 v9, vcc, s20, v9
	v_mul_f32_e32 v6, v1, v6
	v_addc_co_u32_e32 v10, vcc, v11, v10, vcc
	global_store_dwordx4 v[9:10], v[5:8], off
	v_cvt_f32_f16_sdwa v9, v37 dst_sel:DWORD dst_unused:UNUSED_PAD src0_sel:WORD_1
	v_cvt_f32_f16_sdwa v5, v36 dst_sel:DWORD dst_unused:UNUSED_PAD src0_sel:WORD_1
	v_cvt_f32_f16_e32 v6, v36
	v_cvt_f32_f16_e32 v10, v37
	v_add_u32_e32 v2, 0x80, v2
	v_mul_f32_e32 v8, v1, v5
	v_mul_f32_e32 v7, v1, v6
	;; [unrolled: 1-line block ×4, first 2 shown]
	v_lshlrev_b64 v[1:2], 2, v[2:3]
	v_mov_b32_e32 v3, s21
	v_add_co_u32_e32 v1, vcc, s20, v1
	v_addc_co_u32_e32 v2, vcc, v3, v2, vcc
	global_store_dwordx4 v[1:2], v[5:8], off
	s_and_b64 exec, exec, s[0:1]
	s_cbranch_execz .LBB66_9
; %bb.30:
	v_ashrrev_i32_e32 v1, 31, v0
	v_lshlrev_b64 v[0:1], 3, v[0:1]
	v_mov_b32_e32 v2, s23
	v_add_co_u32_e32 v0, vcc, s22, v0
	v_addc_co_u32_e32 v1, vcc, v2, v1, vcc
	v_mov_b32_e32 v3, v15
	global_store_dwordx2 v[0:1], v[3:4], off
	s_endpgm
	.section	.rodata,"a",@progbits
	.p2align	6, 0x0
	.amdhsa_kernel _ZL15flash_attn_tileILi256ELi256ELi8ELi2ELb1EEvPKcS1_S1_S1_S1_PKiPfP15HIP_vector_typeIfLj2EEffffjfiS5_IjLj3EEiiiiiiiiiiiliiliiiiil
		.amdhsa_group_segment_fixed_size 17920
		.amdhsa_private_segment_fixed_size 0
		.amdhsa_kernarg_size 464
		.amdhsa_user_sgpr_count 6
		.amdhsa_user_sgpr_private_segment_buffer 1
		.amdhsa_user_sgpr_dispatch_ptr 0
		.amdhsa_user_sgpr_queue_ptr 0
		.amdhsa_user_sgpr_kernarg_segment_ptr 1
		.amdhsa_user_sgpr_dispatch_id 0
		.amdhsa_user_sgpr_flat_scratch_init 0
		.amdhsa_user_sgpr_private_segment_size 0
		.amdhsa_uses_dynamic_stack 0
		.amdhsa_system_sgpr_private_segment_wavefront_offset 0
		.amdhsa_system_sgpr_workgroup_id_x 1
		.amdhsa_system_sgpr_workgroup_id_y 1
		.amdhsa_system_sgpr_workgroup_id_z 1
		.amdhsa_system_sgpr_workgroup_info 0
		.amdhsa_system_vgpr_workitem_id 1
		.amdhsa_next_free_vgpr 70
		.amdhsa_next_free_sgpr 98
		.amdhsa_reserve_vcc 1
		.amdhsa_reserve_flat_scratch 0
		.amdhsa_float_round_mode_32 0
		.amdhsa_float_round_mode_16_64 0
		.amdhsa_float_denorm_mode_32 3
		.amdhsa_float_denorm_mode_16_64 3
		.amdhsa_dx10_clamp 1
		.amdhsa_ieee_mode 1
		.amdhsa_fp16_overflow 0
		.amdhsa_exception_fp_ieee_invalid_op 0
		.amdhsa_exception_fp_denorm_src 0
		.amdhsa_exception_fp_ieee_div_zero 0
		.amdhsa_exception_fp_ieee_overflow 0
		.amdhsa_exception_fp_ieee_underflow 0
		.amdhsa_exception_fp_ieee_inexact 0
		.amdhsa_exception_int_div_zero 0
	.end_amdhsa_kernel
	.section	.text._ZL15flash_attn_tileILi256ELi256ELi8ELi2ELb1EEvPKcS1_S1_S1_S1_PKiPfP15HIP_vector_typeIfLj2EEffffjfiS5_IjLj3EEiiiiiiiiiiiliiliiiiil,"axG",@progbits,_ZL15flash_attn_tileILi256ELi256ELi8ELi2ELb1EEvPKcS1_S1_S1_S1_PKiPfP15HIP_vector_typeIfLj2EEffffjfiS5_IjLj3EEiiiiiiiiiiiliiliiiiil,comdat
.Lfunc_end66:
	.size	_ZL15flash_attn_tileILi256ELi256ELi8ELi2ELb1EEvPKcS1_S1_S1_S1_PKiPfP15HIP_vector_typeIfLj2EEffffjfiS5_IjLj3EEiiiiiiiiiiiliiliiiiil, .Lfunc_end66-_ZL15flash_attn_tileILi256ELi256ELi8ELi2ELb1EEvPKcS1_S1_S1_S1_PKiPfP15HIP_vector_typeIfLj2EEffffjfiS5_IjLj3EEiiiiiiiiiiiliiliiiiil
                                        ; -- End function
	.set _ZL15flash_attn_tileILi256ELi256ELi8ELi2ELb1EEvPKcS1_S1_S1_S1_PKiPfP15HIP_vector_typeIfLj2EEffffjfiS5_IjLj3EEiiiiiiiiiiiliiliiiiil.num_vgpr, 70
	.set _ZL15flash_attn_tileILi256ELi256ELi8ELi2ELb1EEvPKcS1_S1_S1_S1_PKiPfP15HIP_vector_typeIfLj2EEffffjfiS5_IjLj3EEiiiiiiiiiiiliiliiiiil.num_agpr, 0
	.set _ZL15flash_attn_tileILi256ELi256ELi8ELi2ELb1EEvPKcS1_S1_S1_S1_PKiPfP15HIP_vector_typeIfLj2EEffffjfiS5_IjLj3EEiiiiiiiiiiiliiliiiiil.numbered_sgpr, 40
	.set _ZL15flash_attn_tileILi256ELi256ELi8ELi2ELb1EEvPKcS1_S1_S1_S1_PKiPfP15HIP_vector_typeIfLj2EEffffjfiS5_IjLj3EEiiiiiiiiiiiliiliiiiil.num_named_barrier, 0
	.set _ZL15flash_attn_tileILi256ELi256ELi8ELi2ELb1EEvPKcS1_S1_S1_S1_PKiPfP15HIP_vector_typeIfLj2EEffffjfiS5_IjLj3EEiiiiiiiiiiiliiliiiiil.private_seg_size, 0
	.set _ZL15flash_attn_tileILi256ELi256ELi8ELi2ELb1EEvPKcS1_S1_S1_S1_PKiPfP15HIP_vector_typeIfLj2EEffffjfiS5_IjLj3EEiiiiiiiiiiiliiliiiiil.uses_vcc, 1
	.set _ZL15flash_attn_tileILi256ELi256ELi8ELi2ELb1EEvPKcS1_S1_S1_S1_PKiPfP15HIP_vector_typeIfLj2EEffffjfiS5_IjLj3EEiiiiiiiiiiiliiliiiiil.uses_flat_scratch, 0
	.set _ZL15flash_attn_tileILi256ELi256ELi8ELi2ELb1EEvPKcS1_S1_S1_S1_PKiPfP15HIP_vector_typeIfLj2EEffffjfiS5_IjLj3EEiiiiiiiiiiiliiliiiiil.has_dyn_sized_stack, 0
	.set _ZL15flash_attn_tileILi256ELi256ELi8ELi2ELb1EEvPKcS1_S1_S1_S1_PKiPfP15HIP_vector_typeIfLj2EEffffjfiS5_IjLj3EEiiiiiiiiiiiliiliiiiil.has_recursion, 0
	.set _ZL15flash_attn_tileILi256ELi256ELi8ELi2ELb1EEvPKcS1_S1_S1_S1_PKiPfP15HIP_vector_typeIfLj2EEffffjfiS5_IjLj3EEiiiiiiiiiiiliiliiiiil.has_indirect_call, 0
	.section	.AMDGPU.csdata,"",@progbits
; Kernel info:
; codeLenInByte = 10904
; TotalNumSgprs: 44
; NumVgprs: 70
; ScratchSize: 0
; MemoryBound: 0
; FloatMode: 240
; IeeeMode: 1
; LDSByteSize: 17920 bytes/workgroup (compile time only)
; SGPRBlocks: 12
; VGPRBlocks: 17
; NumSGPRsForWavesPerEU: 102
; NumVGPRsForWavesPerEU: 70
; Occupancy: 3
; WaveLimiterHint : 1
; COMPUTE_PGM_RSRC2:SCRATCH_EN: 0
; COMPUTE_PGM_RSRC2:USER_SGPR: 6
; COMPUTE_PGM_RSRC2:TRAP_HANDLER: 0
; COMPUTE_PGM_RSRC2:TGID_X_EN: 1
; COMPUTE_PGM_RSRC2:TGID_Y_EN: 1
; COMPUTE_PGM_RSRC2:TGID_Z_EN: 1
; COMPUTE_PGM_RSRC2:TIDIG_COMP_CNT: 1
	.section	.text._ZL15flash_attn_tileILi256ELi256ELi4ELi2ELb1EEvPKcS1_S1_S1_S1_PKiPfP15HIP_vector_typeIfLj2EEffffjfiS5_IjLj3EEiiiiiiiiiiiliiliiiiil,"axG",@progbits,_ZL15flash_attn_tileILi256ELi256ELi4ELi2ELb1EEvPKcS1_S1_S1_S1_PKiPfP15HIP_vector_typeIfLj2EEffffjfiS5_IjLj3EEiiiiiiiiiiiliiliiiiil,comdat
	.globl	_ZL15flash_attn_tileILi256ELi256ELi4ELi2ELb1EEvPKcS1_S1_S1_S1_PKiPfP15HIP_vector_typeIfLj2EEffffjfiS5_IjLj3EEiiiiiiiiiiiliiliiiiil ; -- Begin function _ZL15flash_attn_tileILi256ELi256ELi4ELi2ELb1EEvPKcS1_S1_S1_S1_PKiPfP15HIP_vector_typeIfLj2EEffffjfiS5_IjLj3EEiiiiiiiiiiiliiliiiiil
	.p2align	8
	.type	_ZL15flash_attn_tileILi256ELi256ELi4ELi2ELb1EEvPKcS1_S1_S1_S1_PKiPfP15HIP_vector_typeIfLj2EEffffjfiS5_IjLj3EEiiiiiiiiiiiliiliiiiil,@function
_ZL15flash_attn_tileILi256ELi256ELi4ELi2ELb1EEvPKcS1_S1_S1_S1_PKiPfP15HIP_vector_typeIfLj2EEffffjfiS5_IjLj3EEiiiiiiiiiiiliiliiiiil: ; @_ZL15flash_attn_tileILi256ELi256ELi4ELi2ELb1EEvPKcS1_S1_S1_S1_PKiPfP15HIP_vector_typeIfLj2EEffffjfiS5_IjLj3EEiiiiiiiiiiiliiliiiiil
; %bb.0:
	s_load_dwordx4 s[0:3], s[4:5], 0x5c
	s_load_dwordx2 s[28:29], s[4:5], 0x80
	s_load_dwordx2 s[34:35], s[4:5], 0xb8
	s_mov_b64 s[30:31], 0
	s_waitcnt lgkmcnt(0)
	s_lshr_b32 s9, s3, 31
	s_add_i32 s9, s3, s9
	s_ashr_i32 s9, s9, 1
	v_cvt_f32_u32_e32 v2, s9
	s_sub_i32 s10, 0, s9
	v_rcp_iflag_f32_e32 v2, v2
	v_mul_f32_e32 v2, 0x4f7ffffe, v2
	v_cvt_u32_f32_e32 v2, v2
	v_readfirstlane_b32 s11, v2
	s_mul_i32 s10, s10, s11
	s_mul_hi_u32 s10, s11, s10
	s_add_i32 s11, s11, s10
	s_mul_hi_u32 s10, s8, s11
	s_mul_i32 s11, s10, s9
	s_sub_i32 s11, s8, s11
	s_add_i32 s12, s10, 1
	s_sub_i32 s13, s11, s9
	s_cmp_ge_u32 s11, s9
	s_cselect_b32 s10, s12, s10
	s_cselect_b32 s11, s13, s11
	s_add_i32 s12, s10, 1
	s_cmp_ge_u32 s11, s9
	s_cselect_b32 s33, s12, s10
	s_abs_i32 s9, s29
	v_cvt_f32_u32_e32 v2, s9
	s_lshl_b32 s8, s8, 1
	s_mul_i32 s12, s33, s3
	s_xor_b32 s10, s3, s29
	v_rcp_iflag_f32_e32 v2, v2
	s_sub_i32 s13, 0, s9
	s_sub_i32 s29, s8, s12
	s_abs_i32 s11, s3
	v_mul_f32_e32 v2, 0x4f7ffffe, v2
	v_cvt_u32_f32_e32 v2, v2
	s_ashr_i32 s10, s10, 31
	v_readfirstlane_b32 s8, v2
	s_mul_i32 s13, s13, s8
	s_mul_hi_u32 s12, s8, s13
	s_add_i32 s8, s8, s12
	s_mul_hi_u32 s8, s11, s8
	s_mul_i32 s12, s8, s9
	s_sub_i32 s11, s11, s12
	s_add_i32 s13, s8, 1
	s_sub_i32 s12, s11, s9
	s_cmp_ge_u32 s11, s9
	s_cselect_b32 s8, s13, s8
	s_cselect_b32 s11, s12, s11
	s_add_i32 s12, s8, 1
	s_cmp_ge_u32 s11, s9
	s_cselect_b32 s8, s12, s8
	s_xor_b32 s8, s8, s10
	s_sub_i32 s37, s8, s10
	s_abs_i32 s36, s37
	v_cvt_f32_u32_e32 v2, s36
	s_load_dwordx16 s[8:23], s[4:5], 0x0
	v_rcp_iflag_f32_e32 v2, v2
	s_waitcnt lgkmcnt(0)
	s_cmp_eq_u64 s[14:15], 0
	v_mul_f32_e32 v2, 0x4f7ffffe, v2
	v_cvt_u32_f32_e32 v2, v2
	v_readfirstlane_b32 s38, v2
	s_cbranch_scc1 .LBB67_2
; %bb.1:
	s_abs_i32 s26, s34
	v_cvt_f32_u32_e32 v2, s26
	s_sub_i32 s31, 0, s26
	s_abs_i32 s30, s33
	s_ashr_i32 s27, s33, 31
	v_rcp_iflag_f32_e32 v2, v2
	s_load_dwordx2 s[24:25], s[4:5], 0xc8
	v_mul_f32_e32 v2, 0x4f7ffffe, v2
	v_cvt_u32_f32_e32 v2, v2
	v_readfirstlane_b32 s34, v2
	s_mul_i32 s31, s31, s34
	s_mul_hi_u32 s31, s34, s31
	s_add_i32 s34, s34, s31
	s_mul_hi_u32 s31, s30, s34
	s_mul_i32 s31, s31, s26
	s_sub_i32 s30, s30, s31
	s_sub_i32 s31, s30, s26
	s_cmp_ge_u32 s30, s26
	s_cselect_b32 s30, s31, s30
	s_sub_i32 s31, s30, s26
	s_cmp_ge_u32 s30, s26
	s_cselect_b32 s26, s31, s30
	s_xor_b32 s26, s26, s27
	s_sub_i32 s26, s26, s27
	s_ashr_i32 s27, s26, 31
	s_waitcnt lgkmcnt(0)
	s_mul_hi_u32 s30, s24, s26
	s_mul_i32 s27, s24, s27
	s_mul_i32 s25, s25, s26
	s_add_i32 s27, s30, s27
	s_add_i32 s27, s27, s25
	s_mul_i32 s24, s24, s26
	s_add_u32 s30, s14, s24
	s_addc_u32 s31, s15, s27
.LBB67_2:
	v_lshrrev_b32_e32 v2, 1, v1
	s_load_dwordx4 s[24:27], s[4:5], 0x70
	v_lshl_add_u32 v33, s6, 2, v2
	v_mul_hi_u32 v2, s0, v33
	v_and_b32_e32 v32, 1, v1
	v_lshlrev_b32_e32 v31, 3, v0
	s_waitcnt lgkmcnt(0)
	s_mul_i32 s0, s33, s26
	v_add_u32_e32 v2, v33, v2
	s_ashr_i32 s15, s0, 31
	v_lshrrev_b32_e32 v2, s1, v2
	s_mul_i32 s14, s29, s25
	s_add_u32 s0, s8, s0
	v_mul_lo_u32 v2, v2, s2
	s_addc_u32 s8, s9, s15
	s_ashr_i32 s9, s14, 31
	s_add_u32 s14, s0, s14
	s_addc_u32 s15, s8, s9
	s_ashr_i32 s1, s25, 31
	s_mov_b32 s0, s25
	s_ashr_i32 s25, s24, 31
	v_sub_u32_e32 v2, v33, v2
	s_lshr_b64 s[8:9], s[24:25], 2
	v_mad_u64_u32 v[3:4], s[8:9], s8, v2, 0
	s_lshr_b64 s[8:9], s[0:1], 2
	s_lshr_b32 s0, s1, 2
	v_mul_lo_u32 v6, s0, v32
	s_lshr_b32 s0, s25, 2
	v_mad_u64_u32 v[4:5], s[0:1], s0, v2, v[4:5]
	v_mul_lo_u32 v5, s8, v32
	v_mov_b32_e32 v7, s15
	v_lshlrev_b64 v[3:4], 2, v[3:4]
	s_load_dword s0, s[4:5], 0x40
	v_lshlrev_b64 v[5:6], 2, v[5:6]
	s_cmp_eq_u64 s[18:19], 0
	v_add_co_u32_e32 v5, vcc, s14, v5
	v_addc_co_u32_e32 v6, vcc, v7, v6, vcc
	v_add_co_u32_e32 v3, vcc, v5, v3
	v_addc_co_u32_e32 v4, vcc, v6, v4, vcc
	v_lshlrev_b32_e32 v5, 4, v0
	v_add_co_u32_e32 v12, vcc, v3, v5
	v_addc_co_u32_e32 v13, vcc, 0, v4, vcc
	global_load_dwordx4 v[4:7], v[12:13], off
	global_load_dwordx4 v[8:11], v[12:13], off offset:512
	v_lshlrev_b32_e32 v3, 9, v1
	v_add_u32_e32 v35, 0x4400, v3
	v_add_u32_e32 v12, v35, v31
	s_waitcnt vmcnt(1) lgkmcnt(0)
	v_fma_mixlo_f16 v4, s0, v4, 0
	v_fma_mixlo_f16 v5, s0, v5, 0
	v_fma_mixlo_f16 v6, s0, v6, 0
	v_fma_mixlo_f16 v7, s0, v7, 0
	s_waitcnt vmcnt(0)
	v_fma_mixlo_f16 v8, s0, v8, 0
	v_fma_mixlo_f16 v9, s0, v9, 0
	;; [unrolled: 1-line block ×4, first 2 shown]
	v_lshlrev_b32_e32 v5, 16, v5
	v_and_b32_e32 v4, 0xffff, v4
	v_lshlrev_b32_e32 v7, 16, v7
	v_and_b32_e32 v6, 0xffff, v6
	;; [unrolled: 2-line block ×4, first 2 shown]
	v_or_b32_e32 v4, v5, v4
	v_or3_b32 v5, v7, v6, 0
	v_or_b32_e32 v6, v9, v8
	v_or3_b32 v7, v11, v10, 0
	v_or3_b32 v4, 0, 0, v4
	;; [unrolled: 1-line block ×3, first 2 shown]
	ds_write2_b64 v12, v[4:5], v[6:7] offset1:32
	s_waitcnt lgkmcnt(0)
	s_barrier
	s_cbranch_scc1 .LBB67_4
; %bb.3:
	s_load_dword s0, s[4:5], 0xd0
	s_mov_b32 s1, 0
	s_waitcnt lgkmcnt(0)
	s_mul_i32 s0, s0, s33
	s_add_i32 s0, s0, s6
	s_lshl_b64 s[0:1], s[0:1], 2
	s_add_u32 s0, s18, s0
	s_addc_u32 s1, s19, s1
	s_load_dword s28, s[0:1], 0x0
.LBB67_4:
	s_lshl_b32 s6, s7, 6
	v_lshlrev_b32_e32 v34, 2, v0
	s_waitcnt lgkmcnt(0)
	s_cmp_lt_i32 s6, s28
	v_mbcnt_lo_u32_b32 v4, -1, 0
	s_cbranch_scc1 .LBB67_13
; %bb.5:
	v_mbcnt_hi_u32_b32 v36, -1, v4
	v_and_b32_e32 v5, 0x60, v36
	v_add_u32_e32 v56, 32, v5
	v_xor_b32_e32 v61, 16, v36
	v_xor_b32_e32 v60, 8, v36
	;; [unrolled: 1-line block ×5, first 2 shown]
	s_cbranch_execz .LBB67_14
; %bb.6:
	v_mov_b32_e32 v54, 0
	v_mov_b32_e32 v62, 0
	;; [unrolled: 1-line block ×6, first 2 shown]
.LBB67_7:
	v_cmp_lt_i32_e32 vcc, v61, v56
	v_cndmask_b32_e32 v1, v36, v61, vcc
	v_lshlrev_b32_e32 v1, 2, v1
	ds_bpermute_b32 v1, v1, v62
	v_cmp_lt_i32_e32 vcc, v60, v56
	v_cndmask_b32_e32 v2, v36, v60, vcc
	v_lshlrev_b32_e32 v2, 2, v2
	v_cmp_lt_i32_e32 vcc, v59, v56
	s_waitcnt lgkmcnt(0)
	v_add_f32_e32 v1, v62, v1
	ds_bpermute_b32 v2, v2, v1
	v_cndmask_b32_e32 v3, v36, v59, vcc
	v_lshlrev_b32_e32 v3, 2, v3
	v_cmp_lt_i32_e32 vcc, v58, v56
	s_cmp_lg_u64 s[16:17], 0
	s_waitcnt lgkmcnt(0)
	v_add_f32_e32 v1, v1, v2
	ds_bpermute_b32 v2, v3, v1
	v_cndmask_b32_e32 v3, v36, v58, vcc
	v_lshlrev_b32_e32 v3, 2, v3
	v_cmp_lt_i32_e32 vcc, v57, v56
	s_cselect_b64 s[0:1], -1, 0
	s_waitcnt lgkmcnt(0)
	v_add_f32_e32 v1, v1, v2
	ds_bpermute_b32 v2, v3, v1
	v_cndmask_b32_e32 v3, v36, v57, vcc
	v_lshlrev_b32_e32 v3, 2, v3
	s_cmp_eq_u32 s7, 0
	s_cselect_b64 s[8:9], -1, 0
	s_waitcnt lgkmcnt(0)
	v_add_f32_e32 v1, v1, v2
	ds_bpermute_b32 v2, v3, v1
	s_and_b64 s[0:1], s[8:9], s[0:1]
	s_and_b64 vcc, exec, s[0:1]
	s_waitcnt lgkmcnt(0)
	v_add_f32_e32 v31, v1, v2
	s_cbranch_vccz .LBB67_9
; %bb.8:
	v_add_u32_e32 v1, s29, v32
	v_ashrrev_i32_e32 v2, 31, v1
	v_lshlrev_b64 v[1:2], 2, v[1:2]
	v_mov_b32_e32 v3, s17
	v_add_co_u32_e32 v1, vcc, s16, v1
	v_addc_co_u32_e32 v2, vcc, v3, v2, vcc
	global_load_dword v1, v[1:2], off
	v_max_f32_e32 v2, v30, v30
	s_mov_b32 s0, 0x3fb8aa3b
	s_mov_b32 s1, 0xc2ce8ed0
	s_waitcnt vmcnt(0)
	v_max_f32_e32 v3, v1, v1
	v_max_f32_e32 v2, v2, v3
	v_sub_f32_e32 v3, v30, v2
	v_sub_f32_e32 v1, v1, v2
	v_mul_f32_e32 v4, 0x3fb8aa3b, v3
	v_mul_f32_e32 v5, 0x3fb8aa3b, v1
	v_fma_f32 v6, v3, s0, -v4
	v_rndne_f32_e32 v7, v4
	v_fma_f32 v8, v1, s0, -v5
	v_rndne_f32_e32 v11, v5
	v_fmac_f32_e32 v6, 0x32a5705f, v3
	v_sub_f32_e32 v4, v4, v7
	v_fmac_f32_e32 v8, 0x32a5705f, v1
	v_sub_f32_e32 v5, v5, v11
	v_add_f32_e32 v4, v4, v6
	v_cvt_i32_f32_e32 v7, v7
	v_add_f32_e32 v5, v5, v8
	v_exp_f32_e32 v4, v4
	v_cvt_i32_f32_e32 v11, v11
	v_exp_f32_e32 v5, v5
	v_cmp_ngt_f32_e32 vcc, s1, v3
	v_ldexp_f32 v4, v4, v7
	s_mov_b32 s0, 0x42b17218
	v_ldexp_f32 v5, v5, v11
	v_cndmask_b32_e32 v4, 0, v4, vcc
	v_cmp_ngt_f32_e32 vcc, s1, v1
	v_mov_b32_e32 v6, 0x7f800000
	v_cndmask_b32_e32 v5, 0, v5, vcc
	v_cmp_nlt_f32_e32 vcc, s0, v3
	v_cndmask_b32_e32 v3, v6, v4, vcc
	v_cvt_f16_f32_e32 v4, v3
	v_cmp_nlt_f32_e32 vcc, s0, v1
	v_cndmask_b32_e32 v1, v6, v5, vcc
	v_fmac_f32_e32 v1, v31, v3
	v_mov_b32_e32 v31, v1
	v_mul_u32_u24_e32 v1, 0x10001, v4
	v_pk_mul_f16 v54, v54, v1
	v_pk_mul_f16 v55, v55, v1
	;; [unrolled: 1-line block ×4, first 2 shown]
	v_mov_b32_e32 v30, v2
.LBB67_9:
	v_cmp_gt_i32_e32 vcc, s2, v33
	s_and_saveexec_b64 s[0:1], vcc
	s_cbranch_execz .LBB67_12
; %bb.10:
	v_div_scale_f32 v1, s[0:1], v31, v31, 1.0
	v_div_scale_f32 v2, vcc, 1.0, v31, 1.0
	v_cmp_eq_u32_e64 s[0:1], 0, v0
	s_mul_i32 s33, s33, s2
	v_add_u32_e32 v4, s33, v33
	s_load_dword s4, s[4:5], 0xd4
	v_mul_lo_u32 v4, v4, s3
	v_cvt_f32_f16_sdwa v3, v55 dst_sel:DWORD dst_unused:UNUSED_PAD src0_sel:WORD_1
	v_cvt_f32_f16_e32 v11, v55
	v_cvt_f32_f16_sdwa v12, v54 dst_sel:DWORD dst_unused:UNUSED_PAD src0_sel:WORD_1
	v_cvt_f32_f16_e32 v13, v54
	s_waitcnt lgkmcnt(0)
	s_cmp_lg_u32 s4, 1
	s_cselect_b64 s[2:3], -1, 0
	v_mov_b32_e32 v8, s21
	v_rcp_f32_e32 v0, v1
	v_cvt_f32_f16_sdwa v15, v9 dst_sel:DWORD dst_unused:UNUSED_PAD src0_sel:WORD_1
	v_cvt_f32_f16_e32 v9, v9
	v_cvt_f32_f16_sdwa v16, v10 dst_sel:DWORD dst_unused:UNUSED_PAD src0_sel:WORD_1
	v_fma_f32 v5, -v1, v0, 1.0
	v_fmac_f32_e32 v0, v5, v0
	v_mul_f32_e32 v5, v2, v0
	v_fma_f32 v6, -v1, v5, v2
	v_fmac_f32_e32 v5, v6, v0
	v_fma_f32 v1, -v1, v5, v2
	v_div_fmas_f32 v14, v1, v0, v5
	v_add3_u32 v0, s29, v32, v4
	v_mul_lo_u32 v0, s4, v0
	v_mov_b32_e32 v6, 0
	s_and_b64 s[0:1], s[0:1], s[2:3]
	v_add_u32_e32 v0, s7, v0
	v_lshl_add_u32 v5, v0, 8, v34
	v_lshlrev_b64 v[1:2], 2, v[5:6]
	v_add_u32_e32 v5, 0x80, v5
	v_add_co_u32_e32 v7, vcc, s20, v1
	v_addc_co_u32_e32 v8, vcc, v8, v2, vcc
	v_lshlrev_b64 v[5:6], 2, v[5:6]
	v_add_co_u32_e32 v5, vcc, s20, v5
	v_div_fixup_f32 v1, v14, v31, 1.0
	v_cndmask_b32_e64 v14, v1, 1.0, s[2:3]
	v_mul_f32_e32 v4, v14, v3
	v_mul_f32_e32 v3, v14, v11
	;; [unrolled: 1-line block ×4, first 2 shown]
	global_store_dwordx4 v[7:8], v[1:4], off
	v_mov_b32_e32 v7, s21
	v_cvt_f32_f16_e32 v1, v10
	v_mul_f32_e32 v4, v14, v15
	v_mul_f32_e32 v3, v14, v9
	;; [unrolled: 1-line block ×4, first 2 shown]
	v_addc_co_u32_e32 v6, vcc, v7, v6, vcc
	global_store_dwordx4 v[5:6], v[1:4], off
	s_and_b64 exec, exec, s[0:1]
	s_cbranch_execz .LBB67_12
; %bb.11:
	v_ashrrev_i32_e32 v1, 31, v0
	v_lshlrev_b64 v[0:1], 3, v[0:1]
	v_mov_b32_e32 v2, s23
	v_add_co_u32_e32 v0, vcc, s22, v0
	v_addc_co_u32_e32 v1, vcc, v2, v1, vcc
	global_store_dwordx2 v[0:1], v[30:31], off
.LBB67_12:
	s_endpgm
.LBB67_13:
                                        ; implicit-def: $vgpr36
                                        ; implicit-def: $vgpr56
                                        ; implicit-def: $vgpr61
                                        ; implicit-def: $vgpr60
                                        ; implicit-def: $vgpr59
                                        ; implicit-def: $vgpr58
                                        ; implicit-def: $vgpr57
.LBB67_14:
	s_sub_i32 s0, 0, s36
	s_mul_i32 s0, s0, s38
	s_mul_hi_u32 s0, s38, s0
	s_add_i32 s38, s38, s0
	s_load_dwordx4 s[24:27], s[4:5], 0x98
	s_load_dword s14, s[4:5], 0x54
	s_load_dwordx2 s[0:1], s[4:5], 0x8c
	s_abs_i32 s19, s29
	s_mul_hi_u32 s34, s19, s38
	s_waitcnt lgkmcnt(0)
	s_ashr_i32 s15, s26, 2
	s_ashr_i32 s26, s35, 1
	;; [unrolled: 1-line block ×4, first 2 shown]
	s_mul_hi_u32 s35, s24, s33
	s_mul_i32 s39, s24, s0
	s_add_i32 s35, s35, s39
	s_mul_i32 s25, s25, s33
	s_ashr_i32 s38, s29, 31
	s_ashr_i32 s37, s37, 31
	s_add_i32 s35, s35, s25
	s_mul_i32 s24, s24, s33
	s_add_u32 s10, s10, s24
	s_mul_i32 s25, s34, s36
	s_addc_u32 s11, s11, s35
	s_sub_i32 s19, s19, s25
	s_xor_b32 s24, s38, s37
	s_add_i32 s25, s34, 1
	s_sub_i32 s35, s19, s36
	s_cmp_ge_u32 s19, s36
	s_cselect_b32 s25, s25, s34
	s_cselect_b32 s19, s35, s19
	s_add_i32 s34, s25, 1
	s_cmp_ge_u32 s19, s36
	s_load_dwordx2 s[8:9], s[4:5], 0xa8
	s_cselect_b32 s19, s34, s25
	s_xor_b32 s19, s19, s24
	s_sub_i32 s19, s19, s24
	s_mul_i32 s1, s19, s1
	s_ashr_i32 s24, s1, 31
	s_add_u32 s10, s10, s1
	s_waitcnt lgkmcnt(0)
	s_mul_hi_u32 s1, s8, s33
	s_mul_i32 s0, s8, s0
	s_addc_u32 s11, s11, s24
	s_add_i32 s0, s1, s0
	s_mul_i32 s1, s9, s33
	s_add_i32 s0, s0, s1
	s_mul_i32 s1, s8, s33
	v_lshrrev_b32_e32 v5, 4, v0
	s_add_u32 s1, s12, s1
	s_mul_i32 s19, s19, s27
	v_lshl_add_u32 v6, v1, 1, v5
	s_addc_u32 s0, s13, s0
	s_ashr_i32 s8, s19, 31
	v_mul_lo_u32 v5, s18, v6
	s_add_u32 s12, s1, s19
	v_and_b32_e32 v16, 60, v34
	s_addc_u32 s13, s0, s8
	v_lshlrev_b32_e32 v7, 2, v16
	s_movk_i32 s0, 0x110
	v_mad_u32_u24 v37, v6, s0, v7
	s_lshl_b32 s0, s18, 4
	v_add_u32_e32 v7, s0, v5
	v_add_u32_e32 v10, s0, v7
	;; [unrolled: 1-line block ×3, first 2 shown]
	v_mad_u64_u32 v[13:14], s[0:1], v2, s26, v[0:1]
	v_mov_b32_e32 v2, 0x5400
	v_lshl_add_u32 v42, v1, 7, v2
	v_mul_lo_u32 v2, s15, v1
	s_lshl_b32 s0, s15, 3
	v_lshlrev_b32_e32 v44, 2, v34
	v_ashrrev_i32_e32 v6, 31, v5
	v_add_u32_e32 v24, s0, v2
	v_add_u32_e32 v26, s0, v24
	;; [unrolled: 1-line block ×3, first 2 shown]
	v_ashrrev_i32_e32 v8, 31, v7
	v_ashrrev_i32_e32 v11, 31, v10
	;; [unrolled: 1-line block ×3, first 2 shown]
	v_add_u32_e32 v45, v3, v44
	v_ashrrev_i32_e32 v3, 31, v2
	v_ashrrev_i32_e32 v25, 31, v24
	;; [unrolled: 1-line block ×4, first 2 shown]
	v_lshl_add_u32 v1, v1, 9, v44
	s_add_u32 s0, s4, 0xd0
	v_lshlrev_b64 v[14:15], 2, v[5:6]
	v_lshlrev_b32_e32 v49, 2, v16
	v_lshlrev_b64 v[16:17], 2, v[7:8]
	v_lshlrev_b64 v[18:19], 2, v[10:11]
	v_lshlrev_b64 v[20:21], 2, v[20:21]
	v_lshlrev_b64 v[22:23], 2, v[2:3]
	v_lshlrev_b64 v[24:25], 2, v[24:25]
	v_lshlrev_b64 v[26:27], 2, v[26:27]
	v_lshlrev_b64 v[28:29], 2, v[28:29]
	v_mov_b32_e32 v9, 0
	v_add_u32_e32 v38, 0x1100, v37
	v_add_u32_e32 v39, 0x2200, v37
	;; [unrolled: 1-line block ×3, first 2 shown]
	v_mul_u32_u24_e32 v41, 0x110, v0
	v_lshl_add_u32 v43, v0, 1, v42
	v_add_u32_e32 v46, 0x1000, v1
	v_add_u32_e32 v47, 0x2000, v1
	;; [unrolled: 1-line block ×3, first 2 shown]
	s_addc_u32 s1, s5, 0
	v_mov_b32_e32 v12, 0xfeffffff
	s_mov_b32 s19, 0x3f200000
	s_mov_b32 s24, 0x3fb8aa3b
	;; [unrolled: 1-line block ×4, first 2 shown]
	v_mov_b32_e32 v50, 0xbd5c1c4e
	v_mov_b32_e32 v51, 0x3e088382
	;; [unrolled: 1-line block ×3, first 2 shown]
	s_brev_b32 s27, -2
	s_mov_b32 s34, 0x10001
	v_mov_b32_e32 v53, 0x7f800000
	v_mbcnt_hi_u32_b32 v36, -1, v4
	v_mov_b32_e32 v10, 0
	v_mov_b32_e32 v55, 0
	;; [unrolled: 1-line block ×4, first 2 shown]
.LBB67_15:                              ; =>This Inner Loop Header: Depth=1
	s_mul_hi_i32 s9, s6, s18
	s_mul_i32 s8, s6, s18
	s_lshl_b64 s[8:9], s[8:9], 2
	s_add_u32 s8, s10, s8
	s_addc_u32 s9, s11, s9
	v_mov_b32_e32 v1, s9
	v_add_co_u32_e32 v2, vcc, s8, v14
	v_addc_co_u32_e32 v3, vcc, v1, v15, vcc
	v_add_co_u32_e32 v1, vcc, v2, v49
	v_addc_co_u32_e32 v2, vcc, 0, v3, vcc
	v_mov_b32_e32 v3, s9
	v_add_co_u32_e32 v4, vcc, s8, v16
	v_addc_co_u32_e32 v5, vcc, v3, v17, vcc
	v_add_co_u32_e32 v3, vcc, v4, v49
	v_addc_co_u32_e32 v4, vcc, 0, v5, vcc
	;; [unrolled: 5-line block ×3, first 2 shown]
	v_mov_b32_e32 v7, s9
	v_add_co_u32_e32 v8, vcc, s8, v20
	v_addc_co_u32_e32 v30, vcc, v7, v21, vcc
	v_add_co_u32_e32 v7, vcc, v8, v49
	global_load_dwordx4 v[56:59], v[1:2], off
	global_load_dwordx4 v[60:63], v[3:4], off
	v_addc_co_u32_e32 v8, vcc, 0, v30, vcc
	global_load_dwordx4 v[64:67], v[5:6], off
	global_load_dwordx4 v[68:71], v[7:8], off
	v_mov_b32_e32 v30, 0
	s_waitcnt vmcnt(3)
	ds_write_b128 v37, v[56:59]
	s_waitcnt vmcnt(2)
	ds_write_b128 v38, v[60:63]
	s_waitcnt vmcnt(1)
	ds_write_b128 v39, v[64:67]
	s_waitcnt vmcnt(0)
	ds_write_b128 v40, v[68:71]
	s_waitcnt lgkmcnt(0)
	s_barrier
	ds_read_b128 v[57:60], v41
	ds_read_b128 v[61:64], v35
	v_mov_b32_e32 v56, 0
	ds_read_b128 v[65:68], v41 offset:8704
	s_waitcnt lgkmcnt(1)
	;;#ASMSTART
	v_dot2_f32_f16 v56, v57, v61, v56
	;;#ASMEND
	;;#ASMSTART
	v_dot2_f32_f16 v56, v58, v62, v56
	;;#ASMEND
	;;#ASMSTART
	v_dot2_f32_f16 v56, v59, v63, v56
	;;#ASMEND
	;;#ASMSTART
	v_dot2_f32_f16 v56, v60, v64, v56
	;;#ASMEND
	s_waitcnt lgkmcnt(0)
	;;#ASMSTART
	v_dot2_f32_f16 v30, v65, v61, v30
	;;#ASMEND
	;;#ASMSTART
	v_dot2_f32_f16 v30, v66, v62, v30
	;;#ASMEND
	;;#ASMSTART
	v_dot2_f32_f16 v30, v67, v63, v30
	;;#ASMEND
	;;#ASMSTART
	v_dot2_f32_f16 v30, v68, v64, v30
	;;#ASMEND
	ds_read_b128 v[57:60], v41 offset:16
	ds_read_b128 v[61:64], v35 offset:16
	ds_read_b128 v[65:68], v41 offset:8720
	s_waitcnt lgkmcnt(1)
	;;#ASMSTART
	v_dot2_f32_f16 v56, v57, v61, v56
	;;#ASMEND
	;;#ASMSTART
	v_dot2_f32_f16 v56, v58, v62, v56
	;;#ASMEND
	;;#ASMSTART
	v_dot2_f32_f16 v56, v59, v63, v56
	;;#ASMEND
	;;#ASMSTART
	v_dot2_f32_f16 v56, v60, v64, v56
	;;#ASMEND
	s_waitcnt lgkmcnt(0)
	;;#ASMSTART
	v_dot2_f32_f16 v30, v65, v61, v30
	;;#ASMEND
	;;#ASMSTART
	v_dot2_f32_f16 v30, v66, v62, v30
	;;#ASMEND
	;;#ASMSTART
	v_dot2_f32_f16 v30, v67, v63, v30
	;;#ASMEND
	;;#ASMSTART
	v_dot2_f32_f16 v30, v68, v64, v30
	;;#ASMEND
	ds_read_b128 v[57:60], v41 offset:32
	ds_read_b128 v[61:64], v35 offset:32
	;; [unrolled: 29-line block ×15, first 2 shown]
	ds_read_b128 v[65:68], v41 offset:8944
	s_waitcnt lgkmcnt(1)
	;;#ASMSTART
	v_dot2_f32_f16 v56, v57, v61, v56
	;;#ASMEND
	;;#ASMSTART
	v_dot2_f32_f16 v56, v58, v62, v56
	;;#ASMEND
	;; [unrolled: 3-line block ×4, first 2 shown]
	s_waitcnt lgkmcnt(0)
	;;#ASMSTART
	v_dot2_f32_f16 v30, v65, v61, v30
	;;#ASMEND
	;;#ASMSTART
	v_dot2_f32_f16 v30, v66, v62, v30
	;;#ASMEND
	;; [unrolled: 3-line block ×4, first 2 shown]
	s_barrier
	global_load_dwordx4 v[57:60], v[1:2], off offset:256
	s_nop 0
	global_load_dwordx4 v[1:4], v[3:4], off offset:256
	s_nop 0
	;; [unrolled: 2-line block ×3, first 2 shown]
	global_load_dwordx4 v[5:8], v[7:8], off offset:256
	s_waitcnt vmcnt(3)
	ds_write_b128 v37, v[57:60]
	s_waitcnt vmcnt(2)
	ds_write_b128 v38, v[1:4]
	s_waitcnt vmcnt(1)
	ds_write_b128 v39, v[61:64]
	s_waitcnt vmcnt(0)
	ds_write_b128 v40, v[5:8]
	s_waitcnt lgkmcnt(0)
	s_barrier
	ds_read_b128 v[1:4], v41
	ds_read_b128 v[5:8], v35 offset:256
	ds_read_b128 v[57:60], v41 offset:8704
	s_waitcnt lgkmcnt(1)
	;;#ASMSTART
	v_dot2_f32_f16 v56, v1, v5, v56
	;;#ASMEND
	;;#ASMSTART
	v_dot2_f32_f16 v56, v2, v6, v56
	;;#ASMEND
	;;#ASMSTART
	v_dot2_f32_f16 v56, v3, v7, v56
	;;#ASMEND
	;;#ASMSTART
	v_dot2_f32_f16 v56, v4, v8, v56
	;;#ASMEND
	s_waitcnt lgkmcnt(0)
	;;#ASMSTART
	v_dot2_f32_f16 v30, v57, v5, v30
	;;#ASMEND
	;;#ASMSTART
	v_dot2_f32_f16 v30, v58, v6, v30
	;;#ASMEND
	;;#ASMSTART
	v_dot2_f32_f16 v30, v59, v7, v30
	;;#ASMEND
	;;#ASMSTART
	v_dot2_f32_f16 v30, v60, v8, v30
	;;#ASMEND
	ds_read_b128 v[1:4], v41 offset:16
	ds_read_b128 v[5:8], v35 offset:272
	ds_read_b128 v[57:60], v41 offset:8720
	s_waitcnt lgkmcnt(1)
	;;#ASMSTART
	v_dot2_f32_f16 v56, v1, v5, v56
	;;#ASMEND
	;;#ASMSTART
	v_dot2_f32_f16 v56, v2, v6, v56
	;;#ASMEND
	;;#ASMSTART
	v_dot2_f32_f16 v56, v3, v7, v56
	;;#ASMEND
	;;#ASMSTART
	v_dot2_f32_f16 v56, v4, v8, v56
	;;#ASMEND
	s_waitcnt lgkmcnt(0)
	;;#ASMSTART
	v_dot2_f32_f16 v30, v57, v5, v30
	;;#ASMEND
	;;#ASMSTART
	v_dot2_f32_f16 v30, v58, v6, v30
	;;#ASMEND
	;;#ASMSTART
	v_dot2_f32_f16 v30, v59, v7, v30
	;;#ASMEND
	;;#ASMSTART
	v_dot2_f32_f16 v30, v60, v8, v30
	;;#ASMEND
	ds_read_b128 v[1:4], v41 offset:32
	;; [unrolled: 29-line block ×15, first 2 shown]
	ds_read_b128 v[5:8], v35 offset:496
	ds_read_b128 v[57:60], v41 offset:8944
	s_waitcnt lgkmcnt(1)
	;;#ASMSTART
	v_dot2_f32_f16 v56, v1, v5, v56
	;;#ASMEND
	;;#ASMSTART
	v_dot2_f32_f16 v56, v2, v6, v56
	;;#ASMEND
	;; [unrolled: 3-line block ×4, first 2 shown]
	s_waitcnt lgkmcnt(0)
	;;#ASMSTART
	v_dot2_f32_f16 v30, v57, v5, v30
	;;#ASMEND
	;;#ASMSTART
	v_dot2_f32_f16 v30, v58, v6, v30
	;;#ASMEND
	;; [unrolled: 3-line block ×3, first 2 shown]
	v_cmp_nlt_f32_e64 s[8:9], |v56|, s19
	;;#ASMSTART
	v_dot2_f32_f16 v30, v60, v8, v30
	;;#ASMEND
                                        ; implicit-def: $vgpr3
	s_and_saveexec_b64 s[36:37], s[8:9]
	s_xor_b64 s[8:9], exec, s[36:37]
	s_cbranch_execz .LBB67_17
; %bb.16:                               ;   in Loop: Header=BB67_15 Depth=1
	v_add_f32_e64 v1, |v56|, |v56|
	v_mul_f32_e32 v2, 0x3fb8aa3b, v1
	v_rndne_f32_e32 v3, v2
	v_sub_f32_e32 v4, v2, v3
	v_fma_f32 v2, v1, s24, -v2
	v_fmac_f32_e32 v2, 0x32a5705f, v1
	v_add_f32_e32 v2, v4, v2
	v_cvt_i32_f32_e32 v3, v3
	v_exp_f32_e32 v2, v2
	v_cmp_ngt_f32_e32 vcc, s25, v1
	v_ldexp_f32 v2, v2, v3
	v_cndmask_b32_e32 v2, 0, v2, vcc
	v_cmp_nlt_f32_e32 vcc, s26, v1
	v_cndmask_b32_e32 v1, v53, v2, vcc
	v_add_f32_e32 v1, 1.0, v1
	v_rcp_f32_e32 v1, v1
	v_fma_f32 v3, v1, -2.0, 1.0
.LBB67_17:                              ;   in Loop: Header=BB67_15 Depth=1
	s_andn2_saveexec_b64 s[8:9], s[8:9]
; %bb.18:                               ;   in Loop: Header=BB67_15 Depth=1
	v_mul_f32_e32 v1, v56, v56
	v_mov_b32_e32 v2, 0x3ca908c9
	v_fmac_f32_e32 v2, 0xbbbac73d, v1
	v_fma_f32 v2, v1, v2, v50
	v_fma_f32 v2, v1, v2, v51
	;; [unrolled: 1-line block ×3, first 2 shown]
	v_mul_f32_e64 v2, |v56|, v2
	v_fma_f32 v3, v1, v2, |v56|
; %bb.19:                               ;   in Loop: Header=BB67_15 Depth=1
	s_or_b64 exec, exec, s[8:9]
	v_add_u32_e32 v1, s6, v13
	v_ashrrev_i32_e32 v2, 31, v1
	v_lshlrev_b64 v[1:2], 1, v[1:2]
	v_mov_b32_e32 v4, s31
	v_add_co_u32_e32 v1, vcc, s30, v1
	v_addc_co_u32_e32 v2, vcc, v4, v2, vcc
	global_load_ushort v4, v[1:2], off
	v_cmp_nlt_f32_e64 s[8:9], |v30|, s19
                                        ; implicit-def: $vgpr5
	s_and_saveexec_b64 s[36:37], s[8:9]
	s_xor_b64 s[8:9], exec, s[36:37]
	s_cbranch_execz .LBB67_21
; %bb.20:                               ;   in Loop: Header=BB67_15 Depth=1
	v_add_f32_e64 v5, |v30|, |v30|
	v_mul_f32_e32 v6, 0x3fb8aa3b, v5
	v_rndne_f32_e32 v7, v6
	v_sub_f32_e32 v8, v6, v7
	v_fma_f32 v6, v5, s24, -v6
	v_fmac_f32_e32 v6, 0x32a5705f, v5
	v_add_f32_e32 v6, v8, v6
	v_cvt_i32_f32_e32 v7, v7
	v_exp_f32_e32 v6, v6
	v_cmp_ngt_f32_e32 vcc, s25, v5
	v_ldexp_f32 v6, v6, v7
	v_cndmask_b32_e32 v6, 0, v6, vcc
	v_cmp_nlt_f32_e32 vcc, s26, v5
	v_cndmask_b32_e32 v5, v53, v6, vcc
	v_add_f32_e32 v5, 1.0, v5
	v_rcp_f32_e32 v5, v5
	v_fma_f32 v5, v5, -2.0, 1.0
.LBB67_21:                              ;   in Loop: Header=BB67_15 Depth=1
	s_andn2_saveexec_b64 s[8:9], s[8:9]
; %bb.22:                               ;   in Loop: Header=BB67_15 Depth=1
	v_mul_f32_e32 v5, v30, v30
	v_mov_b32_e32 v6, 0x3ca908c9
	v_fmac_f32_e32 v6, 0xbbbac73d, v5
	v_fma_f32 v6, v5, v6, v50
	v_fma_f32 v6, v5, v6, v51
	;; [unrolled: 1-line block ×3, first 2 shown]
	v_mul_f32_e64 v6, |v30|, v6
	v_fma_f32 v5, v5, v6, |v30|
; %bb.23:                               ;   in Loop: Header=BB67_15 Depth=1
	s_or_b64 exec, exec, s[8:9]
	global_load_ushort v1, v[1:2], off offset:64
	v_and_b32_e32 v6, 0x60, v36
	v_bfi_b32 v3, s27, v3, v56
	v_xor_b32_e32 v57, 1, v36
	v_add_u32_e32 v56, 32, v6
	v_cmp_lt_i32_e32 vcc, v57, v56
	v_xor_b32_e32 v58, 2, v36
	v_cndmask_b32_e32 v6, v36, v57, vcc
	v_cmp_lt_i32_e32 vcc, v58, v56
	v_xor_b32_e32 v59, 4, v36
	v_cndmask_b32_e32 v7, v36, v58, vcc
	;; [unrolled: 3-line block ×3, first 2 shown]
	v_cmp_lt_i32_e32 vcc, v60, v56
	v_xor_b32_e32 v61, 16, v36
	v_bfi_b32 v5, s27, v5, v30
	s_waitcnt vmcnt(1)
	v_fma_mix_f32 v3, s14, v3, v4 op_sel_hi:[0,0,1]
	v_cndmask_b32_e32 v62, v36, v60, vcc
	v_cmp_lt_i32_e32 vcc, v61, v56
	v_add_f32_e32 v4, 0x40051340, v3
	v_cndmask_b32_e32 v63, v36, v61, vcc
	v_lshlrev_b32_e32 v8, 2, v8
	v_lshlrev_b32_e32 v7, 2, v7
	;; [unrolled: 1-line block ×3, first 2 shown]
	s_mul_hi_i32 s9, s6, s15
	s_mul_i32 s8, s6, s15
	s_lshl_b64 s[8:9], s[8:9], 2
	s_add_u32 s8, s12, s8
	s_addc_u32 s9, s13, s9
	s_waitcnt vmcnt(0)
	s_barrier
	v_fma_mix_f32 v1, s14, v5, v1 op_sel_hi:[0,0,1]
	v_add_f32_e32 v2, 0x40051340, v1
	v_max3_f32 v2, v12, v4, v2
	v_lshlrev_b32_e32 v4, 2, v63
	ds_bpermute_b32 v4, v4, v2
	v_lshlrev_b32_e32 v5, 2, v62
	s_waitcnt lgkmcnt(0)
	v_max_f32_e32 v4, v4, v4
	v_max_f32_e32 v2, v2, v4
	ds_bpermute_b32 v4, v5, v2
	s_waitcnt lgkmcnt(0)
	v_max_f32_e32 v4, v4, v4
	v_max_f32_e32 v2, v2, v4
	ds_bpermute_b32 v4, v8, v2
	;; [unrolled: 4-line block ×4, first 2 shown]
	s_waitcnt lgkmcnt(0)
	v_max_f32_e32 v4, v4, v4
	v_max_f32_e32 v30, v2, v4
	v_sub_f32_e32 v3, v3, v30
	v_mul_f32_e32 v4, 0x3fb8aa3b, v3
	v_fma_f32 v5, v3, s24, -v4
	v_rndne_f32_e32 v6, v4
	v_fmac_f32_e32 v5, 0x32a5705f, v3
	v_sub_f32_e32 v4, v4, v6
	v_add_f32_e32 v4, v4, v5
	v_exp_f32_e32 v4, v4
	v_cvt_i32_f32_e32 v5, v6
	v_sub_f32_e32 v1, v1, v30
	v_cmp_ngt_f32_e32 vcc, s25, v3
	v_sub_f32_e32 v2, v12, v30
	v_ldexp_f32 v4, v4, v5
	v_mul_f32_e32 v5, 0x3fb8aa3b, v1
	v_fma_f32 v6, v1, s24, -v5
	v_rndne_f32_e32 v7, v5
	v_fmac_f32_e32 v6, 0x32a5705f, v1
	v_sub_f32_e32 v5, v5, v7
	v_add_f32_e32 v5, v5, v6
	v_exp_f32_e32 v5, v5
	v_cvt_i32_f32_e32 v6, v7
	v_cndmask_b32_e32 v4, 0, v4, vcc
	v_cmp_nlt_f32_e32 vcc, s26, v3
	v_cndmask_b32_e32 v3, v53, v4, vcc
	v_ldexp_f32 v5, v5, v6
	v_cmp_ngt_f32_e32 vcc, s25, v1
	v_cndmask_b32_e32 v5, 0, v5, vcc
	v_cmp_nlt_f32_e32 vcc, s26, v1
	v_cndmask_b32_e32 v1, v53, v5, vcc
	v_cvt_f16_f32_e32 v4, v3
	v_add_f32_e32 v62, v3, v1
	v_mul_f32_e32 v3, 0x3fb8aa3b, v2
	v_fma_f32 v5, v2, s24, -v3
	v_rndne_f32_e32 v6, v3
	v_fmac_f32_e32 v5, 0x32a5705f, v2
	v_sub_f32_e32 v3, v3, v6
	v_add_f32_e32 v3, v3, v5
	v_exp_f32_e32 v3, v3
	v_cvt_i32_f32_e32 v5, v6
	v_cmp_ngt_f32_e32 vcc, s25, v2
	v_cvt_f16_f32_e32 v1, v1
	ds_write_b16 v43, v4
	ds_write_b16 v43, v1 offset:64
	v_ldexp_f32 v3, v3, v5
	v_cndmask_b32_e32 v3, 0, v3, vcc
	v_cmp_nlt_f32_e32 vcc, s26, v2
	v_cndmask_b32_e32 v2, v53, v3, vcc
	v_fmac_f32_e32 v62, v11, v2
	v_cvt_f16_f32_e32 v2, v2
	v_add_co_u32_e32 v1, vcc, s8, v22
	v_mul_u32_u24_e32 v63, 0x10001, v2
	v_mov_b32_e32 v2, s9
	v_addc_co_u32_e32 v2, vcc, v2, v23, vcc
	v_add_co_u32_e32 v1, vcc, v1, v44
	v_addc_co_u32_e32 v2, vcc, 0, v2, vcc
	global_load_dwordx4 v[1:4], v[1:2], off
	v_pk_mul_f16 v64, v10, v63
	v_pk_mul_f16 v65, v9, v63
	s_waitcnt vmcnt(0)
	ds_write_b128 v45, v[1:4]
	v_add_co_u32_e32 v1, vcc, s8, v24
	v_mov_b32_e32 v2, s9
	v_addc_co_u32_e32 v2, vcc, v2, v25, vcc
	v_add_co_u32_e32 v1, vcc, v1, v44
	v_addc_co_u32_e32 v2, vcc, 0, v2, vcc
	global_load_dwordx4 v[1:4], v[1:2], off
	s_waitcnt vmcnt(0)
	ds_write_b128 v46, v[1:4]
	v_add_co_u32_e32 v1, vcc, s8, v26
	v_mov_b32_e32 v2, s9
	v_addc_co_u32_e32 v2, vcc, v2, v27, vcc
	v_add_co_u32_e32 v1, vcc, v1, v44
	v_addc_co_u32_e32 v2, vcc, 0, v2, vcc
	global_load_dwordx4 v[1:4], v[1:2], off
	;; [unrolled: 8-line block ×3, first 2 shown]
	s_or_b32 s8, s6, 32
	s_mul_hi_i32 s9, s8, s15
	s_mul_i32 s8, s8, s15
	s_lshl_b64 s[8:9], s[8:9], 2
	s_add_u32 s8, s12, s8
	s_addc_u32 s9, s13, s9
	s_waitcnt vmcnt(0)
	ds_write_b128 v48, v[1:4]
	s_waitcnt lgkmcnt(0)
	s_barrier
	ds_read2_b64 v[66:69], v31 offset1:32
	ds_read_b128 v[70:73], v42
	ds_read_b128 v[9:12], v42 offset:16
	ds_read_b128 v[5:8], v42 offset:32
	;; [unrolled: 1-line block ×3, first 2 shown]
	s_waitcnt lgkmcnt(3)
	v_mul_u32_u24_sdwa v74, v70, s34 dst_sel:DWORD dst_unused:UNUSED_PAD src0_sel:WORD_0 src1_sel:DWORD
	v_pk_mul_f16 v66, v66, v74
	v_pk_fma_f16 v54, v54, v63, v66
	v_pk_mul_f16 v66, v67, v74
	v_pk_fma_f16 v55, v55, v63, v66
	v_pk_fma_f16 v67, v68, v74, v64
	;; [unrolled: 1-line block ×3, first 2 shown]
	ds_read2_b64 v[63:66], v31 offset0:64 offset1:96
	v_mul_u32_u24_sdwa v69, v70, s34 dst_sel:DWORD dst_unused:UNUSED_PAD src0_sel:WORD_1 src1_sel:DWORD
	v_mul_u32_u24_sdwa v70, v72, s34 dst_sel:DWORD dst_unused:UNUSED_PAD src0_sel:WORD_0 src1_sel:DWORD
	s_waitcnt lgkmcnt(0)
	v_pk_fma_f16 v54, v63, v69, v54
	v_pk_fma_f16 v55, v64, v69, v55
	;; [unrolled: 1-line block ×4, first 2 shown]
	ds_read2_b64 v[63:66], v31 offset0:128 offset1:160
	v_mul_u32_u24_sdwa v69, v71, s34 dst_sel:DWORD dst_unused:UNUSED_PAD src0_sel:WORD_0 src1_sel:DWORD
	s_waitcnt lgkmcnt(0)
	v_pk_fma_f16 v54, v63, v69, v54
	v_pk_fma_f16 v55, v64, v69, v55
	;; [unrolled: 1-line block ×4, first 2 shown]
	ds_read2_b64 v[63:66], v31 offset0:192 offset1:224
	v_mul_u32_u24_sdwa v69, v71, s34 dst_sel:DWORD dst_unused:UNUSED_PAD src0_sel:WORD_1 src1_sel:DWORD
	v_mul_u32_u24_sdwa v71, v9, s34 dst_sel:DWORD dst_unused:UNUSED_PAD src0_sel:WORD_0 src1_sel:DWORD
	v_mul_u32_u24_sdwa v9, v9, s34 dst_sel:DWORD dst_unused:UNUSED_PAD src0_sel:WORD_1 src1_sel:DWORD
	s_waitcnt lgkmcnt(0)
	v_pk_fma_f16 v55, v64, v69, v55
	v_add_u32_e32 v64, 0x800, v31
	v_pk_fma_f16 v54, v63, v69, v54
	v_pk_fma_f16 v63, v65, v69, v67
	;; [unrolled: 1-line block ×3, first 2 shown]
	ds_read2_b64 v[65:68], v64 offset1:32
	s_waitcnt lgkmcnt(0)
	v_pk_fma_f16 v54, v65, v70, v54
	v_pk_fma_f16 v55, v66, v70, v55
	;; [unrolled: 1-line block ×4, first 2 shown]
	ds_read2_b64 v[65:68], v64 offset0:64 offset1:96
	v_mul_u32_u24_sdwa v70, v72, s34 dst_sel:DWORD dst_unused:UNUSED_PAD src0_sel:WORD_1 src1_sel:DWORD
	s_waitcnt lgkmcnt(0)
	v_pk_fma_f16 v54, v65, v70, v54
	v_pk_fma_f16 v55, v66, v70, v55
	;; [unrolled: 1-line block ×4, first 2 shown]
	ds_read2_b64 v[65:68], v64 offset0:128 offset1:160
	v_mul_u32_u24_sdwa v70, v73, s34 dst_sel:DWORD dst_unused:UNUSED_PAD src0_sel:WORD_0 src1_sel:DWORD
	s_waitcnt lgkmcnt(0)
	v_pk_fma_f16 v54, v65, v70, v54
	v_pk_fma_f16 v55, v66, v70, v55
	;; [unrolled: 1-line block ×4, first 2 shown]
	ds_read2_b64 v[65:68], v64 offset0:192 offset1:224
	v_mul_u32_u24_sdwa v70, v73, s34 dst_sel:DWORD dst_unused:UNUSED_PAD src0_sel:WORD_1 src1_sel:DWORD
	s_waitcnt lgkmcnt(0)
	v_pk_fma_f16 v54, v65, v70, v54
	v_add_u32_e32 v65, 0x1000, v31
	v_pk_fma_f16 v55, v66, v70, v55
	v_pk_fma_f16 v63, v67, v70, v63
	v_pk_fma_f16 v70, v68, v70, v69
	ds_read2_b64 v[66:69], v65 offset1:32
	s_waitcnt lgkmcnt(0)
	v_pk_fma_f16 v54, v66, v71, v54
	v_pk_fma_f16 v55, v67, v71, v55
	;; [unrolled: 1-line block ×4, first 2 shown]
	ds_read2_b64 v[66:69], v65 offset0:64 offset1:96
	s_waitcnt lgkmcnt(0)
	v_pk_fma_f16 v54, v66, v9, v54
	v_pk_fma_f16 v55, v67, v9, v55
	;; [unrolled: 1-line block ×4, first 2 shown]
	ds_read2_b64 v[66:69], v65 offset0:128 offset1:160
	v_mul_u32_u24_sdwa v70, v10, s34 dst_sel:DWORD dst_unused:UNUSED_PAD src0_sel:WORD_0 src1_sel:DWORD
	v_mul_u32_u24_sdwa v10, v10, s34 dst_sel:DWORD dst_unused:UNUSED_PAD src0_sel:WORD_1 src1_sel:DWORD
	s_waitcnt lgkmcnt(0)
	v_pk_fma_f16 v54, v66, v70, v54
	v_pk_fma_f16 v55, v67, v70, v55
	;; [unrolled: 1-line block ×4, first 2 shown]
	ds_read2_b64 v[66:69], v65 offset0:192 offset1:224
	s_waitcnt lgkmcnt(0)
	v_pk_fma_f16 v54, v66, v10, v54
	v_add_u32_e32 v66, 0x1800, v31
	v_pk_fma_f16 v55, v67, v10, v55
	v_pk_fma_f16 v63, v68, v10, v63
	;; [unrolled: 1-line block ×3, first 2 shown]
	ds_read2_b64 v[67:70], v66 offset1:32
	v_mul_u32_u24_sdwa v10, v11, s34 dst_sel:DWORD dst_unused:UNUSED_PAD src0_sel:WORD_0 src1_sel:DWORD
	s_waitcnt lgkmcnt(0)
	v_pk_fma_f16 v54, v67, v10, v54
	v_pk_fma_f16 v55, v68, v10, v55
	;; [unrolled: 1-line block ×4, first 2 shown]
	ds_read2_b64 v[67:70], v66 offset0:64 offset1:96
	v_mul_u32_u24_sdwa v10, v11, s34 dst_sel:DWORD dst_unused:UNUSED_PAD src0_sel:WORD_1 src1_sel:DWORD
	s_waitcnt lgkmcnt(0)
	v_pk_fma_f16 v11, v67, v10, v54
	v_pk_fma_f16 v54, v68, v10, v55
	;; [unrolled: 1-line block ×4, first 2 shown]
	ds_read2_b64 v[67:70], v66 offset0:128 offset1:160
	v_mul_u32_u24_sdwa v10, v12, s34 dst_sel:DWORD dst_unused:UNUSED_PAD src0_sel:WORD_0 src1_sel:DWORD
	s_waitcnt lgkmcnt(0)
	v_pk_fma_f16 v11, v67, v10, v11
	v_pk_fma_f16 v54, v68, v10, v54
	;; [unrolled: 1-line block ×4, first 2 shown]
	ds_read2_b64 v[67:70], v66 offset0:192 offset1:224
	v_mul_u32_u24_sdwa v10, v12, s34 dst_sel:DWORD dst_unused:UNUSED_PAD src0_sel:WORD_1 src1_sel:DWORD
	s_waitcnt lgkmcnt(0)
	v_pk_fma_f16 v63, v67, v10, v11
	v_add_u32_e32 v67, 0x2000, v31
	v_pk_fma_f16 v54, v68, v10, v54
	v_pk_fma_f16 v55, v69, v10, v55
	v_pk_fma_f16 v68, v70, v10, v9
	ds_read2_b64 v[9:12], v67 offset1:32
	v_mul_u32_u24_sdwa v69, v5, s34 dst_sel:DWORD dst_unused:UNUSED_PAD src0_sel:WORD_0 src1_sel:DWORD
	v_mul_u32_u24_sdwa v5, v5, s34 dst_sel:DWORD dst_unused:UNUSED_PAD src0_sel:WORD_1 src1_sel:DWORD
	s_waitcnt lgkmcnt(0)
	v_pk_fma_f16 v63, v9, v69, v63
	v_pk_fma_f16 v54, v10, v69, v54
	v_pk_fma_f16 v55, v11, v69, v55
	v_pk_fma_f16 v68, v12, v69, v68
	ds_read2_b64 v[9:12], v67 offset0:64 offset1:96
	s_waitcnt lgkmcnt(0)
	v_pk_fma_f16 v63, v9, v5, v63
	v_pk_fma_f16 v54, v10, v5, v54
	;; [unrolled: 1-line block ×4, first 2 shown]
	ds_read2_b64 v[9:12], v67 offset0:128 offset1:160
	v_mul_u32_u24_sdwa v68, v6, s34 dst_sel:DWORD dst_unused:UNUSED_PAD src0_sel:WORD_0 src1_sel:DWORD
	v_mul_u32_u24_sdwa v6, v6, s34 dst_sel:DWORD dst_unused:UNUSED_PAD src0_sel:WORD_1 src1_sel:DWORD
	s_waitcnt lgkmcnt(0)
	v_pk_fma_f16 v63, v9, v68, v63
	v_pk_fma_f16 v54, v10, v68, v54
	;; [unrolled: 1-line block ×4, first 2 shown]
	ds_read2_b64 v[9:12], v67 offset0:192 offset1:224
	s_waitcnt lgkmcnt(0)
	v_pk_fma_f16 v68, v9, v6, v63
	v_add_u32_e32 v63, 0x2800, v31
	v_pk_fma_f16 v54, v10, v6, v54
	v_pk_fma_f16 v55, v11, v6, v55
	;; [unrolled: 1-line block ×3, first 2 shown]
	ds_read2_b64 v[9:12], v63 offset1:32
	v_mul_u32_u24_sdwa v6, v7, s34 dst_sel:DWORD dst_unused:UNUSED_PAD src0_sel:WORD_0 src1_sel:DWORD
	s_waitcnt lgkmcnt(0)
	v_pk_fma_f16 v68, v9, v6, v68
	v_pk_fma_f16 v54, v10, v6, v54
	;; [unrolled: 1-line block ×4, first 2 shown]
	ds_read2_b64 v[9:12], v63 offset0:64 offset1:96
	v_mul_u32_u24_sdwa v6, v7, s34 dst_sel:DWORD dst_unused:UNUSED_PAD src0_sel:WORD_1 src1_sel:DWORD
	s_waitcnt lgkmcnt(0)
	v_pk_fma_f16 v7, v9, v6, v68
	v_pk_fma_f16 v54, v10, v6, v54
	;; [unrolled: 1-line block ×4, first 2 shown]
	ds_read2_b64 v[9:12], v63 offset0:128 offset1:160
	v_mul_u32_u24_sdwa v6, v8, s34 dst_sel:DWORD dst_unused:UNUSED_PAD src0_sel:WORD_0 src1_sel:DWORD
	s_waitcnt lgkmcnt(0)
	v_pk_fma_f16 v7, v9, v6, v7
	v_pk_fma_f16 v54, v10, v6, v54
	;; [unrolled: 1-line block ×4, first 2 shown]
	ds_read2_b64 v[9:12], v63 offset0:192 offset1:224
	v_mul_u32_u24_sdwa v6, v8, s34 dst_sel:DWORD dst_unused:UNUSED_PAD src0_sel:WORD_1 src1_sel:DWORD
	s_waitcnt lgkmcnt(0)
	v_pk_fma_f16 v11, v11, v6, v55
	v_add_u32_e32 v55, 0x3000, v31
	v_pk_fma_f16 v9, v9, v6, v7
	v_pk_fma_f16 v10, v10, v6, v54
	;; [unrolled: 1-line block ×3, first 2 shown]
	ds_read2_b64 v[5:8], v55 offset1:32
	v_mul_u32_u24_sdwa v54, v1, s34 dst_sel:DWORD dst_unused:UNUSED_PAD src0_sel:WORD_0 src1_sel:DWORD
	v_mul_u32_u24_sdwa v1, v1, s34 dst_sel:DWORD dst_unused:UNUSED_PAD src0_sel:WORD_1 src1_sel:DWORD
	s_waitcnt lgkmcnt(0)
	v_pk_fma_f16 v9, v5, v54, v9
	v_pk_fma_f16 v10, v6, v54, v10
	;; [unrolled: 1-line block ×4, first 2 shown]
	ds_read2_b64 v[5:8], v55 offset0:64 offset1:96
	v_add_u32_e32 v54, 0x3800, v31
	s_waitcnt lgkmcnt(0)
	v_pk_fma_f16 v9, v5, v1, v9
	v_pk_fma_f16 v10, v6, v1, v10
	;; [unrolled: 1-line block ×4, first 2 shown]
	ds_read2_b64 v[5:8], v55 offset0:128 offset1:160
	v_mul_u32_u24_sdwa v12, v2, s34 dst_sel:DWORD dst_unused:UNUSED_PAD src0_sel:WORD_0 src1_sel:DWORD
	v_mul_u32_u24_sdwa v2, v2, s34 dst_sel:DWORD dst_unused:UNUSED_PAD src0_sel:WORD_1 src1_sel:DWORD
	s_waitcnt lgkmcnt(0)
	v_pk_fma_f16 v9, v5, v12, v9
	v_pk_fma_f16 v10, v6, v12, v10
	;; [unrolled: 1-line block ×4, first 2 shown]
	ds_read2_b64 v[5:8], v55 offset0:192 offset1:224
	s_waitcnt lgkmcnt(0)
	v_pk_fma_f16 v9, v5, v2, v9
	v_pk_fma_f16 v10, v6, v2, v10
	;; [unrolled: 1-line block ×4, first 2 shown]
	ds_read2_b64 v[5:8], v54 offset1:32
	v_mul_u32_u24_sdwa v2, v3, s34 dst_sel:DWORD dst_unused:UNUSED_PAD src0_sel:WORD_0 src1_sel:DWORD
	s_waitcnt lgkmcnt(0)
	v_pk_fma_f16 v9, v5, v2, v9
	v_pk_fma_f16 v10, v6, v2, v10
	;; [unrolled: 1-line block ×4, first 2 shown]
	ds_read2_b64 v[5:8], v54 offset0:64 offset1:96
	v_mul_u32_u24_sdwa v2, v3, s34 dst_sel:DWORD dst_unused:UNUSED_PAD src0_sel:WORD_1 src1_sel:DWORD
	s_waitcnt lgkmcnt(0)
	v_pk_fma_f16 v3, v5, v2, v9
	v_pk_fma_f16 v9, v6, v2, v10
	;; [unrolled: 1-line block ×4, first 2 shown]
	ds_read2_b64 v[5:8], v54 offset0:128 offset1:160
	v_mul_u32_u24_sdwa v2, v4, s34 dst_sel:DWORD dst_unused:UNUSED_PAD src0_sel:WORD_0 src1_sel:DWORD
	s_waitcnt lgkmcnt(0)
	v_pk_fma_f16 v3, v5, v2, v3
	v_pk_fma_f16 v9, v6, v2, v9
	;; [unrolled: 1-line block ×4, first 2 shown]
	ds_read2_b64 v[5:8], v54 offset0:192 offset1:224
	v_mul_u32_u24_sdwa v2, v4, s34 dst_sel:DWORD dst_unused:UNUSED_PAD src0_sel:WORD_1 src1_sel:DWORD
	s_waitcnt lgkmcnt(0)
	s_barrier
	v_pk_fma_f16 v76, v5, v2, v3
	v_pk_fma_f16 v77, v6, v2, v9
	;; [unrolled: 1-line block ×4, first 2 shown]
	v_add_co_u32_e32 v1, vcc, s8, v22
	v_mov_b32_e32 v2, s9
	v_addc_co_u32_e32 v2, vcc, v2, v23, vcc
	v_add_co_u32_e32 v1, vcc, v1, v44
	v_addc_co_u32_e32 v2, vcc, 0, v2, vcc
	global_load_dwordx4 v[1:4], v[1:2], off
	s_waitcnt vmcnt(0)
	ds_write_b128 v45, v[1:4]
	v_add_co_u32_e32 v1, vcc, s8, v24
	v_mov_b32_e32 v2, s9
	v_addc_co_u32_e32 v2, vcc, v2, v25, vcc
	v_add_co_u32_e32 v1, vcc, v1, v44
	v_addc_co_u32_e32 v2, vcc, 0, v2, vcc
	global_load_dwordx4 v[1:4], v[1:2], off
	s_waitcnt vmcnt(0)
	ds_write_b128 v46, v[1:4]
	;; [unrolled: 8-line block ×4, first 2 shown]
	s_waitcnt lgkmcnt(0)
	s_barrier
	ds_read2_b64 v[68:71], v31 offset1:32
	ds_read_b128 v[72:75], v42 offset:64
	ds_read_b128 v[9:12], v42 offset:80
	;; [unrolled: 1-line block ×4, first 2 shown]
	s_waitcnt lgkmcnt(3)
	v_mul_u32_u24_sdwa v80, v72, s34 dst_sel:DWORD dst_unused:UNUSED_PAD src0_sel:WORD_0 src1_sel:DWORD
	v_pk_fma_f16 v76, v68, v80, v76
	v_pk_fma_f16 v77, v69, v80, v77
	;; [unrolled: 1-line block ×4, first 2 shown]
	ds_read2_b64 v[68:71], v31 offset0:64 offset1:96
	v_mul_u32_u24_sdwa v72, v72, s34 dst_sel:DWORD dst_unused:UNUSED_PAD src0_sel:WORD_1 src1_sel:DWORD
	s_waitcnt lgkmcnt(0)
	v_pk_fma_f16 v76, v68, v72, v76
	v_pk_fma_f16 v77, v69, v72, v77
	;; [unrolled: 1-line block ×4, first 2 shown]
	ds_read2_b64 v[68:71], v31 offset0:128 offset1:160
	v_mul_u32_u24_sdwa v79, v73, s34 dst_sel:DWORD dst_unused:UNUSED_PAD src0_sel:WORD_0 src1_sel:DWORD
	v_mul_u32_u24_sdwa v73, v73, s34 dst_sel:DWORD dst_unused:UNUSED_PAD src0_sel:WORD_1 src1_sel:DWORD
	s_waitcnt lgkmcnt(0)
	v_pk_fma_f16 v76, v68, v79, v76
	v_pk_fma_f16 v77, v69, v79, v77
	;; [unrolled: 1-line block ×4, first 2 shown]
	ds_read2_b64 v[68:71], v31 offset0:192 offset1:224
	s_waitcnt lgkmcnt(0)
	v_pk_fma_f16 v76, v68, v73, v76
	v_pk_fma_f16 v77, v69, v73, v77
	;; [unrolled: 1-line block ×4, first 2 shown]
	ds_read2_b64 v[68:71], v64 offset1:32
	v_mul_u32_u24_sdwa v73, v74, s34 dst_sel:DWORD dst_unused:UNUSED_PAD src0_sel:WORD_0 src1_sel:DWORD
	s_waitcnt lgkmcnt(0)
	v_pk_fma_f16 v76, v68, v73, v76
	v_pk_fma_f16 v77, v69, v73, v77
	;; [unrolled: 1-line block ×4, first 2 shown]
	ds_read2_b64 v[68:71], v64 offset0:64 offset1:96
	v_mul_u32_u24_sdwa v73, v74, s34 dst_sel:DWORD dst_unused:UNUSED_PAD src0_sel:WORD_1 src1_sel:DWORD
	s_waitcnt lgkmcnt(0)
	v_pk_fma_f16 v74, v68, v73, v76
	v_pk_fma_f16 v76, v69, v73, v77
	;; [unrolled: 1-line block ×4, first 2 shown]
	ds_read2_b64 v[68:71], v64 offset0:128 offset1:160
	v_mul_u32_u24_sdwa v73, v75, s34 dst_sel:DWORD dst_unused:UNUSED_PAD src0_sel:WORD_0 src1_sel:DWORD
	s_waitcnt lgkmcnt(0)
	v_pk_fma_f16 v74, v68, v73, v74
	v_pk_fma_f16 v76, v69, v73, v76
	;; [unrolled: 1-line block ×4, first 2 shown]
	ds_read2_b64 v[68:71], v64 offset0:192 offset1:224
	v_mul_u32_u24_sdwa v64, v75, s34 dst_sel:DWORD dst_unused:UNUSED_PAD src0_sel:WORD_1 src1_sel:DWORD
	s_waitcnt lgkmcnt(0)
	v_pk_fma_f16 v73, v68, v64, v74
	v_pk_fma_f16 v74, v69, v64, v76
	;; [unrolled: 1-line block ×4, first 2 shown]
	ds_read2_b64 v[68:71], v65 offset1:32
	v_mul_u32_u24_sdwa v72, v9, s34 dst_sel:DWORD dst_unused:UNUSED_PAD src0_sel:WORD_0 src1_sel:DWORD
	v_mul_u32_u24_sdwa v9, v9, s34 dst_sel:DWORD dst_unused:UNUSED_PAD src0_sel:WORD_1 src1_sel:DWORD
	s_waitcnt lgkmcnt(0)
	v_pk_fma_f16 v73, v68, v72, v73
	v_pk_fma_f16 v74, v69, v72, v74
	v_pk_fma_f16 v75, v70, v72, v75
	v_pk_fma_f16 v64, v71, v72, v64
	ds_read2_b64 v[68:71], v65 offset0:64 offset1:96
	s_waitcnt lgkmcnt(0)
	v_pk_fma_f16 v72, v68, v9, v73
	v_pk_fma_f16 v73, v69, v9, v74
	;; [unrolled: 1-line block ×4, first 2 shown]
	ds_read2_b64 v[68:71], v65 offset0:128 offset1:160
	v_mul_u32_u24_sdwa v64, v10, s34 dst_sel:DWORD dst_unused:UNUSED_PAD src0_sel:WORD_0 src1_sel:DWORD
	v_mul_u32_u24_sdwa v10, v10, s34 dst_sel:DWORD dst_unused:UNUSED_PAD src0_sel:WORD_1 src1_sel:DWORD
	s_waitcnt lgkmcnt(0)
	v_pk_fma_f16 v72, v68, v64, v72
	v_pk_fma_f16 v73, v69, v64, v73
	;; [unrolled: 1-line block ×4, first 2 shown]
	ds_read2_b64 v[68:71], v65 offset0:192 offset1:224
	s_waitcnt lgkmcnt(0)
	v_pk_fma_f16 v64, v68, v10, v72
	v_pk_fma_f16 v65, v69, v10, v73
	;; [unrolled: 1-line block ×4, first 2 shown]
	ds_read2_b64 v[68:71], v66 offset1:32
	v_mul_u32_u24_sdwa v10, v11, s34 dst_sel:DWORD dst_unused:UNUSED_PAD src0_sel:WORD_0 src1_sel:DWORD
	s_waitcnt lgkmcnt(0)
	v_pk_fma_f16 v64, v68, v10, v64
	v_pk_fma_f16 v65, v69, v10, v65
	;; [unrolled: 1-line block ×4, first 2 shown]
	ds_read2_b64 v[68:71], v66 offset0:64 offset1:96
	v_mul_u32_u24_sdwa v10, v11, s34 dst_sel:DWORD dst_unused:UNUSED_PAD src0_sel:WORD_1 src1_sel:DWORD
	s_waitcnt lgkmcnt(0)
	v_pk_fma_f16 v11, v68, v10, v64
	v_pk_fma_f16 v64, v69, v10, v65
	;; [unrolled: 1-line block ×4, first 2 shown]
	ds_read2_b64 v[68:71], v66 offset0:128 offset1:160
	v_mul_u32_u24_sdwa v10, v12, s34 dst_sel:DWORD dst_unused:UNUSED_PAD src0_sel:WORD_0 src1_sel:DWORD
	s_waitcnt lgkmcnt(0)
	v_pk_fma_f16 v11, v68, v10, v11
	v_pk_fma_f16 v64, v69, v10, v64
	;; [unrolled: 1-line block ×4, first 2 shown]
	ds_read2_b64 v[68:71], v66 offset0:192 offset1:224
	v_mul_u32_u24_sdwa v10, v12, s34 dst_sel:DWORD dst_unused:UNUSED_PAD src0_sel:WORD_1 src1_sel:DWORD
	s_waitcnt lgkmcnt(0)
	v_pk_fma_f16 v66, v68, v10, v11
	v_pk_fma_f16 v64, v69, v10, v64
	;; [unrolled: 1-line block ×4, first 2 shown]
	ds_read2_b64 v[9:12], v67 offset1:32
	v_mul_u32_u24_sdwa v69, v5, s34 dst_sel:DWORD dst_unused:UNUSED_PAD src0_sel:WORD_0 src1_sel:DWORD
	v_mul_u32_u24_sdwa v5, v5, s34 dst_sel:DWORD dst_unused:UNUSED_PAD src0_sel:WORD_1 src1_sel:DWORD
	s_waitcnt lgkmcnt(0)
	v_pk_fma_f16 v66, v9, v69, v66
	v_pk_fma_f16 v64, v10, v69, v64
	;; [unrolled: 1-line block ×4, first 2 shown]
	ds_read2_b64 v[9:12], v67 offset0:64 offset1:96
	s_waitcnt lgkmcnt(0)
	v_pk_fma_f16 v66, v9, v5, v66
	v_pk_fma_f16 v64, v10, v5, v64
	;; [unrolled: 1-line block ×4, first 2 shown]
	ds_read2_b64 v[9:12], v67 offset0:128 offset1:160
	v_mul_u32_u24_sdwa v68, v6, s34 dst_sel:DWORD dst_unused:UNUSED_PAD src0_sel:WORD_0 src1_sel:DWORD
	v_mul_u32_u24_sdwa v6, v6, s34 dst_sel:DWORD dst_unused:UNUSED_PAD src0_sel:WORD_1 src1_sel:DWORD
	s_waitcnt lgkmcnt(0)
	v_pk_fma_f16 v66, v9, v68, v66
	v_pk_fma_f16 v64, v10, v68, v64
	;; [unrolled: 1-line block ×4, first 2 shown]
	ds_read2_b64 v[9:12], v67 offset0:192 offset1:224
	s_waitcnt lgkmcnt(0)
	v_pk_fma_f16 v66, v9, v6, v66
	v_pk_fma_f16 v64, v10, v6, v64
	v_pk_fma_f16 v65, v11, v6, v65
	v_pk_fma_f16 v5, v12, v6, v5
	ds_read2_b64 v[9:12], v63 offset1:32
	v_mul_u32_u24_sdwa v6, v7, s34 dst_sel:DWORD dst_unused:UNUSED_PAD src0_sel:WORD_0 src1_sel:DWORD
	s_waitcnt lgkmcnt(0)
	v_pk_fma_f16 v66, v9, v6, v66
	v_pk_fma_f16 v64, v10, v6, v64
	;; [unrolled: 1-line block ×4, first 2 shown]
	ds_read2_b64 v[9:12], v63 offset0:64 offset1:96
	v_mul_u32_u24_sdwa v6, v7, s34 dst_sel:DWORD dst_unused:UNUSED_PAD src0_sel:WORD_1 src1_sel:DWORD
	s_waitcnt lgkmcnt(0)
	v_pk_fma_f16 v7, v9, v6, v66
	v_pk_fma_f16 v64, v10, v6, v64
	;; [unrolled: 1-line block ×4, first 2 shown]
	ds_read2_b64 v[9:12], v63 offset0:128 offset1:160
	v_mul_u32_u24_sdwa v6, v8, s34 dst_sel:DWORD dst_unused:UNUSED_PAD src0_sel:WORD_0 src1_sel:DWORD
	s_waitcnt lgkmcnt(0)
	v_pk_fma_f16 v7, v9, v6, v7
	v_pk_fma_f16 v64, v10, v6, v64
	v_pk_fma_f16 v65, v11, v6, v65
	v_pk_fma_f16 v5, v12, v6, v5
	ds_read2_b64 v[9:12], v63 offset0:192 offset1:224
	v_mul_u32_u24_sdwa v6, v8, s34 dst_sel:DWORD dst_unused:UNUSED_PAD src0_sel:WORD_1 src1_sel:DWORD
	v_mul_u32_u24_sdwa v63, v1, s34 dst_sel:DWORD dst_unused:UNUSED_PAD src0_sel:WORD_0 src1_sel:DWORD
	v_mul_u32_u24_sdwa v1, v1, s34 dst_sel:DWORD dst_unused:UNUSED_PAD src0_sel:WORD_1 src1_sel:DWORD
	s_waitcnt lgkmcnt(0)
	v_pk_fma_f16 v9, v9, v6, v7
	v_pk_fma_f16 v10, v10, v6, v64
	;; [unrolled: 1-line block ×4, first 2 shown]
	ds_read2_b64 v[5:8], v55 offset1:32
	s_waitcnt lgkmcnt(0)
	v_pk_fma_f16 v9, v5, v63, v9
	v_pk_fma_f16 v10, v6, v63, v10
	;; [unrolled: 1-line block ×4, first 2 shown]
	ds_read2_b64 v[5:8], v55 offset0:64 offset1:96
	s_waitcnt lgkmcnt(0)
	v_pk_fma_f16 v9, v5, v1, v9
	v_pk_fma_f16 v10, v6, v1, v10
	;; [unrolled: 1-line block ×4, first 2 shown]
	ds_read2_b64 v[5:8], v55 offset0:128 offset1:160
	v_mul_u32_u24_sdwa v12, v2, s34 dst_sel:DWORD dst_unused:UNUSED_PAD src0_sel:WORD_0 src1_sel:DWORD
	v_mul_u32_u24_sdwa v2, v2, s34 dst_sel:DWORD dst_unused:UNUSED_PAD src0_sel:WORD_1 src1_sel:DWORD
	s_waitcnt lgkmcnt(0)
	v_pk_fma_f16 v9, v5, v12, v9
	v_pk_fma_f16 v10, v6, v12, v10
	;; [unrolled: 1-line block ×4, first 2 shown]
	ds_read2_b64 v[5:8], v55 offset0:192 offset1:224
	s_waitcnt lgkmcnt(0)
	v_pk_fma_f16 v9, v5, v2, v9
	v_pk_fma_f16 v10, v6, v2, v10
	;; [unrolled: 1-line block ×4, first 2 shown]
	ds_read2_b64 v[5:8], v54 offset1:32
	v_mul_u32_u24_sdwa v2, v3, s34 dst_sel:DWORD dst_unused:UNUSED_PAD src0_sel:WORD_0 src1_sel:DWORD
	s_waitcnt lgkmcnt(0)
	v_pk_fma_f16 v9, v5, v2, v9
	v_pk_fma_f16 v10, v6, v2, v10
	;; [unrolled: 1-line block ×4, first 2 shown]
	ds_read2_b64 v[5:8], v54 offset0:64 offset1:96
	v_mul_u32_u24_sdwa v2, v3, s34 dst_sel:DWORD dst_unused:UNUSED_PAD src0_sel:WORD_1 src1_sel:DWORD
	s_waitcnt lgkmcnt(0)
	v_pk_fma_f16 v3, v5, v2, v9
	v_pk_fma_f16 v9, v6, v2, v10
	;; [unrolled: 1-line block ×4, first 2 shown]
	ds_read2_b64 v[5:8], v54 offset0:128 offset1:160
	v_mul_u32_u24_sdwa v2, v4, s34 dst_sel:DWORD dst_unused:UNUSED_PAD src0_sel:WORD_0 src1_sel:DWORD
	s_waitcnt lgkmcnt(0)
	v_pk_fma_f16 v3, v5, v2, v3
	v_pk_fma_f16 v9, v6, v2, v9
	;; [unrolled: 1-line block ×4, first 2 shown]
	ds_read2_b64 v[5:8], v54 offset0:192 offset1:224
	s_waitcnt lgkmcnt(0)
	s_barrier
	s_load_dword s8, s[0:1], 0x4
	v_mul_u32_u24_sdwa v2, v4, s34 dst_sel:DWORD dst_unused:UNUSED_PAD src0_sel:WORD_1 src1_sel:DWORD
	v_pk_fma_f16 v54, v5, v2, v3
	v_pk_fma_f16 v55, v6, v2, v9
	;; [unrolled: 1-line block ×3, first 2 shown]
	s_waitcnt lgkmcnt(0)
	s_lshl_b32 s8, s8, 6
	s_add_i32 s6, s8, s6
	v_pk_fma_f16 v9, v8, v2, v1
	s_cmp_ge_i32 s6, s28
	s_cbranch_scc1 .LBB67_7
; %bb.24:                               ;   in Loop: Header=BB67_15 Depth=1
	v_mov_b32_e32 v12, v30
	v_mov_b32_e32 v11, v62
	s_branch .LBB67_15
	.section	.rodata,"a",@progbits
	.p2align	6, 0x0
	.amdhsa_kernel _ZL15flash_attn_tileILi256ELi256ELi4ELi2ELb1EEvPKcS1_S1_S1_S1_PKiPfP15HIP_vector_typeIfLj2EEffffjfiS5_IjLj3EEiiiiiiiiiiiliiliiiiil
		.amdhsa_group_segment_fixed_size 22528
		.amdhsa_private_segment_fixed_size 0
		.amdhsa_kernarg_size 464
		.amdhsa_user_sgpr_count 6
		.amdhsa_user_sgpr_private_segment_buffer 1
		.amdhsa_user_sgpr_dispatch_ptr 0
		.amdhsa_user_sgpr_queue_ptr 0
		.amdhsa_user_sgpr_kernarg_segment_ptr 1
		.amdhsa_user_sgpr_dispatch_id 0
		.amdhsa_user_sgpr_flat_scratch_init 0
		.amdhsa_user_sgpr_private_segment_size 0
		.amdhsa_uses_dynamic_stack 0
		.amdhsa_system_sgpr_private_segment_wavefront_offset 0
		.amdhsa_system_sgpr_workgroup_id_x 1
		.amdhsa_system_sgpr_workgroup_id_y 1
		.amdhsa_system_sgpr_workgroup_id_z 1
		.amdhsa_system_sgpr_workgroup_info 0
		.amdhsa_system_vgpr_workitem_id 1
		.amdhsa_next_free_vgpr 85
		.amdhsa_next_free_sgpr 98
		.amdhsa_reserve_vcc 1
		.amdhsa_reserve_flat_scratch 0
		.amdhsa_float_round_mode_32 0
		.amdhsa_float_round_mode_16_64 0
		.amdhsa_float_denorm_mode_32 3
		.amdhsa_float_denorm_mode_16_64 3
		.amdhsa_dx10_clamp 1
		.amdhsa_ieee_mode 1
		.amdhsa_fp16_overflow 0
		.amdhsa_exception_fp_ieee_invalid_op 0
		.amdhsa_exception_fp_denorm_src 0
		.amdhsa_exception_fp_ieee_div_zero 0
		.amdhsa_exception_fp_ieee_overflow 0
		.amdhsa_exception_fp_ieee_underflow 0
		.amdhsa_exception_fp_ieee_inexact 0
		.amdhsa_exception_int_div_zero 0
	.end_amdhsa_kernel
	.section	.text._ZL15flash_attn_tileILi256ELi256ELi4ELi2ELb1EEvPKcS1_S1_S1_S1_PKiPfP15HIP_vector_typeIfLj2EEffffjfiS5_IjLj3EEiiiiiiiiiiiliiliiiiil,"axG",@progbits,_ZL15flash_attn_tileILi256ELi256ELi4ELi2ELb1EEvPKcS1_S1_S1_S1_PKiPfP15HIP_vector_typeIfLj2EEffffjfiS5_IjLj3EEiiiiiiiiiiiliiliiiiil,comdat
.Lfunc_end67:
	.size	_ZL15flash_attn_tileILi256ELi256ELi4ELi2ELb1EEvPKcS1_S1_S1_S1_PKiPfP15HIP_vector_typeIfLj2EEffffjfiS5_IjLj3EEiiiiiiiiiiiliiliiiiil, .Lfunc_end67-_ZL15flash_attn_tileILi256ELi256ELi4ELi2ELb1EEvPKcS1_S1_S1_S1_PKiPfP15HIP_vector_typeIfLj2EEffffjfiS5_IjLj3EEiiiiiiiiiiiliiliiiiil
                                        ; -- End function
	.set _ZL15flash_attn_tileILi256ELi256ELi4ELi2ELb1EEvPKcS1_S1_S1_S1_PKiPfP15HIP_vector_typeIfLj2EEffffjfiS5_IjLj3EEiiiiiiiiiiiliiliiiiil.num_vgpr, 81
	.set _ZL15flash_attn_tileILi256ELi256ELi4ELi2ELb1EEvPKcS1_S1_S1_S1_PKiPfP15HIP_vector_typeIfLj2EEffffjfiS5_IjLj3EEiiiiiiiiiiiliiliiiiil.num_agpr, 0
	.set _ZL15flash_attn_tileILi256ELi256ELi4ELi2ELb1EEvPKcS1_S1_S1_S1_PKiPfP15HIP_vector_typeIfLj2EEffffjfiS5_IjLj3EEiiiiiiiiiiiliiliiiiil.numbered_sgpr, 40
	.set _ZL15flash_attn_tileILi256ELi256ELi4ELi2ELb1EEvPKcS1_S1_S1_S1_PKiPfP15HIP_vector_typeIfLj2EEffffjfiS5_IjLj3EEiiiiiiiiiiiliiliiiiil.num_named_barrier, 0
	.set _ZL15flash_attn_tileILi256ELi256ELi4ELi2ELb1EEvPKcS1_S1_S1_S1_PKiPfP15HIP_vector_typeIfLj2EEffffjfiS5_IjLj3EEiiiiiiiiiiiliiliiiiil.private_seg_size, 0
	.set _ZL15flash_attn_tileILi256ELi256ELi4ELi2ELb1EEvPKcS1_S1_S1_S1_PKiPfP15HIP_vector_typeIfLj2EEffffjfiS5_IjLj3EEiiiiiiiiiiiliiliiiiil.uses_vcc, 1
	.set _ZL15flash_attn_tileILi256ELi256ELi4ELi2ELb1EEvPKcS1_S1_S1_S1_PKiPfP15HIP_vector_typeIfLj2EEffffjfiS5_IjLj3EEiiiiiiiiiiiliiliiiiil.uses_flat_scratch, 0
	.set _ZL15flash_attn_tileILi256ELi256ELi4ELi2ELb1EEvPKcS1_S1_S1_S1_PKiPfP15HIP_vector_typeIfLj2EEffffjfiS5_IjLj3EEiiiiiiiiiiiliiliiiiil.has_dyn_sized_stack, 0
	.set _ZL15flash_attn_tileILi256ELi256ELi4ELi2ELb1EEvPKcS1_S1_S1_S1_PKiPfP15HIP_vector_typeIfLj2EEffffjfiS5_IjLj3EEiiiiiiiiiiiliiliiiiil.has_recursion, 0
	.set _ZL15flash_attn_tileILi256ELi256ELi4ELi2ELb1EEvPKcS1_S1_S1_S1_PKiPfP15HIP_vector_typeIfLj2EEffffjfiS5_IjLj3EEiiiiiiiiiiiliiliiiiil.has_indirect_call, 0
	.section	.AMDGPU.csdata,"",@progbits
; Kernel info:
; codeLenInByte = 10668
; TotalNumSgprs: 44
; NumVgprs: 81
; ScratchSize: 0
; MemoryBound: 0
; FloatMode: 240
; IeeeMode: 1
; LDSByteSize: 22528 bytes/workgroup (compile time only)
; SGPRBlocks: 12
; VGPRBlocks: 21
; NumSGPRsForWavesPerEU: 102
; NumVGPRsForWavesPerEU: 85
; Occupancy: 2
; WaveLimiterHint : 1
; COMPUTE_PGM_RSRC2:SCRATCH_EN: 0
; COMPUTE_PGM_RSRC2:USER_SGPR: 6
; COMPUTE_PGM_RSRC2:TRAP_HANDLER: 0
; COMPUTE_PGM_RSRC2:TGID_X_EN: 1
; COMPUTE_PGM_RSRC2:TGID_Y_EN: 1
; COMPUTE_PGM_RSRC2:TGID_Z_EN: 1
; COMPUTE_PGM_RSRC2:TIDIG_COMP_CNT: 1
	.section	.text._ZL15flash_attn_tileILi256ELi256ELi2ELi2ELb1EEvPKcS1_S1_S1_S1_PKiPfP15HIP_vector_typeIfLj2EEffffjfiS5_IjLj3EEiiiiiiiiiiiliiliiiiil,"axG",@progbits,_ZL15flash_attn_tileILi256ELi256ELi2ELi2ELb1EEvPKcS1_S1_S1_S1_PKiPfP15HIP_vector_typeIfLj2EEffffjfiS5_IjLj3EEiiiiiiiiiiiliiliiiiil,comdat
	.globl	_ZL15flash_attn_tileILi256ELi256ELi2ELi2ELb1EEvPKcS1_S1_S1_S1_PKiPfP15HIP_vector_typeIfLj2EEffffjfiS5_IjLj3EEiiiiiiiiiiiliiliiiiil ; -- Begin function _ZL15flash_attn_tileILi256ELi256ELi2ELi2ELb1EEvPKcS1_S1_S1_S1_PKiPfP15HIP_vector_typeIfLj2EEffffjfiS5_IjLj3EEiiiiiiiiiiiliiliiiiil
	.p2align	8
	.type	_ZL15flash_attn_tileILi256ELi256ELi2ELi2ELb1EEvPKcS1_S1_S1_S1_PKiPfP15HIP_vector_typeIfLj2EEffffjfiS5_IjLj3EEiiiiiiiiiiiliiliiiiil,@function
_ZL15flash_attn_tileILi256ELi256ELi2ELi2ELb1EEvPKcS1_S1_S1_S1_PKiPfP15HIP_vector_typeIfLj2EEffffjfiS5_IjLj3EEiiiiiiiiiiiliiliiiiil: ; @_ZL15flash_attn_tileILi256ELi256ELi2ELi2ELb1EEvPKcS1_S1_S1_S1_PKiPfP15HIP_vector_typeIfLj2EEffffjfiS5_IjLj3EEiiiiiiiiiiiliiliiiiil
; %bb.0:
	s_load_dwordx4 s[0:3], s[4:5], 0x5c
	s_load_dwordx2 s[28:29], s[4:5], 0x80
	s_load_dwordx2 s[34:35], s[4:5], 0xb8
	s_mov_b64 s[30:31], 0
	s_waitcnt lgkmcnt(0)
	s_lshr_b32 s9, s3, 31
	s_add_i32 s9, s3, s9
	s_ashr_i32 s9, s9, 1
	v_cvt_f32_u32_e32 v2, s9
	s_sub_i32 s10, 0, s9
	v_rcp_iflag_f32_e32 v2, v2
	v_mul_f32_e32 v2, 0x4f7ffffe, v2
	v_cvt_u32_f32_e32 v2, v2
	v_readfirstlane_b32 s11, v2
	s_mul_i32 s10, s10, s11
	s_mul_hi_u32 s10, s11, s10
	s_add_i32 s11, s11, s10
	s_mul_hi_u32 s10, s8, s11
	s_mul_i32 s11, s10, s9
	s_sub_i32 s11, s8, s11
	s_add_i32 s12, s10, 1
	s_sub_i32 s13, s11, s9
	s_cmp_ge_u32 s11, s9
	s_cselect_b32 s10, s12, s10
	s_cselect_b32 s11, s13, s11
	s_add_i32 s12, s10, 1
	s_cmp_ge_u32 s11, s9
	s_cselect_b32 s33, s12, s10
	s_abs_i32 s9, s29
	v_cvt_f32_u32_e32 v2, s9
	s_lshl_b32 s8, s8, 1
	s_mul_i32 s12, s33, s3
	s_xor_b32 s10, s3, s29
	v_rcp_iflag_f32_e32 v2, v2
	s_sub_i32 s13, 0, s9
	s_sub_i32 s29, s8, s12
	s_abs_i32 s11, s3
	v_mul_f32_e32 v2, 0x4f7ffffe, v2
	v_cvt_u32_f32_e32 v2, v2
	s_ashr_i32 s10, s10, 31
	v_readfirstlane_b32 s8, v2
	s_mul_i32 s13, s13, s8
	s_mul_hi_u32 s12, s8, s13
	s_add_i32 s8, s8, s12
	s_mul_hi_u32 s8, s11, s8
	s_mul_i32 s12, s8, s9
	s_sub_i32 s11, s11, s12
	s_add_i32 s13, s8, 1
	s_sub_i32 s12, s11, s9
	s_cmp_ge_u32 s11, s9
	s_cselect_b32 s8, s13, s8
	s_cselect_b32 s11, s12, s11
	s_add_i32 s12, s8, 1
	s_cmp_ge_u32 s11, s9
	s_cselect_b32 s8, s12, s8
	s_xor_b32 s8, s8, s10
	s_sub_i32 s37, s8, s10
	s_abs_i32 s36, s37
	v_cvt_f32_u32_e32 v2, s36
	s_load_dwordx16 s[8:23], s[4:5], 0x0
	v_rcp_iflag_f32_e32 v2, v2
	s_waitcnt lgkmcnt(0)
	s_cmp_eq_u64 s[14:15], 0
	v_mul_f32_e32 v2, 0x4f7ffffe, v2
	v_cvt_u32_f32_e32 v2, v2
	v_readfirstlane_b32 s38, v2
	s_cbranch_scc1 .LBB68_2
; %bb.1:
	s_abs_i32 s26, s34
	v_cvt_f32_u32_e32 v2, s26
	s_sub_i32 s31, 0, s26
	s_abs_i32 s30, s33
	s_ashr_i32 s27, s33, 31
	v_rcp_iflag_f32_e32 v2, v2
	s_load_dwordx2 s[24:25], s[4:5], 0xc8
	v_mul_f32_e32 v2, 0x4f7ffffe, v2
	v_cvt_u32_f32_e32 v2, v2
	v_readfirstlane_b32 s34, v2
	s_mul_i32 s31, s31, s34
	s_mul_hi_u32 s31, s34, s31
	s_add_i32 s34, s34, s31
	s_mul_hi_u32 s31, s30, s34
	s_mul_i32 s31, s31, s26
	s_sub_i32 s30, s30, s31
	s_sub_i32 s31, s30, s26
	s_cmp_ge_u32 s30, s26
	s_cselect_b32 s30, s31, s30
	s_sub_i32 s31, s30, s26
	s_cmp_ge_u32 s30, s26
	s_cselect_b32 s26, s31, s30
	s_xor_b32 s26, s26, s27
	s_sub_i32 s26, s26, s27
	s_ashr_i32 s27, s26, 31
	s_waitcnt lgkmcnt(0)
	s_mul_hi_u32 s30, s24, s26
	s_mul_i32 s27, s24, s27
	s_mul_i32 s25, s25, s26
	s_add_i32 s27, s30, s27
	s_add_i32 s27, s27, s25
	s_mul_i32 s24, s24, s26
	s_add_u32 s30, s14, s24
	s_addc_u32 s31, s15, s27
.LBB68_2:
	v_lshrrev_b32_e32 v2, 2, v1
	s_load_dwordx4 s[24:27], s[4:5], 0x70
	v_lshl_add_u32 v32, s6, 1, v2
	v_mul_hi_u32 v2, s0, v32
	v_bfe_u32 v31, v1, 1, 1
	v_lshlrev_b32_e32 v34, 4, v0
	s_waitcnt lgkmcnt(0)
	s_mul_i32 s0, s33, s26
	v_add_u32_e32 v2, v32, v2
	s_ashr_i32 s15, s0, 31
	v_lshrrev_b32_e32 v2, s1, v2
	s_mul_i32 s14, s29, s25
	s_add_u32 s0, s8, s0
	v_mul_lo_u32 v2, v2, s2
	s_addc_u32 s8, s9, s15
	s_ashr_i32 s9, s14, 31
	s_add_u32 s14, s0, s14
	s_addc_u32 s15, s8, s9
	s_ashr_i32 s1, s25, 31
	s_mov_b32 s0, s25
	s_ashr_i32 s25, s24, 31
	v_sub_u32_e32 v3, v32, v2
	s_lshr_b64 s[8:9], s[24:25], 2
	v_mad_u64_u32 v[4:5], s[8:9], s8, v3, 0
	s_lshr_b64 s[8:9], s[0:1], 2
	s_lshr_b32 s0, s1, 2
	v_mul_lo_u32 v7, s0, v31
	v_mov_b32_e32 v2, v5
	s_lshr_b32 s0, s25, 2
	v_mad_u64_u32 v[5:6], s[0:1], s0, v3, v[2:3]
	v_mul_lo_u32 v6, s8, v31
	v_mov_b32_e32 v2, s15
	v_lshlrev_b64 v[4:5], 2, v[4:5]
	s_load_dword s0, s[4:5], 0x40
	v_lshlrev_b64 v[6:7], 2, v[6:7]
	v_lshlrev_b32_e32 v9, 8, v1
	v_add_co_u32_e32 v6, vcc, s14, v6
	v_addc_co_u32_e32 v2, vcc, v2, v7, vcc
	v_add_co_u32_e32 v4, vcc, v6, v4
	v_addc_co_u32_e32 v2, vcc, v2, v5, vcc
	v_lshlrev_b32_e32 v5, 9, v1
	v_and_b32_e32 v5, 0x200, v5
	v_add_co_u32_e32 v4, vcc, v4, v5
	v_addc_co_u32_e32 v2, vcc, 0, v2, vcc
	v_add_co_u32_e32 v4, vcc, v4, v34
	v_addc_co_u32_e32 v5, vcc, 0, v2, vcc
	global_load_dwordx4 v[5:8], v[4:5], off
	v_lshrrev_b32_e32 v2, 1, v1
	v_and_b32_e32 v9, 0x100, v9
	v_lshlrev_b32_e32 v4, 3, v0
	v_lshl_or_b32 v2, v2, 9, v9
	v_add_u32_e32 v2, v2, v4
	s_cmp_eq_u64 s[18:19], 0
	s_waitcnt vmcnt(0) lgkmcnt(0)
	v_fma_mixlo_f16 v5, s0, v5, 0
	v_fma_mixlo_f16 v6, s0, v6, 0
	;; [unrolled: 1-line block ×4, first 2 shown]
	v_lshlrev_b32_e32 v6, 16, v6
	v_and_b32_e32 v5, 0xffff, v5
	v_lshlrev_b32_e32 v8, 16, v8
	v_and_b32_e32 v7, 0xffff, v7
	v_or_b32_e32 v5, v6, v5
	v_or3_b32 v6, v8, v7, 0
	v_or3_b32 v5, 0, 0, v5
	ds_write_b64 v2, v[5:6] offset:17408
	s_waitcnt lgkmcnt(0)
	s_barrier
	s_cbranch_scc1 .LBB68_4
; %bb.3:
	s_load_dword s0, s[4:5], 0xd0
	s_mov_b32 s1, 0
	s_waitcnt lgkmcnt(0)
	s_mul_i32 s0, s0, s33
	s_add_i32 s0, s0, s6
	s_lshl_b64 s[0:1], s[0:1], 2
	s_add_u32 s0, s18, s0
	s_addc_u32 s1, s19, s1
	s_load_dword s28, s[0:1], 0x0
.LBB68_4:
	s_lshl_b32 s6, s7, 6
	v_lshlrev_b32_e32 v33, 2, v0
	s_waitcnt lgkmcnt(0)
	s_cmp_lt_i32 s6, s28
	v_mbcnt_lo_u32_b32 v5, -1, 0
	v_and_b32_e32 v35, 1, v1
	s_cbranch_scc1 .LBB68_7
; %bb.5:
	v_mbcnt_hi_u32_b32 v36, -1, v5
	v_and_b32_e32 v2, 0x60, v36
	v_add_u32_e32 v24, 32, v2
	v_xor_b32_e32 v25, 16, v36
	v_xor_b32_e32 v26, 8, v36
	;; [unrolled: 1-line block ×5, first 2 shown]
	v_and_b32_e32 v6, 1, v1
	s_cbranch_execz .LBB68_8
; %bb.6:
	v_mov_b32_e32 v5, 0
	v_mov_b32_e32 v43, 0
	;; [unrolled: 1-line block ×6, first 2 shown]
	s_branch .LBB68_18
.LBB68_7:
                                        ; implicit-def: $vgpr36
                                        ; implicit-def: $vgpr24
                                        ; implicit-def: $vgpr25
                                        ; implicit-def: $vgpr26
                                        ; implicit-def: $vgpr27
                                        ; implicit-def: $vgpr28
                                        ; implicit-def: $vgpr29
                                        ; implicit-def: $vgpr6
.LBB68_8:
	s_sub_i32 s0, 0, s36
	s_mul_i32 s0, s0, s38
	s_mul_hi_u32 s0, s38, s0
	s_add_i32 s38, s38, s0
	s_load_dwordx4 s[24:27], s[4:5], 0x98
	s_load_dword s14, s[4:5], 0x54
	s_load_dwordx2 s[0:1], s[4:5], 0x8c
	s_abs_i32 s19, s29
	s_mul_hi_u32 s34, s19, s38
	s_waitcnt lgkmcnt(0)
	s_ashr_i32 s15, s26, 2
	s_ashr_i32 s26, s35, 1
	s_ashr_i32 s18, s0, 2
	s_ashr_i32 s0, s33, 31
	s_mul_hi_u32 s35, s24, s33
	s_mul_i32 s39, s24, s0
	s_add_i32 s35, s35, s39
	s_mul_i32 s25, s25, s33
	s_ashr_i32 s38, s29, 31
	s_ashr_i32 s37, s37, 31
	s_add_i32 s35, s35, s25
	s_mul_i32 s24, s24, s33
	s_add_u32 s10, s10, s24
	s_mul_i32 s25, s34, s36
	s_addc_u32 s11, s11, s35
	s_sub_i32 s19, s19, s25
	s_xor_b32 s24, s38, s37
	s_add_i32 s25, s34, 1
	s_sub_i32 s35, s19, s36
	s_cmp_ge_u32 s19, s36
	s_cselect_b32 s25, s25, s34
	s_cselect_b32 s19, s35, s19
	s_add_i32 s34, s25, 1
	s_cmp_ge_u32 s19, s36
	s_load_dwordx2 s[8:9], s[4:5], 0xa8
	s_cselect_b32 s19, s34, s25
	s_xor_b32 s19, s19, s24
	s_sub_i32 s25, s19, s24
	s_mul_i32 s1, s25, s1
	s_ashr_i32 s24, s1, 31
	s_add_u32 s19, s10, s1
	s_waitcnt lgkmcnt(0)
	s_mul_hi_u32 s1, s8, s33
	s_mul_i32 s0, s8, s0
	s_addc_u32 s24, s11, s24
	s_add_i32 s0, s1, s0
	s_mul_i32 s1, s9, s33
	s_add_i32 s0, s0, s1
	s_mul_i32 s1, s8, s33
	v_lshrrev_b32_e32 v2, 4, v0
	s_add_u32 s1, s12, s1
	s_mul_i32 s25, s25, s27
	v_lshl_add_u32 v6, v1, 1, v2
	s_addc_u32 s0, s13, s0
	s_ashr_i32 s8, s25, 31
	v_mul_lo_u32 v8, s18, v6
	s_add_u32 s12, s1, s25
	v_and_b32_e32 v24, 60, v33
	s_addc_u32 s13, s0, s8
	v_lshlrev_b32_e32 v9, 2, v24
	s_movk_i32 s0, 0x110
	v_mad_u32_u24 v37, v6, s0, v9
	s_lshl_b32 s0, s18, 4
	v_lshlrev_b32_e32 v6, 5, v1
	v_lshlrev_b32_e32 v7, 6, v1
	v_add_u32_e32 v10, s0, v8
	v_and_b32_e32 v16, 32, v6
	v_add_u32_e32 v12, s0, v10
	v_add_u32_e32 v6, v16, v0
	v_and_b32_e32 v17, 0x3f80, v7
	v_mov_b32_e32 v7, 0x4400
	v_add_u32_e32 v14, s0, v12
	v_mul_u32_u24_e32 v41, 0x110, v6
	v_lshl_add_u32 v42, v17, 2, v7
	v_mad_u64_u32 v[6:7], s[0:1], v3, s26, v[6:7]
	v_and_b32_e32 v7, 1, v0
	s_movk_i32 s0, 0xfe
	v_mov_b32_e32 v3, 0x4e00
	v_and_or_b32 v7, v1, s0, v7
	v_lshl_add_u32 v44, v1, 2, v3
	v_lshl_add_u32 v45, v7, 2, v3
	v_add_u32_e32 v3, 0x4c00, v17
	v_lshl_or_b32 v7, v16, 1, v3
	v_mul_lo_u32 v16, s15, v1
	s_lshl_b32 s0, s15, 3
	v_ashrrev_i32_e32 v9, 31, v8
	v_ashrrev_i32_e32 v11, 31, v10
	v_add_u32_e32 v18, s0, v16
	v_add_u32_e32 v20, s0, v18
	;; [unrolled: 1-line block ×3, first 2 shown]
	v_ashrrev_i32_e32 v13, 31, v12
	v_ashrrev_i32_e32 v15, 31, v14
	v_lshlrev_b32_e32 v47, 2, v33
	v_ashrrev_i32_e32 v17, 31, v16
	v_ashrrev_i32_e32 v19, 31, v18
	v_ashrrev_i32_e32 v21, 31, v20
	v_ashrrev_i32_e32 v23, 31, v22
	v_mov_b32_e32 v2, 0
	v_lshl_add_u32 v46, v0, 1, v7
	v_lshl_add_u32 v48, v1, 9, v47
	s_add_u32 s8, s4, 0xd0
	v_lshlrev_b64 v[7:8], 2, v[8:9]
	v_lshlrev_b64 v[9:10], 2, v[10:11]
	;; [unrolled: 1-line block ×8, first 2 shown]
	v_add_u32_e32 v38, 0x1100, v37
	v_add_u32_e32 v39, 0x2200, v37
	;; [unrolled: 1-line block ×3, first 2 shown]
	v_cmp_eq_u32_e32 vcc, 0, v0
	v_add_u32_e32 v49, 0x1000, v48
	v_add_u32_e32 v50, 0x2000, v48
	;; [unrolled: 1-line block ×3, first 2 shown]
	v_lshl_or_b32 v52, v35, 1, v3
	v_lshl_add_u32 v53, v35, 9, v4
	s_addc_u32 s9, s5, 0
	v_mov_b32_e32 v60, 0xfeffffff
	v_lshlrev_b32_e32 v54, 2, v24
	v_mov_b32_e32 v55, s31
	s_mov_b32 s25, 0x3f200000
	s_mov_b32 s26, 0x3fb8aa3b
	;; [unrolled: 1-line block ×4, first 2 shown]
	v_mov_b32_e32 v56, 0xbd5c1c4e
	v_mov_b32_e32 v57, 0x3e088382
	;; [unrolled: 1-line block ×3, first 2 shown]
	v_mbcnt_hi_u32_b32 v36, -1, v5
	s_brev_b32 s34, -2
	v_mov_b32_e32 v59, 0x7f800000
	v_mov_b32_e32 v3, v2
	;; [unrolled: 1-line block ×5, first 2 shown]
.LBB68_9:                               ; =>This Inner Loop Header: Depth=1
	s_mul_hi_i32 s1, s6, s18
	s_mul_i32 s0, s6, s18
	s_lshl_b64 s[0:1], s[0:1], 2
	s_add_u32 s10, s19, s0
	s_addc_u32 s11, s24, s1
	v_mov_b32_e32 v23, s11
	v_add_co_u32_e64 v24, s[0:1], s10, v7
	v_addc_co_u32_e64 v25, s[0:1], v23, v8, s[0:1]
	v_add_co_u32_e64 v23, s[0:1], v24, v54
	v_addc_co_u32_e64 v24, s[0:1], 0, v25, s[0:1]
	v_mov_b32_e32 v25, s11
	v_add_co_u32_e64 v26, s[0:1], s10, v9
	v_addc_co_u32_e64 v27, s[0:1], v25, v10, s[0:1]
	v_add_co_u32_e64 v25, s[0:1], v26, v54
	v_addc_co_u32_e64 v26, s[0:1], 0, v27, s[0:1]
	;; [unrolled: 5-line block ×3, first 2 shown]
	v_mov_b32_e32 v29, s11
	v_add_co_u32_e64 v30, s[0:1], s10, v13
	v_addc_co_u32_e64 v69, s[0:1], v29, v14, s[0:1]
	v_add_co_u32_e64 v29, s[0:1], v30, v54
	global_load_dwordx4 v[61:64], v[23:24], off
	global_load_dwordx4 v[65:68], v[25:26], off
	v_addc_co_u32_e64 v30, s[0:1], 0, v69, s[0:1]
	global_load_dwordx4 v[69:72], v[27:28], off
	global_load_dwordx4 v[73:76], v[29:30], off
	s_waitcnt vmcnt(3)
	ds_write_b128 v37, v[61:64]
	s_waitcnt vmcnt(2)
	ds_write_b128 v38, v[65:68]
	;; [unrolled: 2-line block ×4, first 2 shown]
	s_waitcnt lgkmcnt(0)
	s_barrier
	ds_read_b128 v[62:65], v41
	ds_read_b128 v[66:69], v42
	v_mov_b32_e32 v61, 0
	s_waitcnt lgkmcnt(0)
	;;#ASMSTART
	v_dot2_f32_f16 v61, v62, v66, v61
	;;#ASMEND
	;;#ASMSTART
	v_dot2_f32_f16 v61, v63, v67, v61
	;;#ASMEND
	;;#ASMSTART
	v_dot2_f32_f16 v61, v64, v68, v61
	;;#ASMEND
	;;#ASMSTART
	v_dot2_f32_f16 v61, v65, v69, v61
	;;#ASMEND
	ds_read_b128 v[62:65], v41 offset:16
	ds_read_b128 v[66:69], v42 offset:16
	s_waitcnt lgkmcnt(0)
	;;#ASMSTART
	v_dot2_f32_f16 v61, v62, v66, v61
	;;#ASMEND
	;;#ASMSTART
	v_dot2_f32_f16 v61, v63, v67, v61
	;;#ASMEND
	;;#ASMSTART
	v_dot2_f32_f16 v61, v64, v68, v61
	;;#ASMEND
	;;#ASMSTART
	v_dot2_f32_f16 v61, v65, v69, v61
	;;#ASMEND
	ds_read_b128 v[62:65], v41 offset:32
	ds_read_b128 v[66:69], v42 offset:32
	s_waitcnt lgkmcnt(0)
	;;#ASMSTART
	v_dot2_f32_f16 v61, v62, v66, v61
	;;#ASMEND
	;;#ASMSTART
	v_dot2_f32_f16 v61, v63, v67, v61
	;;#ASMEND
	;;#ASMSTART
	v_dot2_f32_f16 v61, v64, v68, v61
	;;#ASMEND
	;;#ASMSTART
	v_dot2_f32_f16 v61, v65, v69, v61
	;;#ASMEND
	ds_read_b128 v[62:65], v41 offset:48
	ds_read_b128 v[66:69], v42 offset:48
	s_waitcnt lgkmcnt(0)
	;;#ASMSTART
	v_dot2_f32_f16 v61, v62, v66, v61
	;;#ASMEND
	;;#ASMSTART
	v_dot2_f32_f16 v61, v63, v67, v61
	;;#ASMEND
	;;#ASMSTART
	v_dot2_f32_f16 v61, v64, v68, v61
	;;#ASMEND
	;;#ASMSTART
	v_dot2_f32_f16 v61, v65, v69, v61
	;;#ASMEND
	ds_read_b128 v[62:65], v41 offset:64
	ds_read_b128 v[66:69], v42 offset:64
	s_waitcnt lgkmcnt(0)
	;;#ASMSTART
	v_dot2_f32_f16 v61, v62, v66, v61
	;;#ASMEND
	;;#ASMSTART
	v_dot2_f32_f16 v61, v63, v67, v61
	;;#ASMEND
	;;#ASMSTART
	v_dot2_f32_f16 v61, v64, v68, v61
	;;#ASMEND
	;;#ASMSTART
	v_dot2_f32_f16 v61, v65, v69, v61
	;;#ASMEND
	ds_read_b128 v[62:65], v41 offset:80
	ds_read_b128 v[66:69], v42 offset:80
	s_waitcnt lgkmcnt(0)
	;;#ASMSTART
	v_dot2_f32_f16 v61, v62, v66, v61
	;;#ASMEND
	;;#ASMSTART
	v_dot2_f32_f16 v61, v63, v67, v61
	;;#ASMEND
	;;#ASMSTART
	v_dot2_f32_f16 v61, v64, v68, v61
	;;#ASMEND
	;;#ASMSTART
	v_dot2_f32_f16 v61, v65, v69, v61
	;;#ASMEND
	ds_read_b128 v[62:65], v41 offset:96
	ds_read_b128 v[66:69], v42 offset:96
	s_waitcnt lgkmcnt(0)
	;;#ASMSTART
	v_dot2_f32_f16 v61, v62, v66, v61
	;;#ASMEND
	;;#ASMSTART
	v_dot2_f32_f16 v61, v63, v67, v61
	;;#ASMEND
	;;#ASMSTART
	v_dot2_f32_f16 v61, v64, v68, v61
	;;#ASMEND
	;;#ASMSTART
	v_dot2_f32_f16 v61, v65, v69, v61
	;;#ASMEND
	ds_read_b128 v[62:65], v41 offset:112
	ds_read_b128 v[66:69], v42 offset:112
	s_waitcnt lgkmcnt(0)
	;;#ASMSTART
	v_dot2_f32_f16 v61, v62, v66, v61
	;;#ASMEND
	;;#ASMSTART
	v_dot2_f32_f16 v61, v63, v67, v61
	;;#ASMEND
	;;#ASMSTART
	v_dot2_f32_f16 v61, v64, v68, v61
	;;#ASMEND
	;;#ASMSTART
	v_dot2_f32_f16 v61, v65, v69, v61
	;;#ASMEND
	ds_read_b128 v[62:65], v41 offset:128
	ds_read_b128 v[66:69], v42 offset:128
	s_waitcnt lgkmcnt(0)
	;;#ASMSTART
	v_dot2_f32_f16 v61, v62, v66, v61
	;;#ASMEND
	;;#ASMSTART
	v_dot2_f32_f16 v61, v63, v67, v61
	;;#ASMEND
	;;#ASMSTART
	v_dot2_f32_f16 v61, v64, v68, v61
	;;#ASMEND
	;;#ASMSTART
	v_dot2_f32_f16 v61, v65, v69, v61
	;;#ASMEND
	ds_read_b128 v[62:65], v41 offset:144
	ds_read_b128 v[66:69], v42 offset:144
	s_waitcnt lgkmcnt(0)
	;;#ASMSTART
	v_dot2_f32_f16 v61, v62, v66, v61
	;;#ASMEND
	;;#ASMSTART
	v_dot2_f32_f16 v61, v63, v67, v61
	;;#ASMEND
	;;#ASMSTART
	v_dot2_f32_f16 v61, v64, v68, v61
	;;#ASMEND
	;;#ASMSTART
	v_dot2_f32_f16 v61, v65, v69, v61
	;;#ASMEND
	ds_read_b128 v[62:65], v41 offset:160
	ds_read_b128 v[66:69], v42 offset:160
	s_waitcnt lgkmcnt(0)
	;;#ASMSTART
	v_dot2_f32_f16 v61, v62, v66, v61
	;;#ASMEND
	;;#ASMSTART
	v_dot2_f32_f16 v61, v63, v67, v61
	;;#ASMEND
	;;#ASMSTART
	v_dot2_f32_f16 v61, v64, v68, v61
	;;#ASMEND
	;;#ASMSTART
	v_dot2_f32_f16 v61, v65, v69, v61
	;;#ASMEND
	ds_read_b128 v[62:65], v41 offset:176
	ds_read_b128 v[66:69], v42 offset:176
	s_waitcnt lgkmcnt(0)
	;;#ASMSTART
	v_dot2_f32_f16 v61, v62, v66, v61
	;;#ASMEND
	;;#ASMSTART
	v_dot2_f32_f16 v61, v63, v67, v61
	;;#ASMEND
	;;#ASMSTART
	v_dot2_f32_f16 v61, v64, v68, v61
	;;#ASMEND
	;;#ASMSTART
	v_dot2_f32_f16 v61, v65, v69, v61
	;;#ASMEND
	ds_read_b128 v[62:65], v41 offset:192
	ds_read_b128 v[66:69], v42 offset:192
	s_waitcnt lgkmcnt(0)
	;;#ASMSTART
	v_dot2_f32_f16 v61, v62, v66, v61
	;;#ASMEND
	;;#ASMSTART
	v_dot2_f32_f16 v61, v63, v67, v61
	;;#ASMEND
	;;#ASMSTART
	v_dot2_f32_f16 v61, v64, v68, v61
	;;#ASMEND
	;;#ASMSTART
	v_dot2_f32_f16 v61, v65, v69, v61
	;;#ASMEND
	ds_read_b128 v[62:65], v41 offset:208
	ds_read_b128 v[66:69], v42 offset:208
	s_waitcnt lgkmcnt(0)
	;;#ASMSTART
	v_dot2_f32_f16 v61, v62, v66, v61
	;;#ASMEND
	;;#ASMSTART
	v_dot2_f32_f16 v61, v63, v67, v61
	;;#ASMEND
	;;#ASMSTART
	v_dot2_f32_f16 v61, v64, v68, v61
	;;#ASMEND
	;;#ASMSTART
	v_dot2_f32_f16 v61, v65, v69, v61
	;;#ASMEND
	ds_read_b128 v[62:65], v41 offset:224
	ds_read_b128 v[66:69], v42 offset:224
	s_waitcnt lgkmcnt(0)
	;;#ASMSTART
	v_dot2_f32_f16 v61, v62, v66, v61
	;;#ASMEND
	;;#ASMSTART
	v_dot2_f32_f16 v61, v63, v67, v61
	;;#ASMEND
	;;#ASMSTART
	v_dot2_f32_f16 v61, v64, v68, v61
	;;#ASMEND
	;;#ASMSTART
	v_dot2_f32_f16 v61, v65, v69, v61
	;;#ASMEND
	ds_read_b128 v[62:65], v41 offset:240
	ds_read_b128 v[66:69], v42 offset:240
	s_waitcnt lgkmcnt(0)
	;;#ASMSTART
	v_dot2_f32_f16 v61, v62, v66, v61
	;;#ASMEND
	;;#ASMSTART
	v_dot2_f32_f16 v61, v63, v67, v61
	;;#ASMEND
	;;#ASMSTART
	v_dot2_f32_f16 v61, v64, v68, v61
	;;#ASMEND
	;;#ASMSTART
	v_dot2_f32_f16 v61, v65, v69, v61
	;;#ASMEND
	s_barrier
	global_load_dwordx4 v[62:65], v[23:24], off offset:256
	s_nop 0
	global_load_dwordx4 v[23:26], v[25:26], off offset:256
	s_nop 0
	;; [unrolled: 2-line block ×3, first 2 shown]
	global_load_dwordx4 v[27:30], v[29:30], off offset:256
	s_waitcnt vmcnt(3)
	ds_write_b128 v37, v[62:65]
	s_waitcnt vmcnt(2)
	ds_write_b128 v38, v[23:26]
	;; [unrolled: 2-line block ×4, first 2 shown]
	s_waitcnt lgkmcnt(0)
	s_barrier
	ds_read_b128 v[23:26], v41
	ds_read_b128 v[27:30], v42 offset:256
	s_waitcnt lgkmcnt(0)
	;;#ASMSTART
	v_dot2_f32_f16 v61, v23, v27, v61
	;;#ASMEND
	;;#ASMSTART
	v_dot2_f32_f16 v61, v24, v28, v61
	;;#ASMEND
	;;#ASMSTART
	v_dot2_f32_f16 v61, v25, v29, v61
	;;#ASMEND
	;;#ASMSTART
	v_dot2_f32_f16 v61, v26, v30, v61
	;;#ASMEND
	ds_read_b128 v[23:26], v41 offset:16
	ds_read_b128 v[27:30], v42 offset:272
	s_waitcnt lgkmcnt(0)
	;;#ASMSTART
	v_dot2_f32_f16 v61, v23, v27, v61
	;;#ASMEND
	;;#ASMSTART
	v_dot2_f32_f16 v61, v24, v28, v61
	;;#ASMEND
	;;#ASMSTART
	v_dot2_f32_f16 v61, v25, v29, v61
	;;#ASMEND
	;;#ASMSTART
	v_dot2_f32_f16 v61, v26, v30, v61
	;;#ASMEND
	ds_read_b128 v[23:26], v41 offset:32
	;; [unrolled: 15-line block ×15, first 2 shown]
	ds_read_b128 v[27:30], v42 offset:496
	v_add_u32_e32 v62, s6, v6
	v_ashrrev_i32_e32 v63, 31, v62
	v_lshlrev_b64 v[62:63], 1, v[62:63]
	s_waitcnt lgkmcnt(0)
	;;#ASMSTART
	v_dot2_f32_f16 v61, v23, v27, v61
	;;#ASMEND
	v_add_co_u32_e64 v62, s[0:1], s30, v62
	;;#ASMSTART
	v_dot2_f32_f16 v61, v24, v28, v61
	;;#ASMEND
	v_addc_co_u32_e64 v63, s[0:1], v55, v63, s[0:1]
	;;#ASMSTART
	v_dot2_f32_f16 v61, v25, v29, v61
	;;#ASMEND
	;;#ASMSTART
	v_dot2_f32_f16 v61, v26, v30, v61
	;;#ASMEND
	global_load_ushort v23, v[62:63], off
	v_cmp_nlt_f32_e64 s[0:1], |v61|, s25
                                        ; implicit-def: $vgpr26
	s_and_saveexec_b64 s[10:11], s[0:1]
	s_xor_b64 s[10:11], exec, s[10:11]
	s_cbranch_execz .LBB68_11
; %bb.10:                               ;   in Loop: Header=BB68_9 Depth=1
	v_add_f32_e64 v24, |v61|, |v61|
	v_mul_f32_e32 v25, 0x3fb8aa3b, v24
	v_rndne_f32_e32 v26, v25
	v_sub_f32_e32 v27, v25, v26
	v_fma_f32 v25, v24, s26, -v25
	v_fmac_f32_e32 v25, 0x32a5705f, v24
	v_add_f32_e32 v25, v27, v25
	v_cvt_i32_f32_e32 v26, v26
	v_exp_f32_e32 v25, v25
	v_cmp_ngt_f32_e64 s[0:1], s27, v24
	v_ldexp_f32 v25, v25, v26
	v_cndmask_b32_e64 v25, 0, v25, s[0:1]
	v_cmp_nlt_f32_e64 s[0:1], s31, v24
	v_cndmask_b32_e64 v24, v59, v25, s[0:1]
	v_add_f32_e32 v24, 1.0, v24
	v_rcp_f32_e32 v24, v24
	v_fma_f32 v26, v24, -2.0, 1.0
.LBB68_11:                              ;   in Loop: Header=BB68_9 Depth=1
	s_andn2_saveexec_b64 s[0:1], s[10:11]
; %bb.12:                               ;   in Loop: Header=BB68_9 Depth=1
	v_mul_f32_e32 v24, v61, v61
	v_mov_b32_e32 v25, 0x3ca908c9
	v_fmac_f32_e32 v25, 0xbbbac73d, v24
	v_fma_f32 v25, v24, v25, v56
	v_fma_f32 v25, v24, v25, v57
	;; [unrolled: 1-line block ×3, first 2 shown]
	v_mul_f32_e64 v25, |v61|, v25
	v_fma_f32 v26, v24, v25, |v61|
; %bb.13:                               ;   in Loop: Header=BB68_9 Depth=1
	s_or_b64 exec, exec, s[0:1]
	v_and_b32_e32 v24, 0x60, v36
	v_add_u32_e32 v24, 32, v24
	v_xor_b32_e32 v25, 16, v36
	v_bfi_b32 v26, s34, v26, v61
	v_cmp_lt_i32_e64 s[0:1], v25, v24
	s_waitcnt vmcnt(0)
	v_fma_mix_f32 v30, s14, v26, v23 op_sel_hi:[0,0,1]
	v_cndmask_b32_e64 v27, v36, v25, s[0:1]
	v_add_f32_e32 v23, 0x40051340, v30
	v_max_f32_e32 v26, v60, v60
	v_lshlrev_b32_e32 v27, 2, v27
	v_max_f32_e32 v23, v26, v23
	ds_bpermute_b32 v27, v27, v23
	v_xor_b32_e32 v26, 8, v36
	v_cmp_lt_i32_e64 s[0:1], v26, v24
	v_cndmask_b32_e64 v28, v36, v26, s[0:1]
	v_lshlrev_b32_e32 v28, 2, v28
	s_waitcnt lgkmcnt(0)
	v_max_f32_e32 v27, v27, v27
	v_max_f32_e32 v23, v23, v27
	ds_bpermute_b32 v28, v28, v23
	v_xor_b32_e32 v27, 4, v36
	v_cmp_lt_i32_e64 s[0:1], v27, v24
	v_cndmask_b32_e64 v29, v36, v27, s[0:1]
	v_lshlrev_b32_e32 v29, 2, v29
	s_waitcnt lgkmcnt(0)
	v_max_f32_e32 v28, v28, v28
	;; [unrolled: 8-line block ×4, first 2 shown]
	v_max_f32_e32 v23, v23, v61
	ds_bpermute_b32 v61, v62, v23
	s_and_saveexec_b64 s[0:1], vcc
	s_cbranch_execz .LBB68_15
; %bb.14:                               ;   in Loop: Header=BB68_9 Depth=1
	s_waitcnt lgkmcnt(0)
	v_max_f32_e32 v61, v61, v61
	v_max_f32_e32 v23, v23, v23
	v_max_f32_e32 v23, v23, v61
	ds_write_b32 v44, v23
.LBB68_15:                              ;   in Loop: Header=BB68_9 Depth=1
	s_or_b64 exec, exec, s[0:1]
	s_mul_hi_i32 s1, s6, s15
	s_mul_i32 s0, s6, s15
	s_lshl_b64 s[0:1], s[0:1], 2
	s_add_u32 s10, s12, s0
	s_addc_u32 s11, s13, s1
	v_mov_b32_e32 v23, s11
	s_waitcnt lgkmcnt(0)
	v_add_co_u32_e64 v61, s[0:1], s10, v15
	v_addc_co_u32_e64 v23, s[0:1], v23, v16, s[0:1]
	v_add_co_u32_e64 v61, s[0:1], v61, v47
	v_addc_co_u32_e64 v62, s[0:1], 0, v23, s[0:1]
	v_mov_b32_e32 v23, s11
	v_add_co_u32_e64 v63, s[0:1], s10, v17
	v_addc_co_u32_e64 v23, s[0:1], v23, v18, s[0:1]
	v_add_co_u32_e64 v65, s[0:1], v63, v47
	v_addc_co_u32_e64 v66, s[0:1], 0, v23, s[0:1]
	v_mov_b32_e32 v23, s11
	;; [unrolled: 5-line block ×3, first 2 shown]
	v_add_co_u32_e64 v71, s[0:1], s10, v21
	v_addc_co_u32_e64 v23, s[0:1], v23, v22, s[0:1]
	v_add_co_u32_e64 v73, s[0:1], v71, v47
	v_addc_co_u32_e64 v74, s[0:1], 0, v23, s[0:1]
	s_barrier
	global_load_dwordx4 v[61:64], v[61:62], off
	s_nop 0
	global_load_dwordx4 v[65:68], v[65:66], off
	s_nop 0
	;; [unrolled: 2-line block ×3, first 2 shown]
	global_load_dwordx4 v[73:76], v[73:74], off
	ds_read_b32 v23, v45
	v_and_b32_e32 v77, 0x7e, v36
	v_add_u32_e32 v77, 2, v77
	v_cmp_lt_i32_e64 s[0:1], v29, v77
	v_cndmask_b32_e64 v77, v36, v29, s[0:1]
	v_lshlrev_b32_e32 v77, 2, v77
	s_waitcnt lgkmcnt(0)
	ds_bpermute_b32 v77, v77, v23
	v_max_f32_e32 v23, v23, v23
	s_waitcnt lgkmcnt(0)
	v_max_f32_e32 v77, v77, v77
	v_max_f32_e32 v23, v23, v77
	v_sub_f32_e32 v77, v30, v23
	v_mul_f32_e32 v30, 0x3fb8aa3b, v77
	v_fma_f32 v78, v77, s26, -v30
	v_rndne_f32_e32 v79, v30
	v_fmac_f32_e32 v78, 0x32a5705f, v77
	v_sub_f32_e32 v30, v30, v79
	v_sub_f32_e32 v60, v60, v23
	v_add_f32_e32 v30, v30, v78
	v_cvt_i32_f32_e32 v78, v79
	v_mul_f32_e32 v79, 0x3fb8aa3b, v60
	v_fma_f32 v80, v60, s26, -v79
	v_rndne_f32_e32 v81, v79
	v_fmac_f32_e32 v80, 0x32a5705f, v60
	v_sub_f32_e32 v79, v79, v81
	v_exp_f32_e32 v30, v30
	v_add_f32_e32 v79, v79, v80
	v_exp_f32_e32 v79, v79
	v_cvt_i32_f32_e32 v80, v81
	v_ldexp_f32 v30, v30, v78
	v_cmp_ngt_f32_e64 s[0:1], s27, v77
	v_cndmask_b32_e64 v78, 0, v30, s[0:1]
	v_ldexp_f32 v30, v79, v80
	v_cmp_ngt_f32_e64 s[0:1], s27, v60
	v_cndmask_b32_e64 v30, 0, v30, s[0:1]
	v_cmp_nlt_f32_e64 s[0:1], s31, v60
	v_cndmask_b32_e64 v30, v59, v30, s[0:1]
	v_cmp_nlt_f32_e64 s[0:1], s31, v77
	v_cndmask_b32_e64 v60, v59, v78, s[0:1]
	v_cvt_f16_f32_e32 v79, v30
	v_cvt_f16_f32_e32 v77, v60
	s_or_b32 s0, s6, 32
	s_mul_hi_i32 s1, s0, s15
	v_mul_u32_u24_e32 v78, 0x10001, v79
	v_pk_mul_f16 v4, v4, v78
	v_pk_mul_f16 v5, v5, v78
	s_mul_i32 s0, s0, s15
	s_lshl_b64 s[0:1], s[0:1], 2
	s_add_u32 s10, s12, s0
	s_addc_u32 s11, s13, s1
	v_mov_b32_e32 v93, s11
	v_add_co_u32_e64 v94, s[0:1], s10, v15
	ds_write_b16 v46, v77
	s_waitcnt vmcnt(3)
	ds_write_b128 v48, v[61:64]
	s_waitcnt vmcnt(2)
	ds_write_b128 v49, v[65:68]
	;; [unrolled: 2-line block ×4, first 2 shown]
	s_waitcnt lgkmcnt(0)
	s_barrier
	ds_read2_b64 v[69:72], v53 offset1:32
	ds_read_u16 v61, v52
	ds_read_u16 v63, v52 offset:4
	ds_read_u16 v65, v52 offset:8
	;; [unrolled: 1-line block ×15, first 2 shown]
	ds_read2_b64 v[73:76], v53 offset0:128 offset1:160
	s_waitcnt lgkmcnt(14)
	v_mul_u32_u24_e32 v61, 0x10001, v61
	v_pk_mul_f16 v69, v69, v61
	v_pk_fma_f16 v2, v2, v78, v69
	v_pk_mul_f16 v69, v70, v61
	v_pk_fma_f16 v4, v71, v61, v4
	v_pk_fma_f16 v5, v72, v61, v5
	v_mul_u32_u24_e32 v61, 0x10001, v63
	s_waitcnt lgkmcnt(0)
	v_pk_fma_f16 v63, v73, v61, v2
	v_add_u32_e32 v2, 0x800, v53
	v_pk_fma_f16 v3, v3, v78, v69
	ds_read2_b64 v[69:72], v2 offset1:32
	v_pk_fma_f16 v3, v74, v61, v3
	v_pk_fma_f16 v4, v75, v61, v4
	;; [unrolled: 1-line block ×3, first 2 shown]
	v_mul_u32_u24_e32 v61, 0x10001, v65
	ds_read2_b64 v[73:76], v2 offset0:128 offset1:160
	s_waitcnt lgkmcnt(1)
	v_pk_fma_f16 v65, v70, v61, v3
	v_add_u32_e32 v3, 0x1000, v53
	v_pk_fma_f16 v63, v69, v61, v63
	v_pk_fma_f16 v4, v71, v61, v4
	;; [unrolled: 1-line block ×3, first 2 shown]
	ds_read2_b64 v[69:72], v3 offset1:32
	v_mul_u32_u24_e32 v61, 0x10001, v77
	s_waitcnt lgkmcnt(1)
	v_pk_fma_f16 v63, v73, v61, v63
	v_pk_fma_f16 v65, v74, v61, v65
	;; [unrolled: 1-line block ×4, first 2 shown]
	ds_read2_b64 v[73:76], v3 offset0:128 offset1:160
	v_mul_u32_u24_e32 v61, 0x10001, v79
	s_waitcnt lgkmcnt(1)
	v_pk_fma_f16 v77, v71, v61, v4
	v_add_u32_e32 v4, 0x1800, v53
	v_pk_fma_f16 v63, v69, v61, v63
	v_pk_fma_f16 v65, v70, v61, v65
	;; [unrolled: 1-line block ×3, first 2 shown]
	ds_read2_b64 v[69:72], v4 offset1:32
	v_mul_u32_u24_e32 v61, 0x10001, v80
	s_waitcnt lgkmcnt(1)
	v_pk_fma_f16 v63, v73, v61, v63
	v_pk_fma_f16 v65, v74, v61, v65
	;; [unrolled: 1-line block ×4, first 2 shown]
	ds_read2_b64 v[73:76], v4 offset0:128 offset1:160
	v_mul_u32_u24_e32 v61, 0x10001, v81
	s_waitcnt lgkmcnt(1)
	v_pk_fma_f16 v63, v69, v61, v63
	v_pk_fma_f16 v65, v70, v61, v65
	;; [unrolled: 1-line block ×4, first 2 shown]
	v_add_u32_e32 v5, 0x2000, v53
	v_mul_u32_u24_e32 v78, 0x10001, v82
	ds_read2_b64 v[69:72], v5 offset1:32
	s_waitcnt lgkmcnt(1)
	v_pk_fma_f16 v63, v73, v78, v63
	v_pk_fma_f16 v65, v74, v78, v65
	;; [unrolled: 1-line block ×4, first 2 shown]
	ds_read2_b64 v[73:76], v5 offset0:128 offset1:160
	v_mul_u32_u24_e32 v78, 0x10001, v83
	v_addc_co_u32_e64 v95, s[0:1], v93, v16, s[0:1]
	s_waitcnt lgkmcnt(1)
	v_pk_fma_f16 v65, v70, v78, v65
	v_mul_u32_u24_e32 v70, 0x10001, v84
	v_add_co_u32_e64 v93, s[0:1], v94, v47
	v_pk_fma_f16 v63, v69, v78, v63
	v_pk_fma_f16 v69, v71, v78, v77
	;; [unrolled: 1-line block ×3, first 2 shown]
	s_waitcnt lgkmcnt(0)
	v_pk_fma_f16 v101, v74, v70, v65
	v_add_u32_e32 v65, 0x2800, v53
	v_addc_co_u32_e64 v94, s[0:1], 0, v95, s[0:1]
	v_pk_fma_f16 v100, v73, v70, v63
	v_pk_fma_f16 v102, v75, v70, v69
	;; [unrolled: 1-line block ×3, first 2 shown]
	ds_read2_b64 v[69:72], v65 offset1:32
	ds_read2_b64 v[73:76], v65 offset0:128 offset1:160
	v_mov_b32_e32 v95, s11
	v_add_co_u32_e64 v96, s[0:1], s10, v17
	v_addc_co_u32_e64 v95, s[0:1], v95, v18, s[0:1]
	v_add_co_u32_e64 v97, s[0:1], v96, v47
	v_addc_co_u32_e64 v98, s[0:1], 0, v95, s[0:1]
	v_mul_u32_u24_e32 v99, 0x10001, v99
	v_mov_b32_e32 v104, s11
	s_waitcnt lgkmcnt(1)
	v_pk_fma_f16 v105, v69, v99, v100
	v_add_co_u32_e64 v69, s[0:1], s10, v19
	v_pk_fma_f16 v106, v70, v99, v101
	v_addc_co_u32_e64 v70, s[0:1], v104, v20, s[0:1]
	v_pk_fma_f16 v107, v71, v99, v102
	v_pk_fma_f16 v103, v72, v99, v103
	v_add_co_u32_e64 v99, s[0:1], v69, v47
	v_addc_co_u32_e64 v100, s[0:1], 0, v70, s[0:1]
	v_mov_b32_e32 v69, s11
	v_add_co_u32_e64 v70, s[0:1], s10, v21
	v_addc_co_u32_e64 v69, s[0:1], v69, v22, s[0:1]
	v_add_u32_e32 v63, 0x3000, v53
	v_add_u32_e32 v61, 0x3800, v53
	v_add_co_u32_e64 v101, s[0:1], v70, v47
	v_mul_u32_u24_e32 v68, 0x10001, v68
	ds_read2_b64 v[77:80], v63 offset1:32
	ds_read2_b64 v[81:84], v63 offset0:128 offset1:160
	ds_read2_b64 v[85:88], v61 offset1:32
	ds_read2_b64 v[89:92], v61 offset0:128 offset1:160
	s_waitcnt lgkmcnt(0)
	s_barrier
	global_load_dwordx4 v[93:96], v[93:94], off
	v_addc_co_u32_e64 v102, s[0:1], 0, v69, s[0:1]
	global_load_dwordx4 v[69:72], v[97:98], off
	v_pk_fma_f16 v104, v73, v68, v105
	v_pk_fma_f16 v105, v74, v68, v106
	;; [unrolled: 1-line block ×4, first 2 shown]
	global_load_dwordx4 v[73:76], v[99:100], off
	s_nop 0
	global_load_dwordx4 v[97:100], v[101:102], off
	v_fma_f32 v43, v43, v30, v60
	v_mul_u32_u24_e32 v30, 0x10001, v67
	v_pk_fma_f16 v60, v77, v30, v104
	v_pk_fma_f16 v67, v78, v30, v105
	v_pk_fma_f16 v77, v79, v30, v106
	v_pk_fma_f16 v30, v80, v30, v68
	v_mul_u32_u24_e32 v66, 0x10001, v66
	v_pk_fma_f16 v60, v81, v66, v60
	v_pk_fma_f16 v67, v82, v66, v67
	v_pk_fma_f16 v68, v83, v66, v77
	v_pk_fma_f16 v30, v84, v66, v30
	v_mul_u32_u24_e32 v64, 0x10001, v64
	v_pk_fma_f16 v60, v85, v64, v60
	v_pk_fma_f16 v66, v86, v64, v67
	v_pk_fma_f16 v67, v87, v64, v68
	v_pk_fma_f16 v30, v88, v64, v30
	v_mul_u32_u24_e32 v62, 0x10001, v62
	v_pk_fma_f16 v60, v89, v62, v60
	v_pk_fma_f16 v64, v90, v62, v66
	v_pk_fma_f16 v77, v91, v62, v67
	v_pk_fma_f16 v30, v92, v62, v30
	s_waitcnt vmcnt(3)
	ds_write_b128 v48, v[93:96]
	s_waitcnt vmcnt(2)
	ds_write_b128 v49, v[69:72]
	;; [unrolled: 2-line block ×4, first 2 shown]
	s_waitcnt lgkmcnt(0)
	s_barrier
	ds_read2_b64 v[66:69], v53 offset1:32
	ds_read_u16 v62, v52 offset:64
	ds_read_u16 v74, v52 offset:68
	;; [unrolled: 1-line block ×16, first 2 shown]
	s_waitcnt lgkmcnt(14)
	v_mul_u32_u24_e32 v62, 0x10001, v62
	ds_read2_b64 v[70:73], v53 offset0:128 offset1:160
	v_pk_fma_f16 v60, v66, v62, v60
	v_pk_fma_f16 v64, v67, v62, v64
	v_pk_fma_f16 v77, v68, v62, v77
	v_pk_fma_f16 v30, v69, v62, v30
	ds_read2_b64 v[66:69], v2 offset1:32
	v_mul_u32_u24_e32 v62, 0x10001, v74
	s_waitcnt lgkmcnt(1)
	v_pk_fma_f16 v60, v70, v62, v60
	v_pk_fma_f16 v64, v71, v62, v64
	v_pk_fma_f16 v74, v72, v62, v77
	v_pk_fma_f16 v30, v73, v62, v30
	v_mul_u32_u24_e32 v62, 0x10001, v75
	ds_read2_b64 v[70:73], v2 offset0:128 offset1:160
	s_waitcnt lgkmcnt(1)
	v_pk_fma_f16 v60, v66, v62, v60
	v_pk_fma_f16 v2, v67, v62, v64
	v_pk_fma_f16 v64, v68, v62, v74
	v_pk_fma_f16 v30, v69, v62, v30
	ds_read2_b64 v[66:69], v3 offset1:32
	v_mul_u32_u24_e32 v62, 0x10001, v76
	s_waitcnt lgkmcnt(1)
	v_pk_fma_f16 v60, v70, v62, v60
	v_pk_fma_f16 v2, v71, v62, v2
	v_pk_fma_f16 v64, v72, v62, v64
	v_pk_fma_f16 v30, v73, v62, v30
	v_mul_u32_u24_e32 v62, 0x10001, v78
	ds_read2_b64 v[70:73], v3 offset0:128 offset1:160
	s_waitcnt lgkmcnt(1)
	;; [unrolled: 14-line block ×4, first 2 shown]
	v_pk_fma_f16 v60, v66, v70, v60
	v_pk_fma_f16 v62, v67, v70, v62
	;; [unrolled: 1-line block ×4, first 2 shown]
	ds_read2_b64 v[66:69], v65 offset1:32
	v_mul_u32_u24_e32 v70, 0x10001, v83
	s_waitcnt lgkmcnt(1)
	v_pk_fma_f16 v2, v2, v70, v60
	v_pk_fma_f16 v60, v3, v70, v62
	;; [unrolled: 1-line block ×3, first 2 shown]
	v_mul_u32_u24_e32 v64, 0x10001, v84
	v_pk_fma_f16 v30, v5, v70, v30
	s_waitcnt lgkmcnt(0)
	v_pk_fma_f16 v66, v66, v64, v2
	ds_read2_b64 v[2:5], v65 offset0:128 offset1:160
	v_pk_fma_f16 v62, v68, v64, v62
	v_mul_u32_u24_e32 v68, 0x10001, v85
	v_pk_fma_f16 v60, v67, v64, v60
	v_pk_fma_f16 v30, v69, v64, v30
	s_waitcnt lgkmcnt(0)
	v_pk_fma_f16 v2, v2, v68, v66
	ds_read2_b64 v[64:67], v63 offset1:32
	v_pk_fma_f16 v60, v3, v68, v60
	v_pk_fma_f16 v62, v4, v68, v62
	;; [unrolled: 1-line block ×3, first 2 shown]
	v_mul_u32_u24_e32 v68, 0x10001, v86
	s_waitcnt lgkmcnt(0)
	v_pk_fma_f16 v64, v64, v68, v2
	ds_read2_b64 v[2:5], v63 offset0:128 offset1:160
	v_pk_fma_f16 v30, v67, v68, v30
	v_mul_u32_u24_e32 v67, 0x10001, v87
	v_pk_fma_f16 v60, v65, v68, v60
	v_pk_fma_f16 v66, v66, v68, v62
	s_waitcnt lgkmcnt(0)
	v_pk_fma_f16 v2, v2, v67, v64
	ds_read2_b64 v[62:65], v61 offset1:32
	v_pk_fma_f16 v3, v3, v67, v60
	v_pk_fma_f16 v4, v4, v67, v66
	v_pk_fma_f16 v5, v5, v67, v30
	v_mul_u32_u24_e32 v30, 0x10001, v88
	s_waitcnt lgkmcnt(0)
	v_pk_fma_f16 v60, v62, v30, v2
	v_pk_fma_f16 v62, v63, v30, v3
	;; [unrolled: 1-line block ×4, first 2 shown]
	ds_read2_b64 v[2:5], v61 offset0:128 offset1:160
	s_waitcnt lgkmcnt(0)
	s_barrier
	s_load_dword s0, s[8:9], 0x4
	v_mul_u32_u24_e32 v61, 0x10001, v89
	v_pk_fma_f16 v2, v2, v61, v60
	v_pk_fma_f16 v3, v3, v61, v62
	;; [unrolled: 1-line block ×3, first 2 shown]
	s_waitcnt lgkmcnt(0)
	s_lshl_b32 s0, s0, 6
	s_add_i32 s6, s0, s6
	s_cmp_ge_i32 s6, s28
	v_pk_fma_f16 v5, v5, v61, v30
	s_cbranch_scc1 .LBB68_17
; %bb.16:                               ;   in Loop: Header=BB68_9 Depth=1
	v_mov_b32_e32 v60, v23
	s_branch .LBB68_9
.LBB68_17:
	v_mov_b32_e32 v6, v35
.LBB68_18:
	v_cmp_lt_i32_e32 vcc, v25, v24
	v_cndmask_b32_e32 v7, v36, v25, vcc
	v_lshlrev_b32_e32 v7, 2, v7
	ds_bpermute_b32 v7, v7, v43
	v_cmp_lt_i32_e32 vcc, v26, v24
	v_cndmask_b32_e32 v8, v36, v26, vcc
	v_lshlrev_b32_e32 v8, 2, v8
	v_cmp_lt_i32_e32 vcc, v27, v24
	s_waitcnt lgkmcnt(0)
	v_add_f32_e32 v7, v43, v7
	ds_bpermute_b32 v8, v8, v7
	v_cndmask_b32_e32 v9, v36, v27, vcc
	v_lshlrev_b32_e32 v9, 2, v9
	v_cmp_lt_i32_e32 vcc, v28, v24
	v_cmp_ne_u32_e64 s[0:1], 0, v6
	s_waitcnt lgkmcnt(0)
	v_add_f32_e32 v7, v7, v8
	ds_bpermute_b32 v8, v9, v7
	v_cndmask_b32_e32 v9, v36, v28, vcc
	v_lshlrev_b32_e32 v9, 2, v9
	v_cmp_lt_i32_e32 vcc, v29, v24
	s_waitcnt lgkmcnt(0)
	v_add_f32_e32 v7, v7, v8
	ds_bpermute_b32 v8, v9, v7
	v_cndmask_b32_e32 v9, v36, v29, vcc
	v_lshlrev_b32_e32 v9, 2, v9
	v_cmp_eq_u32_e32 vcc, 0, v6
	s_waitcnt lgkmcnt(0)
	v_add_f32_e32 v7, v7, v8
	ds_bpermute_b32 v8, v9, v7
	s_waitcnt lgkmcnt(0)
	v_add_f32_e32 v24, v7, v8
	s_and_saveexec_b64 s[8:9], s[0:1]
	s_xor_b64 s[8:9], exec, s[8:9]
	s_cbranch_execnz .LBB68_22
; %bb.19:
	s_andn2_saveexec_b64 s[0:1], s[8:9]
	s_cbranch_execnz .LBB68_25
.LBB68_20:
	s_or_b64 exec, exec, s[0:1]
	s_and_saveexec_b64 s[0:1], vcc
	s_cbranch_execnz .LBB68_26
.LBB68_21:
	s_endpgm
.LBB68_22:
	v_lshl_add_u32 v6, v1, 9, v34
	v_cmp_eq_u32_e64 s[0:1], 0, v0
	ds_write_b128 v6, v[2:5]
	s_and_saveexec_b64 s[10:11], s[0:1]
; %bb.23:
	v_lshlrev_b32_e32 v1, 2, v1
	ds_write_b32 v1, v24 offset:17408
; %bb.24:
	s_or_b64 exec, exec, s[10:11]
                                        ; implicit-def: $vgpr1
                                        ; implicit-def: $vgpr34
	s_andn2_saveexec_b64 s[0:1], s[8:9]
	s_cbranch_execz .LBB68_20
.LBB68_25:
	v_lshl_add_u32 v6, v1, 9, v34
	v_lshlrev_b32_e32 v1, 2, v1
	s_waitcnt lgkmcnt(0)
	s_barrier
	ds_read_b128 v[6:9], v6 offset:512
	ds_read_b32 v1, v1 offset:17412
	s_waitcnt lgkmcnt(1)
	v_pk_add_f16 v2, v6, v2
	v_pk_add_f16 v3, v7, v3
	v_pk_add_f16 v4, v8, v4
	v_pk_add_f16 v5, v9, v5
	s_waitcnt lgkmcnt(0)
	v_add_f32_e32 v24, v24, v1
	s_or_b64 exec, exec, s[0:1]
	s_and_saveexec_b64 s[0:1], vcc
	s_cbranch_execz .LBB68_21
.LBB68_26:
	s_cmp_eq_u64 s[16:17], 0
	s_cselect_b64 s[0:1], -1, 0
	s_cmp_lg_u32 s7, 0
	s_cselect_b64 s[8:9], -1, 0
	s_or_b64 s[0:1], s[8:9], s[0:1]
	s_and_b64 vcc, exec, s[0:1]
	s_cbranch_vccnz .LBB68_28
; %bb.27:
	v_add_u32_e32 v6, s29, v31
	v_ashrrev_i32_e32 v7, 31, v6
	v_lshlrev_b64 v[6:7], 2, v[6:7]
	v_mov_b32_e32 v1, s17
	v_add_co_u32_e32 v6, vcc, s16, v6
	v_addc_co_u32_e32 v7, vcc, v1, v7, vcc
	global_load_dword v1, v[6:7], off
	v_max_f32_e32 v6, v23, v23
	s_mov_b32 s0, 0x3fb8aa3b
	s_mov_b32 s1, 0xc2ce8ed0
	s_waitcnt vmcnt(0)
	v_max_f32_e32 v7, v1, v1
	v_max_f32_e32 v6, v6, v7
	v_sub_f32_e32 v7, v23, v6
	v_sub_f32_e32 v1, v1, v6
	v_mul_f32_e32 v8, 0x3fb8aa3b, v7
	v_mul_f32_e32 v9, 0x3fb8aa3b, v1
	v_fma_f32 v10, v7, s0, -v8
	v_rndne_f32_e32 v11, v8
	v_fma_f32 v12, v1, s0, -v9
	v_rndne_f32_e32 v13, v9
	v_fmac_f32_e32 v10, 0x32a5705f, v7
	v_sub_f32_e32 v8, v8, v11
	v_fmac_f32_e32 v12, 0x32a5705f, v1
	v_sub_f32_e32 v9, v9, v13
	v_add_f32_e32 v8, v8, v10
	v_cvt_i32_f32_e32 v11, v11
	v_add_f32_e32 v9, v9, v12
	v_exp_f32_e32 v8, v8
	v_cvt_i32_f32_e32 v13, v13
	v_exp_f32_e32 v9, v9
	v_cmp_ngt_f32_e32 vcc, s1, v7
	v_ldexp_f32 v8, v8, v11
	s_mov_b32 s0, 0x42b17218
	v_ldexp_f32 v9, v9, v13
	v_cndmask_b32_e32 v8, 0, v8, vcc
	v_cmp_ngt_f32_e32 vcc, s1, v1
	v_mov_b32_e32 v10, 0x7f800000
	v_cndmask_b32_e32 v9, 0, v9, vcc
	v_cmp_nlt_f32_e32 vcc, s0, v7
	v_cndmask_b32_e32 v7, v10, v8, vcc
	v_cvt_f16_f32_e32 v8, v7
	v_cmp_nlt_f32_e32 vcc, s0, v1
	v_cndmask_b32_e32 v1, v10, v9, vcc
	v_fmac_f32_e32 v1, v24, v7
	v_mov_b32_e32 v24, v1
	v_mul_u32_u24_e32 v1, 0x10001, v8
	v_pk_mul_f16 v2, v2, v1
	v_pk_mul_f16 v3, v3, v1
	v_pk_mul_f16 v4, v4, v1
	v_pk_mul_f16 v5, v5, v1
	v_mov_b32_e32 v23, v6
.LBB68_28:
	v_cmp_gt_i32_e32 vcc, s2, v32
	s_and_b64 exec, exec, vcc
	s_cbranch_execz .LBB68_21
; %bb.29:
	v_div_scale_f32 v1, s[0:1], v24, v24, 1.0
	v_div_scale_f32 v6, vcc, 1.0, v24, 1.0
	v_cmp_eq_u32_e64 s[0:1], 0, v0
	s_mul_i32 s33, s33, s2
	v_cvt_f32_f16_sdwa v11, v2 dst_sel:DWORD dst_unused:UNUSED_PAD src0_sel:WORD_1
	v_cvt_f32_f16_e32 v12, v2
	v_add_u32_e32 v2, s33, v32
	s_load_dword s4, s[4:5], 0xd4
	v_mul_lo_u32 v2, v2, s3
	v_cvt_f32_f16_sdwa v7, v3 dst_sel:DWORD dst_unused:UNUSED_PAD src0_sel:WORD_1
	v_cvt_f32_f16_e32 v3, v3
	v_mov_b32_e32 v10, 0
	s_waitcnt lgkmcnt(0)
	s_cmp_lg_u32 s4, 1
	v_cvt_f32_f16_sdwa v13, v5 dst_sel:DWORD dst_unused:UNUSED_PAD src0_sel:WORD_1
	v_rcp_f32_e32 v0, v1
	v_cvt_f32_f16_e32 v14, v5
	s_cselect_b64 s[2:3], -1, 0
	v_cvt_f32_f16_sdwa v15, v4 dst_sel:DWORD dst_unused:UNUSED_PAD src0_sel:WORD_1
	v_fma_f32 v8, -v1, v0, 1.0
	v_fmac_f32_e32 v0, v8, v0
	v_mul_f32_e32 v8, v6, v0
	v_fma_f32 v9, -v1, v8, v6
	v_fmac_f32_e32 v8, v9, v0
	v_fma_f32 v1, -v1, v8, v6
	v_div_fmas_f32 v6, v1, v0, v8
	v_add3_u32 v0, s29, v31, v2
	v_mul_lo_u32 v0, s4, v0
	v_mov_b32_e32 v8, s21
	s_and_b64 s[0:1], s[0:1], s[2:3]
	v_add_u32_e32 v0, s7, v0
	v_lshl_add_u32 v9, v0, 8, v33
	v_lshlrev_b64 v[1:2], 2, v[9:10]
	v_add_u32_e32 v9, 0x80, v9
	v_add_co_u32_e32 v1, vcc, s20, v1
	v_addc_co_u32_e32 v2, vcc, v8, v2, vcc
	v_div_fixup_f32 v5, v6, v24, 1.0
	v_cndmask_b32_e64 v16, v5, 1.0, s[2:3]
	v_mul_f32_e32 v8, v16, v7
	v_mul_f32_e32 v7, v16, v3
	;; [unrolled: 1-line block ×4, first 2 shown]
	global_store_dwordx4 v[1:2], v[5:8], off
	v_cvt_f32_f16_e32 v1, v4
	v_lshlrev_b64 v[5:6], 2, v[9:10]
	v_mov_b32_e32 v7, s21
	v_add_co_u32_e32 v5, vcc, s20, v5
	v_mul_f32_e32 v4, v16, v13
	v_mul_f32_e32 v3, v16, v14
	;; [unrolled: 1-line block ×4, first 2 shown]
	v_addc_co_u32_e32 v6, vcc, v7, v6, vcc
	global_store_dwordx4 v[5:6], v[1:4], off
	s_and_b64 exec, exec, s[0:1]
	s_cbranch_execz .LBB68_21
; %bb.30:
	v_ashrrev_i32_e32 v1, 31, v0
	v_lshlrev_b64 v[0:1], 3, v[0:1]
	v_mov_b32_e32 v2, s23
	v_add_co_u32_e32 v0, vcc, s22, v0
	v_addc_co_u32_e32 v1, vcc, v2, v1, vcc
	global_store_dwordx2 v[0:1], v[23:24], off
	s_endpgm
	.section	.rodata,"a",@progbits
	.p2align	6, 0x0
	.amdhsa_kernel _ZL15flash_attn_tileILi256ELi256ELi2ELi2ELb1EEvPKcS1_S1_S1_S1_PKiPfP15HIP_vector_typeIfLj2EEffffjfiS5_IjLj3EEiiiiiiiiiiiliiliiiiil
		.amdhsa_group_segment_fixed_size 20000
		.amdhsa_private_segment_fixed_size 0
		.amdhsa_kernarg_size 464
		.amdhsa_user_sgpr_count 6
		.amdhsa_user_sgpr_private_segment_buffer 1
		.amdhsa_user_sgpr_dispatch_ptr 0
		.amdhsa_user_sgpr_queue_ptr 0
		.amdhsa_user_sgpr_kernarg_segment_ptr 1
		.amdhsa_user_sgpr_dispatch_id 0
		.amdhsa_user_sgpr_flat_scratch_init 0
		.amdhsa_user_sgpr_private_segment_size 0
		.amdhsa_uses_dynamic_stack 0
		.amdhsa_system_sgpr_private_segment_wavefront_offset 0
		.amdhsa_system_sgpr_workgroup_id_x 1
		.amdhsa_system_sgpr_workgroup_id_y 1
		.amdhsa_system_sgpr_workgroup_id_z 1
		.amdhsa_system_sgpr_workgroup_info 0
		.amdhsa_system_vgpr_workitem_id 1
		.amdhsa_next_free_vgpr 108
		.amdhsa_next_free_sgpr 98
		.amdhsa_reserve_vcc 1
		.amdhsa_reserve_flat_scratch 0
		.amdhsa_float_round_mode_32 0
		.amdhsa_float_round_mode_16_64 0
		.amdhsa_float_denorm_mode_32 3
		.amdhsa_float_denorm_mode_16_64 3
		.amdhsa_dx10_clamp 1
		.amdhsa_ieee_mode 1
		.amdhsa_fp16_overflow 0
		.amdhsa_exception_fp_ieee_invalid_op 0
		.amdhsa_exception_fp_denorm_src 0
		.amdhsa_exception_fp_ieee_div_zero 0
		.amdhsa_exception_fp_ieee_overflow 0
		.amdhsa_exception_fp_ieee_underflow 0
		.amdhsa_exception_fp_ieee_inexact 0
		.amdhsa_exception_int_div_zero 0
	.end_amdhsa_kernel
	.section	.text._ZL15flash_attn_tileILi256ELi256ELi2ELi2ELb1EEvPKcS1_S1_S1_S1_PKiPfP15HIP_vector_typeIfLj2EEffffjfiS5_IjLj3EEiiiiiiiiiiiliiliiiiil,"axG",@progbits,_ZL15flash_attn_tileILi256ELi256ELi2ELi2ELb1EEvPKcS1_S1_S1_S1_PKiPfP15HIP_vector_typeIfLj2EEffffjfiS5_IjLj3EEiiiiiiiiiiiliiliiiiil,comdat
.Lfunc_end68:
	.size	_ZL15flash_attn_tileILi256ELi256ELi2ELi2ELb1EEvPKcS1_S1_S1_S1_PKiPfP15HIP_vector_typeIfLj2EEffffjfiS5_IjLj3EEiiiiiiiiiiiliiliiiiil, .Lfunc_end68-_ZL15flash_attn_tileILi256ELi256ELi2ELi2ELb1EEvPKcS1_S1_S1_S1_PKiPfP15HIP_vector_typeIfLj2EEffffjfiS5_IjLj3EEiiiiiiiiiiiliiliiiiil
                                        ; -- End function
	.set _ZL15flash_attn_tileILi256ELi256ELi2ELi2ELb1EEvPKcS1_S1_S1_S1_PKiPfP15HIP_vector_typeIfLj2EEffffjfiS5_IjLj3EEiiiiiiiiiiiliiliiiiil.num_vgpr, 108
	.set _ZL15flash_attn_tileILi256ELi256ELi2ELi2ELb1EEvPKcS1_S1_S1_S1_PKiPfP15HIP_vector_typeIfLj2EEffffjfiS5_IjLj3EEiiiiiiiiiiiliiliiiiil.num_agpr, 0
	.set _ZL15flash_attn_tileILi256ELi256ELi2ELi2ELb1EEvPKcS1_S1_S1_S1_PKiPfP15HIP_vector_typeIfLj2EEffffjfiS5_IjLj3EEiiiiiiiiiiiliiliiiiil.numbered_sgpr, 40
	.set _ZL15flash_attn_tileILi256ELi256ELi2ELi2ELb1EEvPKcS1_S1_S1_S1_PKiPfP15HIP_vector_typeIfLj2EEffffjfiS5_IjLj3EEiiiiiiiiiiiliiliiiiil.num_named_barrier, 0
	.set _ZL15flash_attn_tileILi256ELi256ELi2ELi2ELb1EEvPKcS1_S1_S1_S1_PKiPfP15HIP_vector_typeIfLj2EEffffjfiS5_IjLj3EEiiiiiiiiiiiliiliiiiil.private_seg_size, 0
	.set _ZL15flash_attn_tileILi256ELi256ELi2ELi2ELb1EEvPKcS1_S1_S1_S1_PKiPfP15HIP_vector_typeIfLj2EEffffjfiS5_IjLj3EEiiiiiiiiiiiliiliiiiil.uses_vcc, 1
	.set _ZL15flash_attn_tileILi256ELi256ELi2ELi2ELb1EEvPKcS1_S1_S1_S1_PKiPfP15HIP_vector_typeIfLj2EEffffjfiS5_IjLj3EEiiiiiiiiiiiliiliiiiil.uses_flat_scratch, 0
	.set _ZL15flash_attn_tileILi256ELi256ELi2ELi2ELb1EEvPKcS1_S1_S1_S1_PKiPfP15HIP_vector_typeIfLj2EEffffjfiS5_IjLj3EEiiiiiiiiiiiliiliiiiil.has_dyn_sized_stack, 0
	.set _ZL15flash_attn_tileILi256ELi256ELi2ELi2ELb1EEvPKcS1_S1_S1_S1_PKiPfP15HIP_vector_typeIfLj2EEffffjfiS5_IjLj3EEiiiiiiiiiiiliiliiiiil.has_recursion, 0
	.set _ZL15flash_attn_tileILi256ELi256ELi2ELi2ELb1EEvPKcS1_S1_S1_S1_PKiPfP15HIP_vector_typeIfLj2EEffffjfiS5_IjLj3EEiiiiiiiiiiiliiliiiiil.has_indirect_call, 0
	.section	.AMDGPU.csdata,"",@progbits
; Kernel info:
; codeLenInByte = 8112
; TotalNumSgprs: 44
; NumVgprs: 108
; ScratchSize: 0
; MemoryBound: 0
; FloatMode: 240
; IeeeMode: 1
; LDSByteSize: 20000 bytes/workgroup (compile time only)
; SGPRBlocks: 12
; VGPRBlocks: 26
; NumSGPRsForWavesPerEU: 102
; NumVGPRsForWavesPerEU: 108
; Occupancy: 2
; WaveLimiterHint : 1
; COMPUTE_PGM_RSRC2:SCRATCH_EN: 0
; COMPUTE_PGM_RSRC2:USER_SGPR: 6
; COMPUTE_PGM_RSRC2:TRAP_HANDLER: 0
; COMPUTE_PGM_RSRC2:TGID_X_EN: 1
; COMPUTE_PGM_RSRC2:TGID_Y_EN: 1
; COMPUTE_PGM_RSRC2:TGID_Z_EN: 1
; COMPUTE_PGM_RSRC2:TIDIG_COMP_CNT: 1
	.section	.text._ZL15flash_attn_tileILi256ELi256ELi1ELi2ELb1EEvPKcS1_S1_S1_S1_PKiPfP15HIP_vector_typeIfLj2EEffffjfiS5_IjLj3EEiiiiiiiiiiiliiliiiiil,"axG",@progbits,_ZL15flash_attn_tileILi256ELi256ELi1ELi2ELb1EEvPKcS1_S1_S1_S1_PKiPfP15HIP_vector_typeIfLj2EEffffjfiS5_IjLj3EEiiiiiiiiiiiliiliiiiil,comdat
	.globl	_ZL15flash_attn_tileILi256ELi256ELi1ELi2ELb1EEvPKcS1_S1_S1_S1_PKiPfP15HIP_vector_typeIfLj2EEffffjfiS5_IjLj3EEiiiiiiiiiiiliiliiiiil ; -- Begin function _ZL15flash_attn_tileILi256ELi256ELi1ELi2ELb1EEvPKcS1_S1_S1_S1_PKiPfP15HIP_vector_typeIfLj2EEffffjfiS5_IjLj3EEiiiiiiiiiiiliiliiiiil
	.p2align	8
	.type	_ZL15flash_attn_tileILi256ELi256ELi1ELi2ELb1EEvPKcS1_S1_S1_S1_PKiPfP15HIP_vector_typeIfLj2EEffffjfiS5_IjLj3EEiiiiiiiiiiiliiliiiiil,@function
_ZL15flash_attn_tileILi256ELi256ELi1ELi2ELb1EEvPKcS1_S1_S1_S1_PKiPfP15HIP_vector_typeIfLj2EEffffjfiS5_IjLj3EEiiiiiiiiiiiliiliiiiil: ; @_ZL15flash_attn_tileILi256ELi256ELi1ELi2ELb1EEvPKcS1_S1_S1_S1_PKiPfP15HIP_vector_typeIfLj2EEffffjfiS5_IjLj3EEiiiiiiiiiiiliiliiiiil
; %bb.0:
	s_load_dwordx4 s[24:27], s[4:5], 0x5c
	s_load_dwordx2 s[34:35], s[4:5], 0x80
	s_load_dwordx2 s[38:39], s[4:5], 0xb8
	s_mov_b64 s[36:37], 0
	s_waitcnt lgkmcnt(0)
	s_lshr_b32 s0, s27, 31
	s_add_i32 s0, s27, s0
	s_ashr_i32 s0, s0, 1
	v_cvt_f32_u32_e32 v2, s0
	s_sub_i32 s1, 0, s0
	v_rcp_iflag_f32_e32 v2, v2
	v_mul_f32_e32 v2, 0x4f7ffffe, v2
	v_cvt_u32_f32_e32 v2, v2
	v_readfirstlane_b32 s2, v2
	s_mul_i32 s1, s1, s2
	s_mul_hi_u32 s1, s2, s1
	s_add_i32 s2, s2, s1
	s_mul_hi_u32 s1, s8, s2
	s_mul_i32 s2, s1, s0
	s_sub_i32 s2, s8, s2
	s_add_i32 s3, s1, 1
	s_sub_i32 s9, s2, s0
	s_cmp_ge_u32 s2, s0
	s_cselect_b32 s1, s3, s1
	s_cselect_b32 s2, s9, s2
	s_add_i32 s3, s1, 1
	s_cmp_ge_u32 s2, s0
	s_cselect_b32 s33, s3, s1
	s_abs_i32 s1, s35
	v_cvt_f32_u32_e32 v2, s1
	s_lshl_b32 s0, s8, 1
	s_sub_i32 s8, 0, s1
	s_abs_i32 s3, s27
	v_rcp_iflag_f32_e32 v2, v2
	s_xor_b32 s2, s27, s35
	s_ashr_i32 s2, s2, 31
	v_mul_f32_e32 v2, 0x4f7ffffe, v2
	v_cvt_u32_f32_e32 v2, v2
	v_readfirstlane_b32 s9, v2
	s_mul_i32 s8, s8, s9
	s_mul_hi_u32 s8, s9, s8
	s_add_i32 s9, s9, s8
	s_mul_hi_u32 s8, s3, s9
	s_mul_i32 s9, s8, s1
	s_sub_i32 s3, s3, s9
	s_add_i32 s10, s8, 1
	s_sub_i32 s9, s3, s1
	s_cmp_ge_u32 s3, s1
	s_cselect_b32 s8, s10, s8
	s_cselect_b32 s3, s9, s3
	s_add_i32 s9, s8, 1
	s_cmp_ge_u32 s3, s1
	s_cselect_b32 s1, s9, s8
	s_xor_b32 s1, s1, s2
	s_sub_i32 s41, s1, s2
	s_abs_i32 s40, s41
	v_cvt_f32_u32_e32 v2, s40
	s_load_dwordx16 s[8:23], s[4:5], 0x0
	s_mul_i32 s1, s33, s27
	v_rcp_iflag_f32_e32 v2, v2
	s_waitcnt lgkmcnt(0)
	s_cmp_eq_u64 s[14:15], 0
	v_mul_f32_e32 v2, 0x4f7ffffe, v2
	v_cvt_u32_f32_e32 v2, v2
	v_readfirstlane_b32 s28, v2
	s_cbranch_scc1 .LBB69_2
; %bb.1:
	s_abs_i32 s29, s38
	v_cvt_f32_u32_e32 v2, s29
	s_sub_i32 s35, 0, s29
	s_abs_i32 s31, s33
	s_ashr_i32 s30, s33, 31
	v_rcp_iflag_f32_e32 v2, v2
	s_load_dwordx2 s[2:3], s[4:5], 0xc8
	v_mul_f32_e32 v2, 0x4f7ffffe, v2
	v_cvt_u32_f32_e32 v2, v2
	v_readfirstlane_b32 s36, v2
	s_mul_i32 s35, s35, s36
	s_mul_hi_u32 s35, s36, s35
	s_add_i32 s36, s36, s35
	s_mul_hi_u32 s35, s31, s36
	s_mul_i32 s35, s35, s29
	s_sub_i32 s31, s31, s35
	s_sub_i32 s35, s31, s29
	s_cmp_ge_u32 s31, s29
	s_cselect_b32 s31, s35, s31
	s_sub_i32 s35, s31, s29
	s_cmp_ge_u32 s31, s29
	s_cselect_b32 s29, s35, s31
	s_xor_b32 s29, s29, s30
	s_sub_i32 s29, s29, s30
	s_ashr_i32 s30, s29, 31
	s_waitcnt lgkmcnt(0)
	s_mul_hi_u32 s31, s2, s29
	s_mul_i32 s30, s2, s30
	s_mul_i32 s3, s3, s29
	s_add_i32 s30, s31, s30
	s_add_i32 s30, s30, s3
	s_mul_i32 s2, s2, s29
	s_add_u32 s36, s14, s2
	s_addc_u32 s37, s15, s30
.LBB69_2:
	v_lshlrev_b32_e32 v2, 7, v1
	v_and_b32_e32 v3, 0x180, v2
	v_lshlrev_b32_e32 v31, 2, v0
	s_sub_i32 s35, s0, s1
	v_add_u32_e32 v2, v3, v31
	s_movk_i32 s0, 0x100
	v_cmp_gt_u32_e32 vcc, s0, v2
	v_lshlrev_b32_e32 v2, 3, v0
	v_bfe_u32 v33, v1, 2, 1
	v_lshrrev_b32_e32 v32, 3, v1
	v_lshlrev_b32_e32 v4, 2, v31
	s_and_saveexec_b64 s[14:15], vcc
	s_cbranch_execz .LBB69_4
; %bb.3:
	s_load_dwordx4 s[0:3], s[4:5], 0x70
	v_add_u32_e32 v7, s6, v32
	v_mul_hi_u32 v5, s24, v7
	v_lshlrev_b32_e32 v3, 2, v3
	s_waitcnt lgkmcnt(0)
	s_mul_i32 s3, s33, s2
	s_ashr_i32 s30, s3, 31
	s_mul_i32 s29, s35, s1
	s_add_u32 s3, s8, s3
	v_add_u32_e32 v5, v7, v5
	s_addc_u32 s8, s9, s30
	s_ashr_i32 s9, s29, 31
	v_lshrrev_b32_e32 v5, s25, v5
	s_add_u32 s29, s3, s29
	v_mul_lo_u32 v8, v5, s26
	s_addc_u32 s30, s8, s9
	s_ashr_i32 s3, s1, 31
	s_mov_b32 s2, s1
	s_lshr_b32 s1, s3, 2
	v_mul_lo_u32 v6, s1, v33
	s_ashr_i32 s1, s0, 31
	s_lshr_b64 s[8:9], s[2:3], 2
	s_lshr_b64 s[2:3], s[0:1], 2
	v_sub_u32_e32 v9, v7, v8
	v_mad_u64_u32 v[7:8], s[2:3], s2, v9, 0
	v_mul_lo_u32 v5, s8, v33
	s_lshr_b32 s0, s1, 2
	v_mad_u64_u32 v[8:9], s[0:1], s0, v9, v[8:9]
	v_lshlrev_b64 v[5:6], 2, v[5:6]
	v_mov_b32_e32 v10, s30
	v_add_co_u32_e32 v9, vcc, s29, v5
	v_addc_co_u32_e32 v10, vcc, v10, v6, vcc
	v_lshlrev_b64 v[5:6], 2, v[7:8]
	s_load_dword s0, s[4:5], 0x40
	v_add_co_u32_e32 v5, vcc, v9, v5
	v_addc_co_u32_e32 v6, vcc, v10, v6, vcc
	v_add_co_u32_e32 v3, vcc, v5, v3
	v_addc_co_u32_e32 v6, vcc, 0, v6, vcc
	;; [unrolled: 2-line block ×3, first 2 shown]
	global_load_dwordx4 v[5:8], v[5:6], off
	v_lshrrev_b32_e32 v3, 2, v1
	v_lshlrev_b32_e32 v9, 8, v1
	v_lshlrev_b32_e32 v3, 9, v3
	v_and_b32_e32 v9, 0x300, v9
	v_add3_u32 v3, v3, v9, v2
	s_waitcnt vmcnt(0) lgkmcnt(0)
	v_fma_mixlo_f16 v5, s0, v5, 0
	v_fma_mixlo_f16 v6, s0, v6, 0
	;; [unrolled: 1-line block ×4, first 2 shown]
	v_lshlrev_b32_e32 v6, 16, v6
	v_and_b32_e32 v5, 0xffff, v5
	v_lshlrev_b32_e32 v8, 16, v8
	v_and_b32_e32 v7, 0xffff, v7
	v_or_b32_e32 v5, v6, v5
	v_or3_b32 v6, v8, v7, 0
	v_or3_b32 v5, 0, 0, v5
	ds_write_b64 v3, v[5:6] offset:18432
.LBB69_4:
	s_or_b64 exec, exec, s[14:15]
	s_cmp_eq_u64 s[18:19], 0
	s_waitcnt lgkmcnt(0)
	s_barrier
	s_cbranch_scc1 .LBB69_6
; %bb.5:
	s_load_dword s0, s[4:5], 0xd0
	s_mov_b32 s1, 0
	s_waitcnt lgkmcnt(0)
	s_mul_i32 s0, s0, s33
	s_add_i32 s0, s0, s6
	s_lshl_b64 s[0:1], s[0:1], 2
	s_add_u32 s0, s18, s0
	s_addc_u32 s1, s19, s1
	s_load_dword s34, s[0:1], 0x0
.LBB69_6:
	s_lshl_b32 s14, s7, 7
	s_waitcnt lgkmcnt(0)
	s_cmp_lt_i32 s14, s34
	v_mbcnt_lo_u32_b32 v5, -1, 0
	v_and_b32_e32 v35, 3, v1
	s_cbranch_scc1 .LBB69_9
; %bb.7:
	v_mbcnt_hi_u32_b32 v36, -1, v5
	v_and_b32_e32 v3, 0x60, v36
	v_add_u32_e32 v24, 32, v3
	v_xor_b32_e32 v25, 16, v36
	v_xor_b32_e32 v26, 8, v36
	;; [unrolled: 1-line block ×5, first 2 shown]
	v_and_b32_e32 v6, 3, v1
	v_lshlrev_b32_e32 v34, 2, v1
	v_cmp_eq_u32_e64 s[0:1], 0, v0
	s_cbranch_execz .LBB69_10
; %bb.8:
	v_mov_b32_e32 v5, 0
	v_mov_b32_e32 v44, 0
	;; [unrolled: 1-line block ×6, first 2 shown]
	s_branch .LBB69_20
.LBB69_9:
                                        ; implicit-def: $vgpr36
                                        ; implicit-def: $vgpr24
                                        ; implicit-def: $vgpr25
                                        ; implicit-def: $vgpr26
                                        ; implicit-def: $vgpr27
                                        ; implicit-def: $vgpr28
                                        ; implicit-def: $vgpr29
                                        ; implicit-def: $vgpr6
	v_lshlrev_b32_e32 v34, 2, v1
	v_cmp_eq_u32_e64 s[0:1], 0, v0
.LBB69_10:
	s_sub_i32 s2, 0, s40
	s_mul_i32 s2, s2, s28
	s_mul_hi_u32 s2, s28, s2
	s_abs_i32 s38, s35
	s_add_i32 s28, s28, s2
	s_mul_hi_u32 s42, s38, s28
	s_load_dwordx4 s[28:31], s[4:5], 0x98
	s_load_dword s15, s[4:5], 0x54
	s_load_dwordx2 s[2:3], s[4:5], 0x8c
	s_ashr_i32 s43, s35, 31
	s_ashr_i32 s41, s41, 31
	s_waitcnt lgkmcnt(0)
	s_ashr_i32 s18, s30, 2
	s_ashr_i32 s30, s39, 1
	;; [unrolled: 1-line block ×4, first 2 shown]
	s_mul_hi_u32 s39, s28, s33
	s_mul_i32 s44, s28, s2
	s_add_i32 s39, s39, s44
	s_mul_i32 s29, s29, s33
	s_add_i32 s39, s39, s29
	s_mul_i32 s28, s28, s33
	s_add_u32 s10, s10, s28
	s_mul_i32 s29, s42, s40
	s_addc_u32 s11, s11, s39
	s_sub_i32 s29, s38, s29
	s_xor_b32 s28, s43, s41
	s_add_i32 s38, s42, 1
	s_sub_i32 s39, s29, s40
	s_cmp_ge_u32 s29, s40
	s_cselect_b32 s38, s38, s42
	s_cselect_b32 s29, s39, s29
	s_add_i32 s39, s38, 1
	s_cmp_ge_u32 s29, s40
	s_load_dwordx2 s[8:9], s[4:5], 0xa8
	s_cselect_b32 s29, s39, s38
	s_xor_b32 s29, s29, s28
	s_sub_i32 s28, s29, s28
	s_mul_i32 s3, s28, s3
	v_add_u32_e32 v16, s6, v32
	s_ashr_i32 s29, s3, 31
	v_mul_hi_u32 v17, s24, v16
	s_add_u32 s10, s10, s3
	s_waitcnt lgkmcnt(0)
	s_mul_hi_u32 s3, s8, s33
	s_mul_i32 s2, s8, s2
	s_addc_u32 s11, s11, s29
	s_add_i32 s2, s3, s2
	s_mul_i32 s3, s9, s33
	s_add_i32 s2, s2, s3
	s_mul_i32 s3, s8, s33
	v_lshrrev_b32_e32 v3, 3, v0
	s_add_u32 s3, s12, s3
	s_mul_i32 s28, s28, s31
	v_add_u32_e32 v6, v3, v34
	v_add_u32_e32 v17, v16, v17
	s_addc_u32 s2, s13, s2
	s_ashr_i32 s8, s28, 31
	v_mul_lo_u32 v8, s19, v6
	v_lshrrev_b32_e32 v17, s25, v17
	s_add_u32 s12, s3, s28
	v_and_b32_e32 v24, 28, v31
	v_mul_lo_u32 v17, v17, s26
	s_addc_u32 s13, s2, s8
	v_lshlrev_b32_e32 v7, 2, v24
	s_movk_i32 s2, 0x90
	v_mad_u32_u24 v37, v6, s2, v7
	s_lshl_b32 s2, s19, 5
	v_lshlrev_b32_e32 v7, 5, v1
	v_add_u32_e32 v10, s2, v8
	v_and_b32_e32 v18, 0x60, v7
	v_and_b32_e32 v19, 0x1f80, v7
	v_mov_b32_e32 v7, 0x4800
	v_add_u32_e32 v12, s2, v10
	v_add_u32_e32 v6, v18, v0
	v_lshl_add_u32 v42, v19, 2, v7
	v_sub_u32_e32 v7, v16, v17
	v_add_u32_e32 v14, s2, v12
	v_mul_u32_u24_e32 v41, 0x90, v6
	v_mad_u64_u32 v[6:7], s[2:3], v7, s30, v[6:7]
	v_and_b32_e32 v7, 3, v0
	s_movk_i32 s2, 0xfc
	v_and_or_b32 v7, v1, s2, v7
	v_mov_b32_e32 v16, 0x4e00
	v_lshl_add_u32 v45, v7, 2, v16
	v_mul_lo_u32 v16, s18, v1
	v_mov_b32_e32 v7, 0x4c00
	v_lshl_add_u32 v7, v19, 1, v7
	s_lshl_b32 s2, s18, 3
	v_lshl_or_b32 v17, v18, 1, v7
	v_add_u32_e32 v18, s2, v16
	v_add_u32_e32 v20, s2, v18
	;; [unrolled: 1-line block ×3, first 2 shown]
	v_ashrrev_i32_e32 v9, 31, v8
	v_ashrrev_i32_e32 v11, 31, v10
	;; [unrolled: 1-line block ×4, first 2 shown]
	v_lshl_add_u32 v46, v0, 1, v17
	v_ashrrev_i32_e32 v17, 31, v16
	v_ashrrev_i32_e32 v19, 31, v18
	;; [unrolled: 1-line block ×4, first 2 shown]
	v_mov_b32_e32 v3, 0
	v_lshl_add_u32 v47, v1, 9, v4
	v_lshl_or_b32 v51, v35, 1, v7
	s_add_u32 s2, s4, 0xd0
	v_lshlrev_b64 v[7:8], 2, v[8:9]
	v_lshlrev_b64 v[9:10], 2, v[10:11]
	;; [unrolled: 1-line block ×8, first 2 shown]
	v_add_u32_e32 v38, 0x1200, v37
	v_add_u32_e32 v39, 0x2400, v37
	;; [unrolled: 1-line block ×7, first 2 shown]
	v_lshl_add_u32 v52, v35, 9, v2
	s_addc_u32 s3, s5, 0
	v_mov_b32_e32 v60, 0xfeffffff
	v_lshlrev_b32_e32 v53, 2, v24
	v_mov_b32_e32 v54, s37
	s_mov_b32 s24, 0x3f200000
	s_mov_b32 s25, 0x3fb8aa3b
	s_mov_b32 s28, 0xc2ce8ed0
	s_mov_b32 s29, 0x42b17218
	v_mov_b32_e32 v55, 0xbd5c1c4e
	v_mov_b32_e32 v56, 0x3e088382
	v_mov_b32_e32 v57, 0xbeaaaa99
	v_mbcnt_hi_u32_b32 v36, -1, v5
	s_brev_b32 s30, -2
	v_lshlrev_b32_e32 v58, 2, v31
	v_mov_b32_e32 v59, 0x7f800000
	v_mov_b32_e32 v2, v3
	;; [unrolled: 1-line block ×5, first 2 shown]
.LBB69_11:                              ; =>This Inner Loop Header: Depth=1
	s_mul_hi_i32 s9, s14, s19
	s_mul_i32 s8, s14, s19
	s_lshl_b64 s[8:9], s[8:9], 2
	s_add_u32 s8, s10, s8
	s_addc_u32 s9, s11, s9
	v_mov_b32_e32 v23, s9
	v_add_co_u32_e32 v24, vcc, s8, v7
	v_addc_co_u32_e32 v25, vcc, v23, v8, vcc
	v_add_co_u32_e32 v23, vcc, v24, v53
	v_addc_co_u32_e32 v24, vcc, 0, v25, vcc
	v_mov_b32_e32 v25, s9
	v_add_co_u32_e32 v26, vcc, s8, v9
	v_addc_co_u32_e32 v27, vcc, v25, v10, vcc
	v_add_co_u32_e32 v25, vcc, v26, v53
	v_addc_co_u32_e32 v26, vcc, 0, v27, vcc
	;; [unrolled: 5-line block ×3, first 2 shown]
	v_mov_b32_e32 v29, s9
	v_add_co_u32_e32 v30, vcc, s8, v13
	v_addc_co_u32_e32 v69, vcc, v29, v14, vcc
	v_add_co_u32_e32 v29, vcc, v30, v53
	global_load_dwordx4 v[61:64], v[23:24], off
	global_load_dwordx4 v[65:68], v[25:26], off
	v_addc_co_u32_e32 v30, vcc, 0, v69, vcc
	global_load_dwordx4 v[69:72], v[27:28], off
	global_load_dwordx4 v[73:76], v[29:30], off
	s_waitcnt vmcnt(3)
	ds_write_b128 v37, v[61:64]
	s_waitcnt vmcnt(2)
	ds_write_b128 v38, v[65:68]
	;; [unrolled: 2-line block ×4, first 2 shown]
	s_waitcnt lgkmcnt(0)
	s_barrier
	ds_read_b128 v[62:65], v41
	ds_read_b128 v[66:69], v42
	v_mov_b32_e32 v61, 0
	s_waitcnt lgkmcnt(0)
	;;#ASMSTART
	v_dot2_f32_f16 v61, v62, v66, v61
	;;#ASMEND
	;;#ASMSTART
	v_dot2_f32_f16 v61, v63, v67, v61
	;;#ASMEND
	;;#ASMSTART
	v_dot2_f32_f16 v61, v64, v68, v61
	;;#ASMEND
	;;#ASMSTART
	v_dot2_f32_f16 v61, v65, v69, v61
	;;#ASMEND
	ds_read_b128 v[62:65], v41 offset:16
	ds_read_b128 v[66:69], v42 offset:16
	s_waitcnt lgkmcnt(0)
	;;#ASMSTART
	v_dot2_f32_f16 v61, v62, v66, v61
	;;#ASMEND
	;;#ASMSTART
	v_dot2_f32_f16 v61, v63, v67, v61
	;;#ASMEND
	;;#ASMSTART
	v_dot2_f32_f16 v61, v64, v68, v61
	;;#ASMEND
	;;#ASMSTART
	v_dot2_f32_f16 v61, v65, v69, v61
	;;#ASMEND
	ds_read_b128 v[62:65], v41 offset:32
	ds_read_b128 v[66:69], v42 offset:32
	;; [unrolled: 15-line block ×7, first 2 shown]
	s_waitcnt lgkmcnt(0)
	;;#ASMSTART
	v_dot2_f32_f16 v61, v62, v66, v61
	;;#ASMEND
	;;#ASMSTART
	v_dot2_f32_f16 v61, v63, v67, v61
	;;#ASMEND
	;; [unrolled: 3-line block ×4, first 2 shown]
	s_barrier
	global_load_dwordx4 v[62:65], v[23:24], off offset:128
	global_load_dwordx4 v[66:69], v[25:26], off offset:128
	;; [unrolled: 1-line block ×4, first 2 shown]
	s_waitcnt vmcnt(3)
	ds_write_b128 v37, v[62:65]
	s_waitcnt vmcnt(2)
	ds_write_b128 v38, v[66:69]
	;; [unrolled: 2-line block ×4, first 2 shown]
	s_waitcnt lgkmcnt(0)
	s_barrier
	ds_read_b128 v[62:65], v41
	ds_read_b128 v[66:69], v42 offset:128
	s_waitcnt lgkmcnt(0)
	;;#ASMSTART
	v_dot2_f32_f16 v61, v62, v66, v61
	;;#ASMEND
	;;#ASMSTART
	v_dot2_f32_f16 v61, v63, v67, v61
	;;#ASMEND
	;;#ASMSTART
	v_dot2_f32_f16 v61, v64, v68, v61
	;;#ASMEND
	;;#ASMSTART
	v_dot2_f32_f16 v61, v65, v69, v61
	;;#ASMEND
	ds_read_b128 v[62:65], v41 offset:16
	ds_read_b128 v[66:69], v42 offset:144
	s_waitcnt lgkmcnt(0)
	;;#ASMSTART
	v_dot2_f32_f16 v61, v62, v66, v61
	;;#ASMEND
	;;#ASMSTART
	v_dot2_f32_f16 v61, v63, v67, v61
	;;#ASMEND
	;;#ASMSTART
	v_dot2_f32_f16 v61, v64, v68, v61
	;;#ASMEND
	;;#ASMSTART
	v_dot2_f32_f16 v61, v65, v69, v61
	;;#ASMEND
	ds_read_b128 v[62:65], v41 offset:32
	;; [unrolled: 15-line block ×7, first 2 shown]
	ds_read_b128 v[66:69], v42 offset:240
	s_waitcnt lgkmcnt(0)
	;;#ASMSTART
	v_dot2_f32_f16 v61, v62, v66, v61
	;;#ASMEND
	;;#ASMSTART
	v_dot2_f32_f16 v61, v63, v67, v61
	;;#ASMEND
	;; [unrolled: 3-line block ×4, first 2 shown]
	s_barrier
	global_load_dwordx4 v[62:65], v[23:24], off offset:256
	global_load_dwordx4 v[66:69], v[25:26], off offset:256
	;; [unrolled: 1-line block ×4, first 2 shown]
	s_waitcnt vmcnt(3)
	ds_write_b128 v37, v[62:65]
	s_waitcnt vmcnt(2)
	ds_write_b128 v38, v[66:69]
	;; [unrolled: 2-line block ×4, first 2 shown]
	s_waitcnt lgkmcnt(0)
	s_barrier
	ds_read_b128 v[62:65], v41
	ds_read_b128 v[66:69], v42 offset:256
	s_waitcnt lgkmcnt(0)
	;;#ASMSTART
	v_dot2_f32_f16 v61, v62, v66, v61
	;;#ASMEND
	;;#ASMSTART
	v_dot2_f32_f16 v61, v63, v67, v61
	;;#ASMEND
	;;#ASMSTART
	v_dot2_f32_f16 v61, v64, v68, v61
	;;#ASMEND
	;;#ASMSTART
	v_dot2_f32_f16 v61, v65, v69, v61
	;;#ASMEND
	ds_read_b128 v[62:65], v41 offset:16
	ds_read_b128 v[66:69], v42 offset:272
	s_waitcnt lgkmcnt(0)
	;;#ASMSTART
	v_dot2_f32_f16 v61, v62, v66, v61
	;;#ASMEND
	;;#ASMSTART
	v_dot2_f32_f16 v61, v63, v67, v61
	;;#ASMEND
	;;#ASMSTART
	v_dot2_f32_f16 v61, v64, v68, v61
	;;#ASMEND
	;;#ASMSTART
	v_dot2_f32_f16 v61, v65, v69, v61
	;;#ASMEND
	ds_read_b128 v[62:65], v41 offset:32
	;; [unrolled: 15-line block ×7, first 2 shown]
	ds_read_b128 v[66:69], v42 offset:368
	s_waitcnt lgkmcnt(0)
	;;#ASMSTART
	v_dot2_f32_f16 v61, v62, v66, v61
	;;#ASMEND
	;;#ASMSTART
	v_dot2_f32_f16 v61, v63, v67, v61
	;;#ASMEND
	;; [unrolled: 3-line block ×4, first 2 shown]
	s_barrier
	global_load_dwordx4 v[62:65], v[23:24], off offset:384
	s_nop 0
	global_load_dwordx4 v[23:26], v[25:26], off offset:384
	s_nop 0
	;; [unrolled: 2-line block ×3, first 2 shown]
	global_load_dwordx4 v[27:30], v[29:30], off offset:384
	s_waitcnt vmcnt(3)
	ds_write_b128 v37, v[62:65]
	s_waitcnt vmcnt(2)
	ds_write_b128 v38, v[23:26]
	;; [unrolled: 2-line block ×4, first 2 shown]
	s_waitcnt lgkmcnt(0)
	s_barrier
	ds_read_b128 v[23:26], v41
	ds_read_b128 v[27:30], v42 offset:384
	s_waitcnt lgkmcnt(0)
	;;#ASMSTART
	v_dot2_f32_f16 v61, v23, v27, v61
	;;#ASMEND
	;;#ASMSTART
	v_dot2_f32_f16 v61, v24, v28, v61
	;;#ASMEND
	;;#ASMSTART
	v_dot2_f32_f16 v61, v25, v29, v61
	;;#ASMEND
	;;#ASMSTART
	v_dot2_f32_f16 v61, v26, v30, v61
	;;#ASMEND
	ds_read_b128 v[23:26], v41 offset:16
	ds_read_b128 v[27:30], v42 offset:400
	s_waitcnt lgkmcnt(0)
	;;#ASMSTART
	v_dot2_f32_f16 v61, v23, v27, v61
	;;#ASMEND
	;;#ASMSTART
	v_dot2_f32_f16 v61, v24, v28, v61
	;;#ASMEND
	;;#ASMSTART
	v_dot2_f32_f16 v61, v25, v29, v61
	;;#ASMEND
	;;#ASMSTART
	v_dot2_f32_f16 v61, v26, v30, v61
	;;#ASMEND
	ds_read_b128 v[23:26], v41 offset:32
	;; [unrolled: 15-line block ×7, first 2 shown]
	ds_read_b128 v[27:30], v42 offset:496
	v_add_u32_e32 v62, s14, v6
	v_ashrrev_i32_e32 v63, 31, v62
	v_lshlrev_b64 v[62:63], 1, v[62:63]
	s_waitcnt lgkmcnt(0)
	;;#ASMSTART
	v_dot2_f32_f16 v61, v23, v27, v61
	;;#ASMEND
	v_add_co_u32_e32 v62, vcc, s36, v62
	;;#ASMSTART
	v_dot2_f32_f16 v61, v24, v28, v61
	;;#ASMEND
	v_addc_co_u32_e32 v63, vcc, v54, v63, vcc
	;;#ASMSTART
	v_dot2_f32_f16 v61, v25, v29, v61
	;;#ASMEND
	;;#ASMSTART
	v_dot2_f32_f16 v61, v26, v30, v61
	;;#ASMEND
	global_load_ushort v23, v[62:63], off
	v_cmp_nlt_f32_e64 s[8:9], |v61|, s24
                                        ; implicit-def: $vgpr26
	s_and_saveexec_b64 s[38:39], s[8:9]
	s_xor_b64 s[8:9], exec, s[38:39]
	s_cbranch_execz .LBB69_13
; %bb.12:                               ;   in Loop: Header=BB69_11 Depth=1
	v_add_f32_e64 v24, |v61|, |v61|
	v_mul_f32_e32 v25, 0x3fb8aa3b, v24
	v_rndne_f32_e32 v26, v25
	v_sub_f32_e32 v27, v25, v26
	v_fma_f32 v25, v24, s25, -v25
	v_fmac_f32_e32 v25, 0x32a5705f, v24
	v_add_f32_e32 v25, v27, v25
	v_cvt_i32_f32_e32 v26, v26
	v_exp_f32_e32 v25, v25
	v_cmp_ngt_f32_e32 vcc, s28, v24
	v_ldexp_f32 v25, v25, v26
	v_cndmask_b32_e32 v25, 0, v25, vcc
	v_cmp_nlt_f32_e32 vcc, s29, v24
	v_cndmask_b32_e32 v24, v59, v25, vcc
	v_add_f32_e32 v24, 1.0, v24
	v_rcp_f32_e32 v24, v24
	v_fma_f32 v26, v24, -2.0, 1.0
.LBB69_13:                              ;   in Loop: Header=BB69_11 Depth=1
	s_andn2_saveexec_b64 s[8:9], s[8:9]
; %bb.14:                               ;   in Loop: Header=BB69_11 Depth=1
	v_mul_f32_e32 v24, v61, v61
	v_mov_b32_e32 v25, 0x3ca908c9
	v_fmac_f32_e32 v25, 0xbbbac73d, v24
	v_fma_f32 v25, v24, v25, v55
	v_fma_f32 v25, v24, v25, v56
	;; [unrolled: 1-line block ×3, first 2 shown]
	v_mul_f32_e64 v25, |v61|, v25
	v_fma_f32 v26, v24, v25, |v61|
; %bb.15:                               ;   in Loop: Header=BB69_11 Depth=1
	s_or_b64 exec, exec, s[8:9]
	v_and_b32_e32 v24, 0x60, v36
	v_add_u32_e32 v24, 32, v24
	v_xor_b32_e32 v25, 16, v36
	v_bfi_b32 v26, s30, v26, v61
	v_cmp_lt_i32_e32 vcc, v25, v24
	s_waitcnt vmcnt(0)
	v_fma_mix_f32 v30, s15, v26, v23 op_sel_hi:[0,0,1]
	v_cndmask_b32_e32 v27, v36, v25, vcc
	v_add_f32_e32 v23, 0x40051340, v30
	v_max_f32_e32 v26, v60, v60
	v_lshlrev_b32_e32 v27, 2, v27
	v_max_f32_e32 v23, v26, v23
	ds_bpermute_b32 v27, v27, v23
	v_xor_b32_e32 v26, 8, v36
	v_cmp_lt_i32_e32 vcc, v26, v24
	v_cndmask_b32_e32 v28, v36, v26, vcc
	v_lshlrev_b32_e32 v28, 2, v28
	s_waitcnt lgkmcnt(0)
	v_max_f32_e32 v27, v27, v27
	v_max_f32_e32 v23, v23, v27
	ds_bpermute_b32 v28, v28, v23
	v_xor_b32_e32 v27, 4, v36
	v_cmp_lt_i32_e32 vcc, v27, v24
	v_cndmask_b32_e32 v29, v36, v27, vcc
	v_lshlrev_b32_e32 v29, 2, v29
	s_waitcnt lgkmcnt(0)
	v_max_f32_e32 v28, v28, v28
	;; [unrolled: 8-line block ×4, first 2 shown]
	v_max_f32_e32 v23, v23, v61
	ds_bpermute_b32 v61, v62, v23
	s_and_saveexec_b64 s[8:9], s[0:1]
	s_cbranch_execz .LBB69_17
; %bb.16:                               ;   in Loop: Header=BB69_11 Depth=1
	s_waitcnt lgkmcnt(0)
	v_max_f32_e32 v61, v61, v61
	v_max_f32_e32 v23, v23, v23
	;; [unrolled: 1-line block ×3, first 2 shown]
	ds_write_b32 v43, v23
.LBB69_17:                              ;   in Loop: Header=BB69_11 Depth=1
	s_or_b64 exec, exec, s[8:9]
	s_waitcnt lgkmcnt(0)
	s_barrier
	ds_read_b32 v23, v45
	v_and_b32_e32 v61, 0x7c, v36
	v_add_u32_e32 v61, 4, v61
	v_cmp_lt_i32_e32 vcc, v28, v61
	v_cndmask_b32_e32 v62, v36, v28, vcc
	v_lshlrev_b32_e32 v62, 2, v62
	s_waitcnt lgkmcnt(0)
	ds_bpermute_b32 v62, v62, v23
	v_cmp_lt_i32_e32 vcc, v29, v61
	v_max_f32_e32 v23, v23, v23
	v_cndmask_b32_e32 v61, v36, v29, vcc
	v_lshlrev_b32_e32 v61, 2, v61
	s_waitcnt lgkmcnt(0)
	v_max_f32_e32 v62, v62, v62
	v_max_f32_e32 v23, v23, v62
	ds_bpermute_b32 v61, v61, v23
	s_mul_hi_i32 s9, s14, s18
	s_mul_i32 s8, s14, s18
	s_lshl_b64 s[8:9], s[8:9], 2
	s_add_u32 s8, s12, s8
	s_waitcnt lgkmcnt(0)
	v_max_f32_e32 v61, v61, v61
	v_max_f32_e32 v23, v23, v61
	v_sub_f32_e32 v30, v30, v23
	v_mul_f32_e32 v61, 0x3fb8aa3b, v30
	v_fma_f32 v62, v30, s25, -v61
	v_rndne_f32_e32 v63, v61
	v_fmac_f32_e32 v62, 0x32a5705f, v30
	v_sub_f32_e32 v61, v61, v63
	v_add_f32_e32 v61, v61, v62
	v_exp_f32_e32 v61, v61
	v_cvt_i32_f32_e32 v62, v63
	v_cmp_ngt_f32_e32 vcc, s28, v30
	v_sub_f32_e32 v60, v60, v23
	s_addc_u32 s9, s13, s9
	v_ldexp_f32 v61, v61, v62
	v_cndmask_b32_e32 v61, 0, v61, vcc
	v_cmp_nlt_f32_e32 vcc, s29, v30
	v_cndmask_b32_e32 v30, v59, v61, vcc
	v_mul_f32_e32 v61, 0x3fb8aa3b, v60
	v_fma_f32 v62, v60, s25, -v61
	v_rndne_f32_e32 v63, v61
	v_fmac_f32_e32 v62, 0x32a5705f, v60
	v_sub_f32_e32 v61, v61, v63
	v_add_f32_e32 v61, v61, v62
	v_exp_f32_e32 v61, v61
	v_cvt_i32_f32_e32 v62, v63
	v_cmp_ngt_f32_e32 vcc, s28, v60
	v_ldexp_f32 v61, v61, v62
	v_cndmask_b32_e32 v61, 0, v61, vcc
	v_cmp_nlt_f32_e32 vcc, s29, v60
	v_cndmask_b32_e32 v60, v59, v61, vcc
	v_fma_f32 v44, v44, v60, v30
	v_cvt_f16_f32_e32 v60, v60
	v_mul_u32_u24_e32 v64, 0x10001, v60
	v_pk_mul_f16 v65, v4, v64
	v_cvt_f16_f32_e32 v4, v30
	v_pk_mul_f16 v66, v5, v64
	v_mov_b32_e32 v5, s9
	v_add_u32_e32 v30, 0x800, v52
	ds_write_b16 v46, v4
	v_add_co_u32_e32 v4, vcc, s8, v15
	v_addc_co_u32_e32 v5, vcc, v5, v16, vcc
	v_add_co_u32_e32 v4, vcc, v4, v58
	v_addc_co_u32_e32 v5, vcc, 0, v5, vcc
	global_load_dwordx4 v[60:63], v[4:5], off
	v_add_co_u32_e32 v4, vcc, s8, v17
	v_mov_b32_e32 v5, s9
	v_addc_co_u32_e32 v5, vcc, v5, v18, vcc
	v_add_co_u32_e32 v4, vcc, v4, v58
	v_addc_co_u32_e32 v5, vcc, 0, v5, vcc
	s_waitcnt vmcnt(0)
	ds_write_b128 v47, v[60:63]
	global_load_dwordx4 v[60:63], v[4:5], off
	v_add_co_u32_e32 v4, vcc, s8, v19
	v_mov_b32_e32 v5, s9
	v_addc_co_u32_e32 v5, vcc, v5, v20, vcc
	v_add_co_u32_e32 v4, vcc, v4, v58
	v_addc_co_u32_e32 v5, vcc, 0, v5, vcc
	s_waitcnt vmcnt(0)
	ds_write_b128 v48, v[60:63]
	global_load_dwordx4 v[60:63], v[4:5], off
	v_add_co_u32_e32 v4, vcc, s8, v21
	v_mov_b32_e32 v5, s9
	v_addc_co_u32_e32 v5, vcc, v5, v22, vcc
	v_add_co_u32_e32 v4, vcc, v4, v58
	v_addc_co_u32_e32 v5, vcc, 0, v5, vcc
	s_or_b32 s8, s14, 32
	s_mul_hi_i32 s9, s8, s18
	s_mul_i32 s8, s8, s18
	s_lshl_b64 s[8:9], s[8:9], 2
	s_add_u32 s8, s12, s8
	s_addc_u32 s9, s13, s9
	s_waitcnt vmcnt(0)
	ds_write_b128 v49, v[60:63]
	global_load_dwordx4 v[60:63], v[4:5], off
	s_waitcnt vmcnt(0)
	ds_write_b128 v50, v[60:63]
	s_waitcnt lgkmcnt(0)
	s_barrier
	ds_read2_b64 v[60:63], v52 offset1:32
	ds_read_u16 v4, v51
	ds_read_u16 v67, v51 offset:8
	ds_read_u16 v68, v51 offset:16
	;; [unrolled: 1-line block ×7, first 2 shown]
	s_waitcnt lgkmcnt(7)
	v_mul_u32_u24_e32 v4, 0x10001, v4
	v_pk_mul_f16 v5, v60, v4
	v_pk_fma_f16 v60, v2, v64, v5
	v_pk_mul_f16 v2, v61, v4
	v_pk_fma_f16 v61, v3, v64, v2
	v_pk_fma_f16 v62, v62, v4, v65
	;; [unrolled: 1-line block ×3, first 2 shown]
	ds_read2_b64 v[2:5], v30 offset1:32
	s_waitcnt lgkmcnt(7)
	v_mul_u32_u24_e32 v64, 0x10001, v67
	s_waitcnt lgkmcnt(5)
	v_mul_u32_u24_e32 v66, 0x10001, v69
	;; [unrolled: 2-line block ×3, first 2 shown]
	s_waitcnt lgkmcnt(0)
	v_pk_fma_f16 v65, v2, v64, v60
	v_add_u32_e32 v60, 0x1000, v52
	v_pk_fma_f16 v61, v3, v64, v61
	v_pk_fma_f16 v62, v4, v64, v62
	;; [unrolled: 1-line block ×3, first 2 shown]
	ds_read2_b64 v[2:5], v60 offset1:32
	v_mul_u32_u24_e32 v64, 0x10001, v68
	s_waitcnt lgkmcnt(0)
	v_pk_fma_f16 v65, v2, v64, v65
	v_add_u32_e32 v2, 0x1800, v52
	v_pk_fma_f16 v3, v3, v64, v61
	v_pk_fma_f16 v4, v4, v64, v62
	;; [unrolled: 1-line block ×3, first 2 shown]
	ds_read2_b64 v[61:64], v2 offset1:32
	s_waitcnt lgkmcnt(0)
	v_pk_fma_f16 v67, v62, v66, v3
	v_add_u32_e32 v3, 0x2000, v52
	v_pk_fma_f16 v65, v61, v66, v65
	v_pk_fma_f16 v4, v63, v66, v4
	;; [unrolled: 1-line block ×3, first 2 shown]
	ds_read2_b64 v[61:64], v3 offset1:32
	v_mul_u32_u24_e32 v66, 0x10001, v70
	s_waitcnt lgkmcnt(0)
	v_pk_fma_f16 v68, v63, v66, v4
	v_add_u32_e32 v4, 0x2800, v52
	v_pk_fma_f16 v65, v61, v66, v65
	v_pk_fma_f16 v67, v62, v66, v67
	;; [unrolled: 1-line block ×3, first 2 shown]
	ds_read2_b64 v[61:64], v4 offset1:32
	v_mul_u32_u24_e32 v66, 0x10001, v71
	s_waitcnt lgkmcnt(0)
	v_pk_fma_f16 v65, v61, v66, v65
	v_pk_fma_f16 v67, v62, v66, v67
	v_pk_fma_f16 v68, v63, v66, v68
	v_pk_fma_f16 v66, v64, v66, v5
	v_add_u32_e32 v5, 0x3000, v52
	ds_read2_b64 v[61:64], v5 offset1:32
	s_waitcnt lgkmcnt(0)
	v_pk_fma_f16 v70, v61, v69, v65
	v_add_u32_e32 v61, 0x3800, v52
	v_pk_fma_f16 v67, v62, v69, v67
	v_pk_fma_f16 v68, v63, v69, v68
	;; [unrolled: 1-line block ×3, first 2 shown]
	ds_read2_b64 v[62:65], v61 offset1:32
	v_mul_u32_u24_e32 v69, 0x10001, v73
	s_waitcnt lgkmcnt(0)
	s_barrier
	v_pk_fma_f16 v70, v62, v69, v70
	v_pk_fma_f16 v67, v63, v69, v67
	v_add_co_u32_e32 v62, vcc, s8, v15
	v_mov_b32_e32 v63, s9
	v_addc_co_u32_e32 v63, vcc, v63, v16, vcc
	v_add_co_u32_e32 v62, vcc, v62, v58
	v_addc_co_u32_e32 v63, vcc, 0, v63, vcc
	v_pk_fma_f16 v68, v64, v69, v68
	v_pk_fma_f16 v66, v65, v69, v66
	global_load_dwordx4 v[62:65], v[62:63], off
	s_waitcnt vmcnt(0)
	ds_write_b128 v47, v[62:65]
	v_add_co_u32_e32 v62, vcc, s8, v17
	v_mov_b32_e32 v63, s9
	v_addc_co_u32_e32 v63, vcc, v63, v18, vcc
	v_add_co_u32_e32 v62, vcc, v62, v58
	v_addc_co_u32_e32 v63, vcc, 0, v63, vcc
	global_load_dwordx4 v[62:65], v[62:63], off
	s_waitcnt vmcnt(0)
	ds_write_b128 v48, v[62:65]
	v_add_co_u32_e32 v62, vcc, s8, v19
	v_mov_b32_e32 v63, s9
	v_addc_co_u32_e32 v63, vcc, v63, v20, vcc
	v_add_co_u32_e32 v62, vcc, v62, v58
	v_addc_co_u32_e32 v63, vcc, 0, v63, vcc
	;; [unrolled: 8-line block ×3, first 2 shown]
	global_load_dwordx4 v[62:65], v[62:63], off
	s_or_b32 s8, s14, 64
	s_mul_hi_i32 s9, s8, s18
	s_mul_i32 s8, s8, s18
	s_lshl_b64 s[8:9], s[8:9], 2
	s_add_u32 s8, s12, s8
	s_addc_u32 s9, s13, s9
	s_waitcnt vmcnt(0)
	ds_write_b128 v50, v[62:65]
	s_waitcnt lgkmcnt(0)
	s_barrier
	ds_read2_b64 v[62:65], v52 offset1:32
	ds_read_u16 v69, v51 offset:64
	ds_read_u16 v71, v51 offset:72
	;; [unrolled: 1-line block ×8, first 2 shown]
	s_waitcnt lgkmcnt(7)
	v_mul_u32_u24_e32 v69, 0x10001, v69
	v_pk_fma_f16 v70, v62, v69, v70
	v_pk_fma_f16 v67, v63, v69, v67
	;; [unrolled: 1-line block ×4, first 2 shown]
	ds_read2_b64 v[62:65], v30 offset1:32
	s_waitcnt lgkmcnt(7)
	v_mul_u32_u24_e32 v69, 0x10001, v71
	s_waitcnt lgkmcnt(0)
	v_pk_fma_f16 v70, v62, v69, v70
	v_pk_fma_f16 v67, v63, v69, v67
	v_pk_fma_f16 v68, v64, v69, v68
	v_pk_fma_f16 v66, v65, v69, v66
	ds_read2_b64 v[62:65], v60 offset1:32
	v_mul_u32_u24_e32 v69, 0x10001, v72
	s_waitcnt lgkmcnt(0)
	v_pk_fma_f16 v70, v62, v69, v70
	v_pk_fma_f16 v67, v63, v69, v67
	v_pk_fma_f16 v68, v64, v69, v68
	v_pk_fma_f16 v66, v65, v69, v66
	ds_read2_b64 v[62:65], v2 offset1:32
	v_mul_u32_u24_e32 v69, 0x10001, v73
	s_waitcnt lgkmcnt(0)
	v_pk_fma_f16 v70, v62, v69, v70
	v_pk_fma_f16 v67, v63, v69, v67
	v_pk_fma_f16 v68, v64, v69, v68
	v_pk_fma_f16 v66, v65, v69, v66
	ds_read2_b64 v[62:65], v3 offset1:32
	v_mul_u32_u24_e32 v69, 0x10001, v74
	s_waitcnt lgkmcnt(0)
	v_pk_fma_f16 v70, v62, v69, v70
	v_pk_fma_f16 v67, v63, v69, v67
	v_pk_fma_f16 v68, v64, v69, v68
	v_pk_fma_f16 v66, v65, v69, v66
	ds_read2_b64 v[62:65], v4 offset1:32
	v_mul_u32_u24_e32 v69, 0x10001, v75
	s_waitcnt lgkmcnt(0)
	v_pk_fma_f16 v70, v62, v69, v70
	v_pk_fma_f16 v67, v63, v69, v67
	v_pk_fma_f16 v68, v64, v69, v68
	v_pk_fma_f16 v66, v65, v69, v66
	ds_read2_b64 v[62:65], v5 offset1:32
	v_mul_u32_u24_e32 v69, 0x10001, v76
	s_waitcnt lgkmcnt(0)
	v_pk_fma_f16 v70, v62, v69, v70
	v_pk_fma_f16 v67, v63, v69, v67
	v_pk_fma_f16 v68, v64, v69, v68
	v_pk_fma_f16 v66, v65, v69, v66
	ds_read2_b64 v[62:65], v61 offset1:32
	v_mul_u32_u24_e32 v69, 0x10001, v77
	s_waitcnt lgkmcnt(0)
	s_barrier
	v_pk_fma_f16 v70, v62, v69, v70
	v_pk_fma_f16 v67, v63, v69, v67
	v_add_co_u32_e32 v62, vcc, s8, v15
	v_mov_b32_e32 v63, s9
	v_addc_co_u32_e32 v63, vcc, v63, v16, vcc
	v_add_co_u32_e32 v62, vcc, v62, v58
	v_addc_co_u32_e32 v63, vcc, 0, v63, vcc
	v_pk_fma_f16 v68, v64, v69, v68
	v_pk_fma_f16 v66, v65, v69, v66
	global_load_dwordx4 v[62:65], v[62:63], off
	s_waitcnt vmcnt(0)
	ds_write_b128 v47, v[62:65]
	v_add_co_u32_e32 v62, vcc, s8, v17
	v_mov_b32_e32 v63, s9
	v_addc_co_u32_e32 v63, vcc, v63, v18, vcc
	v_add_co_u32_e32 v62, vcc, v62, v58
	v_addc_co_u32_e32 v63, vcc, 0, v63, vcc
	global_load_dwordx4 v[62:65], v[62:63], off
	s_waitcnt vmcnt(0)
	ds_write_b128 v48, v[62:65]
	v_add_co_u32_e32 v62, vcc, s8, v19
	v_mov_b32_e32 v63, s9
	v_addc_co_u32_e32 v63, vcc, v63, v20, vcc
	v_add_co_u32_e32 v62, vcc, v62, v58
	v_addc_co_u32_e32 v63, vcc, 0, v63, vcc
	;; [unrolled: 8-line block ×3, first 2 shown]
	global_load_dwordx4 v[62:65], v[62:63], off
	s_or_b32 s8, s14, 0x60
	s_mul_hi_i32 s9, s8, s18
	s_mul_i32 s8, s8, s18
	s_lshl_b64 s[8:9], s[8:9], 2
	s_add_u32 s8, s12, s8
	s_addc_u32 s9, s13, s9
	s_waitcnt vmcnt(0)
	ds_write_b128 v50, v[62:65]
	s_waitcnt lgkmcnt(0)
	s_barrier
	ds_read2_b64 v[62:65], v52 offset1:32
	ds_read_u16 v69, v51 offset:128
	ds_read_u16 v71, v51 offset:136
	ds_read_u16 v72, v51 offset:144
	ds_read_u16 v73, v51 offset:152
	ds_read_u16 v74, v51 offset:160
	ds_read_u16 v75, v51 offset:168
	ds_read_u16 v76, v51 offset:176
	ds_read_u16 v77, v51 offset:184
	s_waitcnt lgkmcnt(7)
	v_mul_u32_u24_e32 v69, 0x10001, v69
	v_pk_fma_f16 v70, v62, v69, v70
	v_pk_fma_f16 v67, v63, v69, v67
	;; [unrolled: 1-line block ×4, first 2 shown]
	ds_read2_b64 v[62:65], v30 offset1:32
	s_waitcnt lgkmcnt(7)
	v_mul_u32_u24_e32 v69, 0x10001, v71
	s_waitcnt lgkmcnt(0)
	v_pk_fma_f16 v70, v62, v69, v70
	v_pk_fma_f16 v67, v63, v69, v67
	v_pk_fma_f16 v68, v64, v69, v68
	v_pk_fma_f16 v66, v65, v69, v66
	ds_read2_b64 v[62:65], v60 offset1:32
	v_mul_u32_u24_e32 v69, 0x10001, v72
	s_waitcnt lgkmcnt(0)
	v_pk_fma_f16 v70, v62, v69, v70
	v_pk_fma_f16 v67, v63, v69, v67
	v_pk_fma_f16 v68, v64, v69, v68
	v_pk_fma_f16 v66, v65, v69, v66
	ds_read2_b64 v[62:65], v2 offset1:32
	;; [unrolled: 7-line block ×6, first 2 shown]
	v_mul_u32_u24_e32 v69, 0x10001, v77
	s_waitcnt lgkmcnt(0)
	s_barrier
	v_pk_fma_f16 v70, v62, v69, v70
	v_pk_fma_f16 v67, v63, v69, v67
	v_add_co_u32_e32 v62, vcc, s8, v15
	v_mov_b32_e32 v63, s9
	v_addc_co_u32_e32 v63, vcc, v63, v16, vcc
	v_add_co_u32_e32 v62, vcc, v62, v58
	v_addc_co_u32_e32 v63, vcc, 0, v63, vcc
	v_pk_fma_f16 v68, v64, v69, v68
	v_pk_fma_f16 v66, v65, v69, v66
	global_load_dwordx4 v[62:65], v[62:63], off
	s_waitcnt vmcnt(0)
	ds_write_b128 v47, v[62:65]
	v_add_co_u32_e32 v62, vcc, s8, v17
	v_mov_b32_e32 v63, s9
	v_addc_co_u32_e32 v63, vcc, v63, v18, vcc
	v_add_co_u32_e32 v62, vcc, v62, v58
	v_addc_co_u32_e32 v63, vcc, 0, v63, vcc
	global_load_dwordx4 v[62:65], v[62:63], off
	s_waitcnt vmcnt(0)
	ds_write_b128 v48, v[62:65]
	v_add_co_u32_e32 v62, vcc, s8, v19
	v_mov_b32_e32 v63, s9
	v_addc_co_u32_e32 v63, vcc, v63, v20, vcc
	v_add_co_u32_e32 v62, vcc, v62, v58
	v_addc_co_u32_e32 v63, vcc, 0, v63, vcc
	;; [unrolled: 8-line block ×3, first 2 shown]
	global_load_dwordx4 v[62:65], v[62:63], off
	s_waitcnt vmcnt(0)
	ds_write_b128 v50, v[62:65]
	s_waitcnt lgkmcnt(0)
	s_barrier
	ds_read2_b64 v[62:65], v52 offset1:32
	ds_read_u16 v69, v51 offset:192
	ds_read_u16 v71, v51 offset:200
	;; [unrolled: 1-line block ×8, first 2 shown]
	s_waitcnt lgkmcnt(7)
	v_mul_u32_u24_e32 v69, 0x10001, v69
	v_pk_fma_f16 v70, v62, v69, v70
	v_pk_fma_f16 v67, v63, v69, v67
	;; [unrolled: 1-line block ×4, first 2 shown]
	ds_read2_b64 v[62:65], v30 offset1:32
	s_waitcnt lgkmcnt(7)
	v_mul_u32_u24_e32 v30, 0x10001, v71
	s_waitcnt lgkmcnt(0)
	v_pk_fma_f16 v69, v62, v30, v70
	v_pk_fma_f16 v67, v63, v30, v67
	v_pk_fma_f16 v68, v64, v30, v68
	v_pk_fma_f16 v30, v65, v30, v66
	ds_read2_b64 v[62:65], v60 offset1:32
	v_mul_u32_u24_e32 v60, 0x10001, v72
	s_waitcnt lgkmcnt(0)
	v_pk_fma_f16 v66, v62, v60, v69
	v_pk_fma_f16 v67, v63, v60, v67
	v_pk_fma_f16 v68, v64, v60, v68
	v_pk_fma_f16 v30, v65, v60, v30
	ds_read2_b64 v[62:65], v2 offset1:32
	;; [unrolled: 7-line block ×6, first 2 shown]
	s_waitcnt lgkmcnt(0)
	s_barrier
	s_load_dword s8, s[2:3], 0x4
	v_mul_u32_u24_e32 v61, 0x10001, v77
	v_pk_fma_f16 v2, v2, v61, v30
	v_pk_fma_f16 v3, v3, v61, v60
	;; [unrolled: 1-line block ×3, first 2 shown]
	s_waitcnt lgkmcnt(0)
	s_lshl_b32 s8, s8, 7
	s_add_i32 s14, s8, s14
	v_pk_fma_f16 v5, v5, v61, v63
	s_cmp_ge_i32 s14, s34
	s_cbranch_scc1 .LBB69_19
; %bb.18:                               ;   in Loop: Header=BB69_11 Depth=1
	v_mov_b32_e32 v60, v23
	s_branch .LBB69_11
.LBB69_19:
	v_mov_b32_e32 v6, v35
.LBB69_20:
	v_cmp_lt_i32_e32 vcc, v25, v24
	v_cndmask_b32_e32 v7, v36, v25, vcc
	v_lshlrev_b32_e32 v7, 2, v7
	ds_bpermute_b32 v7, v7, v44
	v_cmp_lt_i32_e32 vcc, v26, v24
	v_cndmask_b32_e32 v8, v36, v26, vcc
	v_lshlrev_b32_e32 v8, 2, v8
	v_cmp_lt_i32_e32 vcc, v27, v24
	s_waitcnt lgkmcnt(0)
	v_add_f32_e32 v7, v44, v7
	ds_bpermute_b32 v8, v8, v7
	v_cndmask_b32_e32 v9, v36, v27, vcc
	v_lshlrev_b32_e32 v9, 2, v9
	v_cmp_lt_i32_e32 vcc, v28, v24
	v_cmp_ne_u32_e64 s[0:1], 0, v6
	s_waitcnt lgkmcnt(0)
	v_add_f32_e32 v7, v7, v8
	ds_bpermute_b32 v8, v9, v7
	v_cndmask_b32_e32 v9, v36, v28, vcc
	v_lshlrev_b32_e32 v9, 2, v9
	v_cmp_lt_i32_e32 vcc, v29, v24
	s_waitcnt lgkmcnt(0)
	v_add_f32_e32 v7, v7, v8
	ds_bpermute_b32 v8, v9, v7
	v_cndmask_b32_e32 v9, v36, v29, vcc
	v_lshlrev_b32_e32 v9, 2, v9
	v_cmp_eq_u32_e32 vcc, 0, v6
	s_waitcnt lgkmcnt(0)
	v_add_f32_e32 v7, v7, v8
	ds_bpermute_b32 v8, v9, v7
	s_waitcnt lgkmcnt(0)
	v_add_f32_e32 v24, v7, v8
	s_and_saveexec_b64 s[2:3], s[0:1]
	s_xor_b64 s[2:3], exec, s[2:3]
	s_cbranch_execnz .LBB69_24
; %bb.21:
	s_andn2_saveexec_b64 s[0:1], s[2:3]
	s_cbranch_execnz .LBB69_27
.LBB69_22:
	s_or_b64 exec, exec, s[0:1]
	s_and_saveexec_b64 s[0:1], vcc
	s_cbranch_execnz .LBB69_28
.LBB69_23:
	s_endpgm
.LBB69_24:
	v_lshlrev_b32_e32 v6, 4, v0
	v_lshl_add_u32 v1, v1, 9, v6
	v_cmp_eq_u32_e64 s[0:1], 0, v0
	ds_write_b128 v1, v[2:5]
	s_and_saveexec_b64 s[8:9], s[0:1]
; %bb.25:
	ds_write_b32 v34, v24 offset:18432
; %bb.26:
	s_or_b64 exec, exec, s[8:9]
                                        ; implicit-def: $vgpr1
                                        ; implicit-def: $vgpr34
	s_andn2_saveexec_b64 s[0:1], s[2:3]
	s_cbranch_execz .LBB69_22
.LBB69_27:
	v_lshlrev_b32_e32 v1, 9, v1
	v_lshl_add_u32 v1, v0, 4, v1
	s_waitcnt lgkmcnt(0)
	s_barrier
	ds_read_b128 v[6:9], v1 offset:512
	ds_read_b128 v[10:13], v1 offset:1024
	s_waitcnt lgkmcnt(1)
	v_pk_add_f16 v6, v6, v2
	v_add_u32_e32 v2, 0x4804, v34
	ds_read2_b32 v[14:15], v2 offset1:1
	v_pk_add_f16 v7, v7, v3
	v_pk_add_f16 v8, v8, v4
	;; [unrolled: 1-line block ×3, first 2 shown]
	ds_read_b128 v[2:5], v1 offset:1536
	s_waitcnt lgkmcnt(2)
	v_pk_add_f16 v6, v10, v6
	ds_read_b32 v10, v34 offset:18444
	s_waitcnt lgkmcnt(2)
	v_add_f32_e32 v1, v24, v14
	v_pk_add_f16 v7, v11, v7
	v_pk_add_f16 v8, v12, v8
	;; [unrolled: 1-line block ×3, first 2 shown]
	v_add_f32_e32 v1, v1, v15
	s_waitcnt lgkmcnt(1)
	v_pk_add_f16 v2, v2, v6
	v_pk_add_f16 v3, v3, v7
	;; [unrolled: 1-line block ×4, first 2 shown]
	s_waitcnt lgkmcnt(0)
	v_add_f32_e32 v24, v1, v10
	s_or_b64 exec, exec, s[0:1]
	s_and_saveexec_b64 s[0:1], vcc
	s_cbranch_execz .LBB69_23
.LBB69_28:
	s_cmp_eq_u64 s[16:17], 0
	s_cselect_b64 s[0:1], -1, 0
	s_cmp_lg_u32 s7, 0
	s_cselect_b64 s[2:3], -1, 0
	s_or_b64 s[0:1], s[2:3], s[0:1]
	v_add_u32_e32 v6, s35, v33
	s_and_b64 vcc, exec, s[0:1]
	s_cbranch_vccnz .LBB69_30
; %bb.29:
	v_ashrrev_i32_e32 v7, 31, v6
	v_lshlrev_b64 v[7:8], 2, v[6:7]
	v_mov_b32_e32 v1, s17
	v_add_co_u32_e32 v7, vcc, s16, v7
	v_addc_co_u32_e32 v8, vcc, v1, v8, vcc
	global_load_dword v1, v[7:8], off
	v_max_f32_e32 v7, v23, v23
	s_mov_b32 s0, 0x3fb8aa3b
	s_mov_b32 s1, 0xc2ce8ed0
	s_waitcnt vmcnt(0)
	v_max_f32_e32 v8, v1, v1
	v_max_f32_e32 v7, v7, v8
	v_sub_f32_e32 v8, v23, v7
	v_sub_f32_e32 v1, v1, v7
	v_mul_f32_e32 v9, 0x3fb8aa3b, v8
	v_mul_f32_e32 v10, 0x3fb8aa3b, v1
	v_fma_f32 v11, v8, s0, -v9
	v_rndne_f32_e32 v12, v9
	v_fma_f32 v13, v1, s0, -v10
	v_rndne_f32_e32 v14, v10
	v_fmac_f32_e32 v11, 0x32a5705f, v8
	v_sub_f32_e32 v9, v9, v12
	v_fmac_f32_e32 v13, 0x32a5705f, v1
	v_sub_f32_e32 v10, v10, v14
	v_add_f32_e32 v9, v9, v11
	v_cvt_i32_f32_e32 v12, v12
	v_add_f32_e32 v10, v10, v13
	v_exp_f32_e32 v9, v9
	v_cvt_i32_f32_e32 v14, v14
	v_exp_f32_e32 v10, v10
	v_cmp_ngt_f32_e32 vcc, s1, v8
	v_ldexp_f32 v9, v9, v12
	s_mov_b32 s0, 0x42b17218
	v_ldexp_f32 v10, v10, v14
	v_cndmask_b32_e32 v9, 0, v9, vcc
	v_cmp_ngt_f32_e32 vcc, s1, v1
	v_mov_b32_e32 v11, 0x7f800000
	v_cndmask_b32_e32 v10, 0, v10, vcc
	v_cmp_nlt_f32_e32 vcc, s0, v8
	v_cndmask_b32_e32 v8, v11, v9, vcc
	v_cvt_f16_f32_e32 v9, v8
	v_cmp_nlt_f32_e32 vcc, s0, v1
	v_cndmask_b32_e32 v1, v11, v10, vcc
	v_fmac_f32_e32 v1, v24, v8
	v_mov_b32_e32 v24, v1
	v_mul_u32_u24_e32 v1, 0x10001, v9
	v_pk_mul_f16 v2, v2, v1
	v_pk_mul_f16 v3, v3, v1
	;; [unrolled: 1-line block ×4, first 2 shown]
	v_mov_b32_e32 v23, v7
.LBB69_30:
	v_div_scale_f32 v1, s[0:1], v24, v24, 1.0
	v_div_scale_f32 v7, vcc, 1.0, v24, 1.0
	s_load_dword s4, s[4:5], 0xd4
	s_mul_i32 s0, s33, s26
	v_cvt_f32_f16_sdwa v11, v5 dst_sel:DWORD dst_unused:UNUSED_PAD src0_sel:WORD_1
	v_cvt_f32_f16_sdwa v12, v4 dst_sel:DWORD dst_unused:UNUSED_PAD src0_sel:WORD_1
	v_mov_b32_e32 v13, s21
	s_waitcnt lgkmcnt(0)
	s_cmp_lg_u32 s4, 1
	s_cselect_b64 s[2:3], -1, 0
	s_add_i32 s0, s0, s6
	v_cvt_f32_f16_e32 v5, v5
	v_cvt_f32_f16_e32 v14, v4
	v_mov_b32_e32 v15, s21
	v_rcp_f32_e32 v8, v1
	v_fma_f32 v9, -v1, v8, 1.0
	v_fmac_f32_e32 v8, v9, v8
	v_mul_f32_e32 v9, v7, v8
	v_fma_f32 v10, -v1, v9, v7
	v_fmac_f32_e32 v9, v10, v8
	v_fma_f32 v1, -v1, v9, v7
	v_div_fmas_f32 v1, v1, v8, v9
	v_cvt_f32_f16_sdwa v7, v3 dst_sel:DWORD dst_unused:UNUSED_PAD src0_sel:WORD_1
	v_cmp_eq_u32_e32 vcc, 0, v0
	v_cvt_f32_f16_e32 v9, v2
	v_cvt_f32_f16_sdwa v8, v2 dst_sel:DWORD dst_unused:UNUSED_PAD src0_sel:WORD_1
	v_cvt_f32_f16_e32 v3, v3
	v_mov_b32_e32 v10, 0
	v_div_fixup_f32 v0, v1, v24, 1.0
	v_cndmask_b32_e64 v16, v0, 1.0, s[2:3]
	v_add_u32_e32 v0, s0, v32
	v_mad_u64_u32 v[0:1], s[0:1], v0, s27, v[6:7]
	v_mul_f32_e32 v1, v16, v9
	v_mul_f32_e32 v2, v16, v8
	v_mul_lo_u32 v0, s4, v0
	v_mul_f32_e32 v8, v16, v11
	v_mul_f32_e32 v6, v16, v12
	;; [unrolled: 1-line block ×3, first 2 shown]
	v_add_u32_e32 v0, s7, v0
	v_lshl_add_u32 v9, v0, 8, v31
	v_lshlrev_b64 v[11:12], 2, v[9:10]
	v_add_u32_e32 v9, 0x80, v9
	v_lshlrev_b64 v[9:10], 2, v[9:10]
	v_add_co_u32_e64 v11, s[0:1], s20, v11
	v_mul_f32_e32 v3, v16, v3
	v_addc_co_u32_e64 v12, s[0:1], v13, v12, s[0:1]
	global_store_dwordx4 v[11:12], v[1:4], off
	v_mul_f32_e32 v7, v16, v5
	v_add_co_u32_e64 v1, s[0:1], s20, v9
	v_addc_co_u32_e64 v2, s[0:1], v15, v10, s[0:1]
	v_mul_f32_e32 v5, v16, v14
	s_and_b64 s[0:1], vcc, s[2:3]
	global_store_dwordx4 v[1:2], v[5:8], off
	s_and_b64 exec, exec, s[0:1]
	s_cbranch_execz .LBB69_23
; %bb.31:
	v_ashrrev_i32_e32 v1, 31, v0
	v_lshlrev_b64 v[0:1], 3, v[0:1]
	v_mov_b32_e32 v2, s23
	v_add_co_u32_e32 v0, vcc, s22, v0
	v_addc_co_u32_e32 v1, vcc, v2, v1, vcc
	global_store_dwordx2 v[0:1], v[23:24], off
	s_endpgm
	.section	.rodata,"a",@progbits
	.p2align	6, 0x0
	.amdhsa_kernel _ZL15flash_attn_tileILi256ELi256ELi1ELi2ELb1EEvPKcS1_S1_S1_S1_PKiPfP15HIP_vector_typeIfLj2EEffffjfiS5_IjLj3EEiiiiiiiiiiiliiliiiiil
		.amdhsa_group_segment_fixed_size 20000
		.amdhsa_private_segment_fixed_size 0
		.amdhsa_kernarg_size 464
		.amdhsa_user_sgpr_count 6
		.amdhsa_user_sgpr_private_segment_buffer 1
		.amdhsa_user_sgpr_dispatch_ptr 0
		.amdhsa_user_sgpr_queue_ptr 0
		.amdhsa_user_sgpr_kernarg_segment_ptr 1
		.amdhsa_user_sgpr_dispatch_id 0
		.amdhsa_user_sgpr_flat_scratch_init 0
		.amdhsa_user_sgpr_private_segment_size 0
		.amdhsa_uses_dynamic_stack 0
		.amdhsa_system_sgpr_private_segment_wavefront_offset 0
		.amdhsa_system_sgpr_workgroup_id_x 1
		.amdhsa_system_sgpr_workgroup_id_y 1
		.amdhsa_system_sgpr_workgroup_id_z 1
		.amdhsa_system_sgpr_workgroup_info 0
		.amdhsa_system_vgpr_workitem_id 1
		.amdhsa_next_free_vgpr 78
		.amdhsa_next_free_sgpr 98
		.amdhsa_reserve_vcc 1
		.amdhsa_reserve_flat_scratch 0
		.amdhsa_float_round_mode_32 0
		.amdhsa_float_round_mode_16_64 0
		.amdhsa_float_denorm_mode_32 3
		.amdhsa_float_denorm_mode_16_64 3
		.amdhsa_dx10_clamp 1
		.amdhsa_ieee_mode 1
		.amdhsa_fp16_overflow 0
		.amdhsa_exception_fp_ieee_invalid_op 0
		.amdhsa_exception_fp_denorm_src 0
		.amdhsa_exception_fp_ieee_div_zero 0
		.amdhsa_exception_fp_ieee_overflow 0
		.amdhsa_exception_fp_ieee_underflow 0
		.amdhsa_exception_fp_ieee_inexact 0
		.amdhsa_exception_int_div_zero 0
	.end_amdhsa_kernel
	.section	.text._ZL15flash_attn_tileILi256ELi256ELi1ELi2ELb1EEvPKcS1_S1_S1_S1_PKiPfP15HIP_vector_typeIfLj2EEffffjfiS5_IjLj3EEiiiiiiiiiiiliiliiiiil,"axG",@progbits,_ZL15flash_attn_tileILi256ELi256ELi1ELi2ELb1EEvPKcS1_S1_S1_S1_PKiPfP15HIP_vector_typeIfLj2EEffffjfiS5_IjLj3EEiiiiiiiiiiiliiliiiiil,comdat
.Lfunc_end69:
	.size	_ZL15flash_attn_tileILi256ELi256ELi1ELi2ELb1EEvPKcS1_S1_S1_S1_PKiPfP15HIP_vector_typeIfLj2EEffffjfiS5_IjLj3EEiiiiiiiiiiiliiliiiiil, .Lfunc_end69-_ZL15flash_attn_tileILi256ELi256ELi1ELi2ELb1EEvPKcS1_S1_S1_S1_PKiPfP15HIP_vector_typeIfLj2EEffffjfiS5_IjLj3EEiiiiiiiiiiiliiliiiiil
                                        ; -- End function
	.set _ZL15flash_attn_tileILi256ELi256ELi1ELi2ELb1EEvPKcS1_S1_S1_S1_PKiPfP15HIP_vector_typeIfLj2EEffffjfiS5_IjLj3EEiiiiiiiiiiiliiliiiiil.num_vgpr, 78
	.set _ZL15flash_attn_tileILi256ELi256ELi1ELi2ELb1EEvPKcS1_S1_S1_S1_PKiPfP15HIP_vector_typeIfLj2EEffffjfiS5_IjLj3EEiiiiiiiiiiiliiliiiiil.num_agpr, 0
	.set _ZL15flash_attn_tileILi256ELi256ELi1ELi2ELb1EEvPKcS1_S1_S1_S1_PKiPfP15HIP_vector_typeIfLj2EEffffjfiS5_IjLj3EEiiiiiiiiiiiliiliiiiil.numbered_sgpr, 45
	.set _ZL15flash_attn_tileILi256ELi256ELi1ELi2ELb1EEvPKcS1_S1_S1_S1_PKiPfP15HIP_vector_typeIfLj2EEffffjfiS5_IjLj3EEiiiiiiiiiiiliiliiiiil.num_named_barrier, 0
	.set _ZL15flash_attn_tileILi256ELi256ELi1ELi2ELb1EEvPKcS1_S1_S1_S1_PKiPfP15HIP_vector_typeIfLj2EEffffjfiS5_IjLj3EEiiiiiiiiiiiliiliiiiil.private_seg_size, 0
	.set _ZL15flash_attn_tileILi256ELi256ELi1ELi2ELb1EEvPKcS1_S1_S1_S1_PKiPfP15HIP_vector_typeIfLj2EEffffjfiS5_IjLj3EEiiiiiiiiiiiliiliiiiil.uses_vcc, 1
	.set _ZL15flash_attn_tileILi256ELi256ELi1ELi2ELb1EEvPKcS1_S1_S1_S1_PKiPfP15HIP_vector_typeIfLj2EEffffjfiS5_IjLj3EEiiiiiiiiiiiliiliiiiil.uses_flat_scratch, 0
	.set _ZL15flash_attn_tileILi256ELi256ELi1ELi2ELb1EEvPKcS1_S1_S1_S1_PKiPfP15HIP_vector_typeIfLj2EEffffjfiS5_IjLj3EEiiiiiiiiiiiliiliiiiil.has_dyn_sized_stack, 0
	.set _ZL15flash_attn_tileILi256ELi256ELi1ELi2ELb1EEvPKcS1_S1_S1_S1_PKiPfP15HIP_vector_typeIfLj2EEffffjfiS5_IjLj3EEiiiiiiiiiiiliiliiiiil.has_recursion, 0
	.set _ZL15flash_attn_tileILi256ELi256ELi1ELi2ELb1EEvPKcS1_S1_S1_S1_PKiPfP15HIP_vector_typeIfLj2EEffffjfiS5_IjLj3EEiiiiiiiiiiiliiliiiiil.has_indirect_call, 0
	.section	.AMDGPU.csdata,"",@progbits
; Kernel info:
; codeLenInByte = 8640
; TotalNumSgprs: 49
; NumVgprs: 78
; ScratchSize: 0
; MemoryBound: 0
; FloatMode: 240
; IeeeMode: 1
; LDSByteSize: 20000 bytes/workgroup (compile time only)
; SGPRBlocks: 12
; VGPRBlocks: 19
; NumSGPRsForWavesPerEU: 102
; NumVGPRsForWavesPerEU: 78
; Occupancy: 3
; WaveLimiterHint : 1
; COMPUTE_PGM_RSRC2:SCRATCH_EN: 0
; COMPUTE_PGM_RSRC2:USER_SGPR: 6
; COMPUTE_PGM_RSRC2:TRAP_HANDLER: 0
; COMPUTE_PGM_RSRC2:TGID_X_EN: 1
; COMPUTE_PGM_RSRC2:TGID_Y_EN: 1
; COMPUTE_PGM_RSRC2:TGID_Z_EN: 1
; COMPUTE_PGM_RSRC2:TIDIG_COMP_CNT: 1
	.section	.text._ZL15flash_attn_tileILi256ELi256ELi32ELi1ELb1EEvPKcS1_S1_S1_S1_PKiPfP15HIP_vector_typeIfLj2EEffffjfiS5_IjLj3EEiiiiiiiiiiiliiliiiiil,"axG",@progbits,_ZL15flash_attn_tileILi256ELi256ELi32ELi1ELb1EEvPKcS1_S1_S1_S1_PKiPfP15HIP_vector_typeIfLj2EEffffjfiS5_IjLj3EEiiiiiiiiiiiliiliiiiil,comdat
	.globl	_ZL15flash_attn_tileILi256ELi256ELi32ELi1ELb1EEvPKcS1_S1_S1_S1_PKiPfP15HIP_vector_typeIfLj2EEffffjfiS5_IjLj3EEiiiiiiiiiiiliiliiiiil ; -- Begin function _ZL15flash_attn_tileILi256ELi256ELi32ELi1ELb1EEvPKcS1_S1_S1_S1_PKiPfP15HIP_vector_typeIfLj2EEffffjfiS5_IjLj3EEiiiiiiiiiiiliiliiiiil
	.p2align	8
	.type	_ZL15flash_attn_tileILi256ELi256ELi32ELi1ELb1EEvPKcS1_S1_S1_S1_PKiPfP15HIP_vector_typeIfLj2EEffffjfiS5_IjLj3EEiiiiiiiiiiiliiliiiiil,@function
_ZL15flash_attn_tileILi256ELi256ELi32ELi1ELb1EEvPKcS1_S1_S1_S1_PKiPfP15HIP_vector_typeIfLj2EEffffjfiS5_IjLj3EEiiiiiiiiiiiliiliiiiil: ; @_ZL15flash_attn_tileILi256ELi256ELi32ELi1ELb1EEvPKcS1_S1_S1_S1_PKiPfP15HIP_vector_typeIfLj2EEffffjfiS5_IjLj3EEiiiiiiiiiiiliiliiiiil
; %bb.0:
	s_load_dwordx4 s[28:31], s[4:5], 0x5c
	s_load_dwordx2 s[42:43], s[4:5], 0x80
	s_add_u32 flat_scratch_lo, s6, s11
	s_addc_u32 flat_scratch_hi, s7, 0
	s_add_u32 s0, s0, s11
	s_waitcnt lgkmcnt(0)
	v_cvt_f32_u32_e32 v2, s31
	s_addc_u32 s1, s1, 0
	s_sub_i32 s6, 0, s31
	s_load_dwordx2 s[44:45], s[4:5], 0xb8
	v_rcp_iflag_f32_e32 v2, v2
	s_mov_b64 s[40:41], 0
	v_mul_f32_e32 v2, 0x4f7ffffe, v2
	v_cvt_u32_f32_e32 v2, v2
	v_readfirstlane_b32 s7, v2
	s_mul_i32 s6, s6, s7
	s_mul_hi_u32 s6, s7, s6
	s_add_i32 s7, s7, s6
	s_mul_hi_u32 s6, s10, s7
	s_mul_i32 s7, s6, s31
	s_sub_i32 s7, s10, s7
	s_add_i32 s11, s6, 1
	s_sub_i32 s12, s7, s31
	s_cmp_ge_u32 s7, s31
	s_cselect_b32 s6, s11, s6
	s_cselect_b32 s7, s12, s7
	s_add_i32 s11, s6, 1
	s_cmp_ge_u32 s7, s31
	s_cselect_b32 s33, s11, s6
	s_abs_i32 s6, s43
	v_cvt_f32_u32_e32 v2, s6
	s_mul_i32 s12, s33, s31
	s_sub_i32 s13, 0, s6
	s_sub_i32 s34, s10, s12
	v_rcp_iflag_f32_e32 v2, v2
	s_abs_i32 s11, s31
	s_xor_b32 s7, s31, s43
	s_ashr_i32 s7, s7, 31
	v_mul_f32_e32 v2, 0x4f7ffffe, v2
	v_cvt_u32_f32_e32 v2, v2
	v_readfirstlane_b32 s10, v2
	s_mul_i32 s13, s13, s10
	s_mul_hi_u32 s12, s10, s13
	s_add_i32 s10, s10, s12
	s_mul_hi_u32 s10, s11, s10
	s_mul_i32 s12, s10, s6
	s_sub_i32 s11, s11, s12
	s_add_i32 s13, s10, 1
	s_sub_i32 s12, s11, s6
	s_cmp_ge_u32 s11, s6
	s_cselect_b32 s10, s13, s10
	s_cselect_b32 s11, s12, s11
	s_add_i32 s12, s10, 1
	s_cmp_ge_u32 s11, s6
	s_cselect_b32 s6, s12, s10
	s_xor_b32 s6, s6, s7
	s_sub_i32 s47, s6, s7
	s_abs_i32 s43, s47
	v_cvt_f32_u32_e32 v2, s43
	s_load_dwordx16 s[12:27], s[4:5], 0x0
	s_sub_i32 s6, 0, s43
	s_abs_i32 s46, s34
	v_rcp_iflag_f32_e32 v2, v2
	v_mul_f32_e32 v2, 0x4f7ffffe, v2
	v_cvt_u32_f32_e32 v2, v2
	v_readfirstlane_b32 s7, v2
	s_mul_i32 s6, s6, s7
	s_mul_hi_u32 s6, s7, s6
	s_add_i32 s6, s7, s6
	s_waitcnt lgkmcnt(0)
	s_cmp_eq_u64 s[18:19], 0
	s_cbranch_scc1 .LBB70_2
; %bb.1:
	s_abs_i32 s7, s44
	v_cvt_f32_u32_e32 v2, s7
	s_sub_i32 s37, 0, s7
	s_abs_i32 s36, s33
	s_ashr_i32 s35, s33, 31
	v_rcp_iflag_f32_e32 v2, v2
	s_load_dwordx2 s[10:11], s[4:5], 0xc8
	v_mul_f32_e32 v2, 0x4f7ffffe, v2
	v_cvt_u32_f32_e32 v2, v2
	v_readfirstlane_b32 s38, v2
	s_mul_i32 s37, s37, s38
	s_mul_hi_u32 s37, s38, s37
	s_add_i32 s38, s38, s37
	s_mul_hi_u32 s37, s36, s38
	s_mul_i32 s37, s37, s7
	s_sub_i32 s36, s36, s37
	s_sub_i32 s37, s36, s7
	s_cmp_ge_u32 s36, s7
	s_cselect_b32 s36, s37, s36
	s_sub_i32 s37, s36, s7
	s_cmp_ge_u32 s36, s7
	s_cselect_b32 s7, s37, s36
	s_xor_b32 s7, s7, s35
	s_sub_i32 s7, s7, s35
	s_ashr_i32 s35, s7, 31
	s_waitcnt lgkmcnt(0)
	s_mul_hi_u32 s36, s10, s7
	s_mul_i32 s35, s10, s35
	s_mul_i32 s11, s11, s7
	s_add_i32 s35, s36, s35
	s_add_i32 s35, s35, s11
	s_mul_i32 s7, s10, s7
	s_add_u32 s40, s18, s7
	s_addc_u32 s41, s19, s35
.LBB70_2:
	s_load_dwordx4 s[36:39], s[4:5], 0x40
	s_load_dwordx2 s[18:19], s[4:5], 0x50
	s_mul_hi_u32 s44, s46, s6
	v_mov_b32_e32 v27, 1.0
	s_waitcnt lgkmcnt(0)
	v_cmp_le_f32_e64 s[6:7], s37, 0
	s_and_b64 vcc, exec, s[6:7]
	s_cbranch_vccnz .LBB70_4
; %bb.3:
	v_mov_b32_e32 v2, s18
	v_sub_co_u32_e32 v2, vcc, s34, v2
	v_mov_b32_e32 v3, s39
	v_mov_b32_e32 v4, s38
	s_add_i32 s6, s34, 1
	v_lshlrev_b32_e32 v2, 1, v2
	v_cndmask_b32_e32 v3, v3, v4, vcc
	v_or_b32_e32 v2, 1, v2
	v_mov_b32_e32 v4, s6
	v_cndmask_b32_e32 v2, v2, v4, vcc
	v_cvt_f32_i32_e32 v2, v2
	v_cmp_neq_f32_e32 vcc, 1.0, v3
	s_mov_b32 s6, 0x3f2aaaab
	s_movk_i32 s10, 0x204
	v_cndmask_b32_e32 v4, 1.0, v2, vcc
	v_cmp_neq_f32_e32 vcc, 0, v4
	v_cndmask_b32_e32 v5, 1.0, v3, vcc
	v_frexp_mant_f32_e64 v2, |v5|
	v_cmp_gt_f32_e32 vcc, s6, v2
	v_cndmask_b32_e64 v3, 1.0, 2.0, vcc
	v_mul_f32_e32 v2, v2, v3
	v_add_f32_e32 v3, 1.0, v2
	v_rcp_f32_e32 v6, v3
	v_add_f32_e32 v7, -1.0, v2
	v_add_f32_e32 v8, -1.0, v3
	v_sub_f32_e32 v2, v2, v8
	v_mul_f32_e32 v8, v7, v6
	v_mul_f32_e32 v9, v3, v8
	v_fma_f32 v3, v8, v3, -v9
	v_fmac_f32_e32 v3, v8, v2
	v_add_f32_e32 v2, v9, v3
	v_sub_f32_e32 v10, v7, v2
	v_sub_f32_e32 v9, v2, v9
	;; [unrolled: 1-line block ×5, first 2 shown]
	v_add_f32_e32 v2, v3, v2
	v_add_f32_e32 v2, v10, v2
	v_mul_f32_e32 v2, v6, v2
	v_add_f32_e32 v6, v8, v2
	v_sub_f32_e32 v3, v6, v8
	v_sub_f32_e32 v7, v2, v3
	v_mul_f32_e32 v2, v6, v6
	v_fma_f32 v3, v6, v6, -v2
	v_add_f32_e32 v8, v7, v7
	v_fmac_f32_e32 v3, v6, v8
	v_add_f32_e32 v8, v2, v3
	v_mov_b32_e32 v9, 0x3e91f4c4
	v_sub_f32_e32 v2, v8, v2
	v_fmac_f32_e32 v9, 0x3e76c4e1, v8
	v_mov_b32_e32 v10, 0x3ecccdef
	v_sub_f32_e32 v2, v3, v2
	v_mul_f32_e32 v3, v6, v8
	v_fmac_f32_e32 v10, v8, v9
	v_fma_f32 v9, v8, v6, -v3
	v_fmac_f32_e32 v9, v8, v7
	v_fmac_f32_e32 v9, v2, v6
	v_add_f32_e32 v11, v3, v9
	v_sub_f32_e32 v3, v11, v3
	v_sub_f32_e32 v9, v9, v3
	v_mul_f32_e32 v3, v8, v10
	v_fma_f32 v8, v8, v10, -v3
	v_fmac_f32_e32 v8, v2, v10
	v_add_f32_e32 v10, v3, v8
	v_sub_f32_e32 v2, v10, v3
	v_sub_f32_e32 v8, v8, v2
	v_cvt_f64_f32_e64 v[2:3], |v5|
	v_add_f32_e32 v12, 0x3f2aaaaa, v10
	v_add_f32_e32 v13, 0xbf2aaaaa, v12
	;; [unrolled: 1-line block ×3, first 2 shown]
	v_frexp_exp_i32_f64_e32 v2, v[2:3]
	v_sub_f32_e32 v10, v10, v13
	v_add_f32_e32 v3, v8, v10
	v_add_f32_e32 v8, v12, v3
	v_sub_f32_e32 v10, v12, v8
	v_add_f32_e32 v3, v3, v10
	v_mul_f32_e32 v10, v11, v8
	v_fma_f32 v12, v11, v8, -v10
	v_subbrev_co_u32_e32 v2, vcc, 0, v2, vcc
	v_cvt_f32_i32_e32 v2, v2
	v_fmac_f32_e32 v12, v11, v3
	s_mov_b32 s6, 0x3f317218
	v_fmac_f32_e32 v12, v9, v8
	v_mul_f32_e32 v3, 0x3f317218, v2
	v_fma_f32 v8, v2, s6, -v3
	v_fmac_f32_e32 v8, 0xb102e308, v2
	v_ldexp_f32 v2, v7, 1
	v_add_f32_e32 v7, v3, v8
	v_sub_f32_e32 v3, v7, v3
	v_ldexp_f32 v6, v6, 1
	v_sub_f32_e32 v3, v8, v3
	v_add_f32_e32 v8, v10, v12
	v_sub_f32_e32 v9, v8, v10
	v_add_f32_e32 v10, v6, v8
	v_sub_f32_e32 v9, v12, v9
	v_sub_f32_e32 v6, v10, v6
	;; [unrolled: 1-line block ×3, first 2 shown]
	v_add_f32_e32 v2, v2, v9
	v_add_f32_e32 v2, v2, v6
	;; [unrolled: 1-line block ×3, first 2 shown]
	v_sub_f32_e32 v8, v6, v10
	v_sub_f32_e32 v2, v2, v8
	v_add_f32_e32 v8, v7, v6
	v_sub_f32_e32 v9, v8, v7
	v_sub_f32_e32 v10, v8, v9
	;; [unrolled: 1-line block ×4, first 2 shown]
	v_add_f32_e32 v6, v6, v7
	v_add_f32_e32 v7, v3, v2
	v_sub_f32_e32 v9, v7, v3
	v_sub_f32_e32 v10, v7, v9
	;; [unrolled: 1-line block ×4, first 2 shown]
	v_add_f32_e32 v2, v2, v3
	v_add_f32_e32 v3, v7, v6
	;; [unrolled: 1-line block ×3, first 2 shown]
	v_sub_f32_e32 v7, v6, v8
	v_sub_f32_e32 v3, v3, v7
	v_add_f32_e32 v2, v2, v3
	v_add_f32_e32 v3, v6, v2
	v_sub_f32_e32 v6, v3, v6
	v_sub_f32_e32 v2, v2, v6
	v_mul_f32_e32 v6, v4, v3
	v_fma_f32 v3, v4, v3, -v6
	v_fmac_f32_e32 v3, v4, v2
	v_add_f32_e32 v2, v6, v3
	v_cmp_class_f32_e64 vcc, v6, s10
	v_sub_f32_e32 v7, v2, v6
	v_cndmask_b32_e32 v2, v2, v6, vcc
	s_mov_b32 s7, 0x42b17218
	v_mov_b32_e32 v6, 0x37000000
	v_cmp_eq_f32_e32 vcc, s7, v2
	v_cndmask_b32_e32 v6, 0, v6, vcc
	v_sub_f32_e32 v3, v3, v7
	v_sub_f32_e32 v7, v2, v6
	s_mov_b32 s11, 0x3fb8aa3b
	v_mul_f32_e32 v8, 0x3fb8aa3b, v7
	v_fma_f32 v9, v7, s11, -v8
	v_rndne_f32_e32 v10, v8
	v_fmac_f32_e32 v9, 0x32a5705f, v7
	v_sub_f32_e32 v8, v8, v10
	v_add_f32_e32 v8, v8, v9
	v_exp_f32_e32 v8, v8
	v_cvt_i32_f32_e32 v9, v10
	s_mov_b32 s6, 0x7f800000
	v_cmp_neq_f32_e64 vcc, |v2|, s6
	s_mov_b32 s6, 0xc2ce8ed0
	v_cndmask_b32_e32 v2, 0, v3, vcc
	v_ldexp_f32 v3, v8, v9
	v_cmp_ngt_f32_e32 vcc, s6, v7
	v_add_f32_e32 v2, v6, v2
	v_cndmask_b32_e32 v3, 0, v3, vcc
	v_mov_b32_e32 v6, 0x7f800000
	v_cmp_nlt_f32_e32 vcc, s7, v7
	v_cndmask_b32_e32 v3, v6, v3, vcc
	v_fma_f32 v2, v3, v2, v3
	v_cmp_class_f32_e64 vcc, v3, s10
	v_cndmask_b32_e32 v2, v2, v3, vcc
	v_trunc_f32_e32 v3, v4
	v_cmp_eq_f32_e32 vcc, v3, v4
	v_mul_f32_e32 v3, 0.5, v4
	v_trunc_f32_e32 v8, v3
	v_cmp_neq_f32_e64 s[6:7], v8, v3
	s_and_b64 s[6:7], vcc, s[6:7]
	v_cndmask_b32_e64 v3, 1.0, v5, s[6:7]
	s_brev_b32 s18, -2
	v_mov_b32_e32 v7, 0x7fc00000
	v_bfi_b32 v2, s18, v2, v3
	v_cndmask_b32_e32 v3, v7, v2, vcc
	v_cmp_gt_f32_e32 vcc, 0, v5
	v_cndmask_b32_e32 v2, v2, v3, vcc
	v_cmp_class_f32_e64 s[38:39], v5, s10
	v_cmp_eq_f32_e32 vcc, 0, v5
	v_cmp_gt_f32_e64 s[10:11], 0, v4
	s_xor_b64 s[10:11], s[10:11], vcc
	v_cndmask_b32_e64 v3, v6, 0, s[10:11]
	v_cndmask_b32_e64 v4, 0, v5, s[6:7]
	v_bfi_b32 v3, s18, v3, v4
	s_or_b64 vcc, vcc, s[38:39]
	v_cndmask_b32_e32 v2, v2, v3, vcc
	v_cmp_o_f32_e32 vcc, v5, v5
	v_cndmask_b32_e32 v27, v7, v2, vcc
.LBB70_4:
	s_lshl_b32 s18, s8, 5
	v_lshlrev_b32_e32 v23, 2, v1
	s_load_dwordx4 s[48:51], s[4:5], 0x70
	v_add_u32_e32 v24, s18, v23
	v_mul_hi_u32 v2, v24, s28
	s_ashr_i32 s35, s34, 31
	s_ashr_i32 s10, s47, 31
	s_waitcnt lgkmcnt(0)
	s_mul_i32 s6, s33, s50
	v_add_u32_e32 v2, v24, v2
	s_ashr_i32 s7, s6, 31
	v_lshrrev_b32_e32 v2, s29, v2
	s_add_u32 s6, s12, s6
	s_mul_i32 s11, s34, s49
	v_mul_lo_u32 v2, v2, s30
	s_addc_u32 s7, s13, s7
	s_ashr_i32 s12, s11, 31
	s_add_u32 s11, s6, s11
	s_addc_u32 s37, s7, s12
	s_ashr_i32 s49, s48, 31
	s_lshr_b64 s[6:7], s[48:49], 2
	v_sub_u32_e32 v41, v24, v2
	v_mad_u64_u32 v[2:3], s[12:13], s6, v41, 0
	v_mov_b32_e32 v6, s37
	s_lshr_b32 s37, s49, 2
	v_mad_u64_u32 v[3:4], s[12:13], s37, v41, v[3:4]
	v_or_b32_e32 v21, 1, v23
	v_add_u32_e32 v22, s18, v21
	v_mul_hi_u32 v4, v22, s28
	v_lshlrev_b32_e32 v5, 4, v0
	v_add_co_u32_e32 v40, vcc, s11, v5
	v_lshlrev_b64 v[2:3], 2, v[2:3]
	v_addc_co_u32_e32 v42, vcc, 0, v6, vcc
	v_add_co_u32_e32 v6, vcc, v40, v2
	v_add_u32_e32 v2, v22, v4
	v_lshrrev_b32_e32 v2, s29, v2
	v_mul_lo_u32 v8, v2, s30
	v_or_b32_e32 v19, 2, v23
	v_add_u32_e32 v20, s18, v19
	v_addc_co_u32_e32 v7, vcc, v42, v3, vcc
	v_sub_u32_e32 v12, v22, v8
	v_mad_u64_u32 v[10:11], s[12:13], s6, v12, 0
	global_load_dwordx4 v[2:5], v[6:7], off
	v_lshlrev_b32_e32 v45, 11, v1
	v_mad_u64_u32 v[11:12], s[12:13], s37, v12, v[11:12]
	v_mul_hi_u32 v12, v20, s28
	v_mov_b32_e32 v47, 0
	v_lshlrev_b64 v[10:11], 2, v[10:11]
	s_cmp_eq_u64 s[22:23], 0
	v_add_u32_e32 v12, v20, v12
	v_lshrrev_b32_e32 v12, s29, v12
	v_mul_lo_u32 v16, v12, s30
	v_add_co_u32_e32 v14, vcc, v40, v10
	v_addc_co_u32_e32 v15, vcc, v42, v11, vcc
	v_sub_u32_e32 v18, v20, v16
	v_mad_u64_u32 v[16:17], s[12:13], s6, v18, 0
	global_load_dwordx4 v[10:13], v[14:15], off
	global_load_dwordx4 v[28:31], v[14:15], off offset:512
	v_mad_u64_u32 v[17:18], s[12:13], s37, v18, v[17:18]
	global_load_dwordx4 v[6:9], v[6:7], off offset:512
	v_lshlrev_b64 v[14:15], 2, v[16:17]
	v_or_b32_e32 v16, 3, v23
	v_add_u32_e32 v18, s18, v16
	v_mul_hi_u32 v17, v18, s28
	v_add_co_u32_e32 v14, vcc, v40, v14
	v_addc_co_u32_e32 v15, vcc, v42, v15, vcc
	v_add_u32_e32 v17, v18, v17
	v_lshrrev_b32_e32 v17, s29, v17
	v_mul_lo_u32 v17, v17, s30
	global_load_dwordx4 v[32:35], v[14:15], off
	global_load_dwordx4 v[36:39], v[14:15], off offset:512
	v_sub_u32_e32 v17, v18, v17
	v_mad_u64_u32 v[25:26], s[6:7], s6, v17, 0
	v_mov_b32_e32 v14, v26
	v_mad_u64_u32 v[14:15], s[6:7], s37, v17, v[14:15]
	v_lshlrev_b32_e32 v17, 2, v0
	v_mov_b32_e32 v26, v14
	v_lshlrev_b64 v[14:15], 2, v[25:26]
	v_lshlrev_b32_e32 v26, 3, v0
	v_add_co_u32_e32 v14, vcc, v40, v14
	v_addc_co_u32_e32 v15, vcc, v42, v15, vcc
	global_load_dwordx4 v[48:51], v[14:15], off
	global_load_dwordx4 v[52:55], v[14:15], off offset:512
	v_or_b32_e32 v25, v26, v45
	s_waitcnt vmcnt(7)
	v_fma_mixlo_f16 v2, s36, v2, 0
	v_fma_mixlo_f16 v3, s36, v3, 0
	v_lshlrev_b32_e32 v3, 16, v3
	v_and_b32_e32 v2, 0xffff, v2
	v_or_b32_e32 v2, v3, v2
	v_fma_mixlo_f16 v3, s36, v4, 0
	v_fma_mixlo_f16 v4, s36, v5, 0
	v_lshlrev_b32_e32 v4, 16, v4
	v_and_b32_e32 v3, 0xffff, v3
	v_or3_b32 v3, v4, v3, 0
	v_or3_b32 v2, 0, 0, v2
	s_waitcnt vmcnt(4)
	v_fma_mixlo_f16 v4, s36, v6, 0
	v_fma_mixlo_f16 v5, s36, v7, 0
	v_lshlrev_b32_e32 v5, 16, v5
	v_and_b32_e32 v4, 0xffff, v4
	v_or_b32_e32 v4, v5, v4
	v_fma_mixlo_f16 v5, s36, v8, 0
	v_fma_mixlo_f16 v6, s36, v9, 0
	v_lshlrev_b32_e32 v6, 16, v6
	v_and_b32_e32 v5, 0xffff, v5
	v_or3_b32 v5, v6, v5, 0
	v_or3_b32 v4, 0, 0, v4
	ds_write2_b64 v25, v[2:3], v[4:5] offset1:32
	v_fma_mixlo_f16 v2, s36, v10, 0
	v_fma_mixlo_f16 v3, s36, v11, 0
	v_lshlrev_b32_e32 v3, 16, v3
	v_and_b32_e32 v2, 0xffff, v2
	v_or_b32_e32 v2, v3, v2
	v_fma_mixlo_f16 v3, s36, v12, 0
	v_fma_mixlo_f16 v4, s36, v13, 0
	v_lshlrev_b32_e32 v4, 16, v4
	v_and_b32_e32 v3, 0xffff, v3
	v_or3_b32 v3, v4, v3, 0
	v_fma_mixlo_f16 v4, s36, v28, 0
	v_fma_mixlo_f16 v5, s36, v29, 0
	v_lshlrev_b32_e32 v5, 16, v5
	v_and_b32_e32 v4, 0xffff, v4
	v_or_b32_e32 v4, v5, v4
	v_fma_mixlo_f16 v5, s36, v30, 0
	v_fma_mixlo_f16 v7, s36, v31, 0
	v_lshlrev_b32_e32 v7, 16, v7
	v_and_b32_e32 v5, 0xffff, v5
	v_lshl_add_u32 v6, v21, 9, v26
	v_or3_b32 v2, 0, 0, v2
	v_or3_b32 v5, v7, v5, 0
	;; [unrolled: 1-line block ×3, first 2 shown]
	ds_write2_b64 v6, v[2:3], v[4:5] offset1:32
	s_waitcnt vmcnt(3)
	v_fma_mixlo_f16 v2, s36, v32, 0
	v_fma_mixlo_f16 v3, s36, v33, 0
	v_lshlrev_b32_e32 v3, 16, v3
	v_and_b32_e32 v2, 0xffff, v2
	v_or_b32_e32 v2, v3, v2
	v_fma_mixlo_f16 v3, s36, v34, 0
	v_fma_mixlo_f16 v4, s36, v35, 0
	v_lshlrev_b32_e32 v4, 16, v4
	v_and_b32_e32 v3, 0xffff, v3
	v_or3_b32 v3, v4, v3, 0
	s_waitcnt vmcnt(2)
	v_fma_mixlo_f16 v4, s36, v36, 0
	v_fma_mixlo_f16 v5, s36, v37, 0
	v_lshlrev_b32_e32 v5, 16, v5
	v_and_b32_e32 v4, 0xffff, v4
	v_or_b32_e32 v4, v5, v4
	v_fma_mixlo_f16 v5, s36, v38, 0
	v_fma_mixlo_f16 v7, s36, v39, 0
	v_lshlrev_b32_e32 v7, 16, v7
	v_and_b32_e32 v5, 0xffff, v5
	v_lshl_add_u32 v6, v19, 9, v26
	v_or3_b32 v2, 0, 0, v2
	v_or3_b32 v5, v7, v5, 0
	;; [unrolled: 1-line block ×3, first 2 shown]
	ds_write2_b64 v6, v[2:3], v[4:5] offset1:32
	s_waitcnt vmcnt(1)
	v_fma_mixlo_f16 v2, s36, v48, 0
	v_fma_mixlo_f16 v3, s36, v49, 0
	v_lshlrev_b32_e32 v3, 16, v3
	v_and_b32_e32 v2, 0xffff, v2
	v_or_b32_e32 v2, v3, v2
	v_fma_mixlo_f16 v3, s36, v50, 0
	v_fma_mixlo_f16 v4, s36, v51, 0
	v_lshlrev_b32_e32 v4, 16, v4
	v_and_b32_e32 v3, 0xffff, v3
	v_or3_b32 v3, v4, v3, 0
	s_waitcnt vmcnt(0)
	v_fma_mixlo_f16 v4, s36, v52, 0
	v_fma_mixlo_f16 v5, s36, v53, 0
	v_lshlrev_b32_e32 v5, 16, v5
	v_and_b32_e32 v4, 0xffff, v4
	v_or_b32_e32 v4, v5, v4
	v_fma_mixlo_f16 v5, s36, v54, 0
	v_fma_mixlo_f16 v7, s36, v55, 0
	v_lshlrev_b32_e32 v7, 16, v7
	v_and_b32_e32 v5, 0xffff, v5
	v_lshl_add_u32 v6, v16, 9, v26
	v_or3_b32 v2, 0, 0, v2
	v_or3_b32 v5, v7, v5, 0
	;; [unrolled: 1-line block ×3, first 2 shown]
	ds_write2_b64 v6, v[2:3], v[4:5] offset1:32
	s_waitcnt lgkmcnt(0)
	s_barrier
	s_cbranch_scc1 .LBB70_6
; %bb.5:
	s_load_dword s6, s[4:5], 0xd0
	s_mov_b32 s7, 0
	s_waitcnt lgkmcnt(0)
	s_mul_i32 s6, s6, s33
	s_add_i32 s6, s6, s8
	s_lshl_b64 s[6:7], s[6:7], 2
	s_add_u32 s6, s22, s6
	s_addc_u32 s7, s23, s7
	s_load_dword s42, s[6:7], 0x0
.LBB70_6:
	s_nop 0
	s_load_dwordx2 s[6:7], s[4:5], 0x8c
	s_load_dwordx4 s[48:51], s[4:5], 0x98
	s_load_dwordx2 s[12:13], s[4:5], 0xa8
	s_ashr_i32 s23, s45, 1
	v_lshrrev_b32_e32 v52, 4, v0
	s_waitcnt lgkmcnt(0)
	s_ashr_i32 s36, s6, 2
	s_ashr_i32 s6, s33, 31
	s_mul_hi_u32 s11, s48, s33
	s_mul_i32 s22, s48, s6
	s_add_i32 s11, s11, s22
	s_mul_i32 s22, s49, s33
	s_ashr_i32 s8, s50, 2
	s_add_i32 s11, s11, s22
	s_mul_i32 s22, s48, s33
	s_add_u32 s14, s14, s22
	s_addc_u32 s11, s15, s11
	s_mul_i32 s15, s44, s43
	s_sub_i32 s15, s46, s15
	s_xor_b32 s10, s35, s10
	s_add_i32 s22, s44, 1
	s_sub_i32 s37, s15, s43
	s_cmp_ge_u32 s15, s43
	s_cselect_b32 s22, s22, s44
	s_cselect_b32 s15, s37, s15
	s_add_i32 s37, s22, 1
	s_cmp_ge_u32 s15, s43
	s_cselect_b32 s15, s37, s22
	s_xor_b32 s15, s15, s10
	s_sub_i32 s10, s15, s10
	s_mul_i32 s7, s10, s7
	s_ashr_i32 s15, s7, 31
	s_add_u32 s37, s14, s7
	s_mul_hi_u32 s7, s12, s33
	s_mul_i32 s6, s12, s6
	s_addc_u32 s38, s11, s15
	s_add_i32 s6, s7, s6
	s_mul_i32 s7, s13, s33
	s_add_i32 s6, s6, s7
	s_mul_i32 s7, s12, s33
	s_add_u32 s7, s16, s7
	s_mul_i32 s10, s10, s51
	s_addc_u32 s6, s17, s6
	s_ashr_i32 s11, s10, 31
	v_mul_lo_u32 v14, s8, v1
	s_add_u32 s16, s7, s10
	s_addc_u32 s17, s6, s11
	s_lshl_b32 s22, s9, 5
	s_sub_i32 s39, s42, 32
	s_cmp_ge_i32 s22, s39
	v_and_b32_e32 v51, 60, v17
	v_lshlrev_b32_e32 v25, 2, v17
	v_mbcnt_lo_u32_b32 v46, -1, 0
	s_cbranch_scc1 .LBB70_38
; %bb.7:
	v_or_b32_e32 v7, 1, v24
	v_mul_hi_u32 v8, s28, v7
	s_movk_i32 s6, 0x110
	v_mov_b32_e32 v6, 0x4000
	v_mad_u32_u24 v55, v0, s6, v6
	v_add_u32_e32 v6, v7, v8
	v_lshrrev_b32_e32 v6, s29, v6
	v_mul_lo_u32 v6, v6, s30
	v_or_b32_e32 v8, 2, v24
	v_mul_hi_u32 v9, s28, v8
	v_lshl_add_u32 v3, v1, 1, v52
	v_sub_u32_e32 v6, v7, v6
	v_or_b32_e32 v7, 3, v24
	v_mul_hi_u32 v10, s28, v7
	v_add_u32_e32 v9, v8, v9
	v_lshrrev_b32_e32 v9, s29, v9
	v_mul_lo_u32 v9, v9, s30
	v_add_u32_e32 v10, v7, v10
	v_lshrrev_b32_e32 v10, s29, v10
	v_mul_lo_u32 v10, v10, s30
	v_mul_lo_u32 v2, s36, v3
	v_lshlrev_b32_e32 v4, 2, v51
	v_mul_lo_u32 v57, v6, s23
	v_sub_u32_e32 v6, v8, v9
	v_mad_u32_u24 v4, v3, s6, v4
	v_mul_lo_u32 v58, v6, s23
	v_sub_u32_e32 v6, v7, v10
	v_add_u32_e32 v53, 0x4000, v4
	v_add_u32_e32 v54, 0x5100, v4
	v_lshl_add_u32 v4, s36, 4, v2
	v_mul_lo_u32 v56, v41, s23
	v_mul_lo_u32 v59, v6, s23
	v_mov_b32_e32 v6, 0x6200
	v_lshl_add_u32 v12, s8, 3, v14
	v_ashrrev_i32_e32 v3, 31, v2
	v_ashrrev_i32_e32 v5, 31, v4
	s_cmp_lg_u64 s[40:41], 0
	v_lshl_add_u32 v60, v1, 8, v6
	v_lshl_add_u32 v6, v1, 9, v25
	v_ashrrev_i32_e32 v15, 31, v14
	v_ashrrev_i32_e32 v13, 31, v12
	s_cselect_b64 s[10:11], -1, 0
	v_add_u32_e32 v61, 0x4000, v6
	v_add_u32_e32 v62, 0x5000, v6
	s_add_u32 s12, s4, 0xd0
	v_lshlrev_b64 v[6:7], 2, v[2:3]
	v_lshlrev_b64 v[8:9], 2, v[4:5]
	;; [unrolled: 1-line block ×4, first 2 shown]
	v_mov_b32_e32 v28, 0
	s_addc_u32 s13, s5, 0
	v_mov_b32_e32 v75, 0xfeffffff
	v_lshlrev_b32_e32 v63, 2, v51
	s_mov_b32 s43, 0x3f200000
	s_mov_b32 s44, 0x3fb8aa3b
	;; [unrolled: 1-line block ×4, first 2 shown]
	v_mov_b32_e32 v64, 0xbd5c1c4e
	v_mov_b32_e32 v65, 0x3e088382
	;; [unrolled: 1-line block ×3, first 2 shown]
	s_brev_b32 s47, -2
	s_mov_b32 s48, 0x10001
	v_mov_b32_e32 v15, 0x7f800000
	v_mbcnt_hi_u32_b32 v67, -1, v46
	v_mov_b32_e32 v29, 0
	v_mov_b32_e32 v31, 0
	;; [unrolled: 1-line block ×22, first 2 shown]
.LBB70_8:                               ; =>This Inner Loop Header: Depth=1
	s_mul_hi_i32 s7, s22, s36
	s_mul_i32 s6, s22, s36
	s_lshl_b64 s[6:7], s[6:7], 2
	s_add_u32 s6, s37, s6
	s_addc_u32 s7, s38, s7
	v_mov_b32_e32 v2, s7
	v_add_co_u32_e32 v3, vcc, s6, v6
	v_addc_co_u32_e32 v4, vcc, v2, v7, vcc
	v_add_co_u32_e32 v2, vcc, v3, v63
	v_addc_co_u32_e32 v3, vcc, 0, v4, vcc
	v_mov_b32_e32 v4, s7
	v_add_co_u32_e32 v5, vcc, s6, v8
	v_addc_co_u32_e32 v47, vcc, v4, v9, vcc
	v_add_co_u32_e32 v4, vcc, v5, v63
	v_addc_co_u32_e32 v5, vcc, 0, v47, vcc
	global_load_dwordx4 v[76:79], v[2:3], off
	global_load_dwordx4 v[80:83], v[4:5], off
	v_mov_b32_e32 v50, 0
	v_mov_b32_e32 v49, 0
	;; [unrolled: 1-line block ×4, first 2 shown]
	s_waitcnt vmcnt(1)
	ds_write_b128 v53, v[76:79]
	s_waitcnt vmcnt(0)
	ds_write_b128 v54, v[80:83]
	s_waitcnt lgkmcnt(0)
	s_barrier
	ds_read_b128 v[76:79], v55
	ds_read_b128 v[80:83], v45
	ds_read_b128 v[84:87], v45 offset:512
	ds_read_b128 v[88:91], v45 offset:1024
	ds_read_b128 v[92:95], v45 offset:1536
	s_waitcnt lgkmcnt(3)
	;;#ASMSTART
	v_dot2_f32_f16 v50, v76, v80, v50
	;;#ASMEND
	;;#ASMSTART
	v_dot2_f32_f16 v50, v77, v81, v50
	;;#ASMEND
	;;#ASMSTART
	v_dot2_f32_f16 v50, v78, v82, v50
	;;#ASMEND
	;;#ASMSTART
	v_dot2_f32_f16 v50, v79, v83, v50
	;;#ASMEND
	s_waitcnt lgkmcnt(2)
	;;#ASMSTART
	v_dot2_f32_f16 v49, v76, v84, v49
	;;#ASMEND
	;;#ASMSTART
	v_dot2_f32_f16 v49, v77, v85, v49
	;;#ASMEND
	;;#ASMSTART
	v_dot2_f32_f16 v49, v78, v86, v49
	;;#ASMEND
	;;#ASMSTART
	v_dot2_f32_f16 v49, v79, v87, v49
	;;#ASMEND
	s_waitcnt lgkmcnt(1)
	;;#ASMSTART
	v_dot2_f32_f16 v48, v76, v88, v48
	;;#ASMEND
	;;#ASMSTART
	v_dot2_f32_f16 v48, v77, v89, v48
	;;#ASMEND
	;;#ASMSTART
	v_dot2_f32_f16 v48, v78, v90, v48
	;;#ASMEND
	;;#ASMSTART
	v_dot2_f32_f16 v48, v79, v91, v48
	;;#ASMEND
	s_waitcnt lgkmcnt(0)
	;;#ASMSTART
	v_dot2_f32_f16 v47, v76, v92, v47
	;;#ASMEND
	;;#ASMSTART
	v_dot2_f32_f16 v47, v77, v93, v47
	;;#ASMEND
	;;#ASMSTART
	v_dot2_f32_f16 v47, v78, v94, v47
	;;#ASMEND
	;;#ASMSTART
	v_dot2_f32_f16 v47, v79, v95, v47
	;;#ASMEND
	ds_read_b128 v[76:79], v55 offset:16
	ds_read_b128 v[80:83], v45 offset:16
	ds_read_b128 v[84:87], v45 offset:528
	ds_read_b128 v[88:91], v45 offset:1040
	ds_read_b128 v[92:95], v45 offset:1552
	s_waitcnt lgkmcnt(3)
	;;#ASMSTART
	v_dot2_f32_f16 v50, v76, v80, v50
	;;#ASMEND
	;;#ASMSTART
	v_dot2_f32_f16 v50, v77, v81, v50
	;;#ASMEND
	;;#ASMSTART
	v_dot2_f32_f16 v50, v78, v82, v50
	;;#ASMEND
	;;#ASMSTART
	v_dot2_f32_f16 v50, v79, v83, v50
	;;#ASMEND
	s_waitcnt lgkmcnt(2)
	;;#ASMSTART
	v_dot2_f32_f16 v49, v76, v84, v49
	;;#ASMEND
	;;#ASMSTART
	v_dot2_f32_f16 v49, v77, v85, v49
	;;#ASMEND
	;;#ASMSTART
	v_dot2_f32_f16 v49, v78, v86, v49
	;;#ASMEND
	;;#ASMSTART
	v_dot2_f32_f16 v49, v79, v87, v49
	;;#ASMEND
	s_waitcnt lgkmcnt(1)
	;;#ASMSTART
	v_dot2_f32_f16 v48, v76, v88, v48
	;;#ASMEND
	;;#ASMSTART
	v_dot2_f32_f16 v48, v77, v89, v48
	;;#ASMEND
	;;#ASMSTART
	v_dot2_f32_f16 v48, v78, v90, v48
	;;#ASMEND
	;;#ASMSTART
	v_dot2_f32_f16 v48, v79, v91, v48
	;;#ASMEND
	s_waitcnt lgkmcnt(0)
	;;#ASMSTART
	v_dot2_f32_f16 v47, v76, v92, v47
	;;#ASMEND
	;;#ASMSTART
	v_dot2_f32_f16 v47, v77, v93, v47
	;;#ASMEND
	;;#ASMSTART
	v_dot2_f32_f16 v47, v78, v94, v47
	;;#ASMEND
	;;#ASMSTART
	v_dot2_f32_f16 v47, v79, v95, v47
	;;#ASMEND
	ds_read_b128 v[76:79], v55 offset:32
	ds_read_b128 v[80:83], v45 offset:32
	;; [unrolled: 57-line block ×15, first 2 shown]
	ds_read_b128 v[84:87], v45 offset:752
	ds_read_b128 v[88:91], v45 offset:1264
	ds_read_b128 v[92:95], v45 offset:1776
	s_waitcnt lgkmcnt(3)
	;;#ASMSTART
	v_dot2_f32_f16 v50, v76, v80, v50
	;;#ASMEND
	;;#ASMSTART
	v_dot2_f32_f16 v50, v77, v81, v50
	;;#ASMEND
	;;#ASMSTART
	v_dot2_f32_f16 v50, v78, v82, v50
	;;#ASMEND
	;;#ASMSTART
	v_dot2_f32_f16 v50, v79, v83, v50
	;;#ASMEND
	s_waitcnt lgkmcnt(2)
	;;#ASMSTART
	v_dot2_f32_f16 v49, v76, v84, v49
	;;#ASMEND
	;;#ASMSTART
	v_dot2_f32_f16 v49, v77, v85, v49
	;;#ASMEND
	;;#ASMSTART
	v_dot2_f32_f16 v49, v78, v86, v49
	;;#ASMEND
	;;#ASMSTART
	v_dot2_f32_f16 v49, v79, v87, v49
	;;#ASMEND
	;; [unrolled: 13-line block ×4, first 2 shown]
	s_barrier
	global_load_dwordx4 v[76:79], v[2:3], off offset:256
	s_nop 0
	global_load_dwordx4 v[2:5], v[4:5], off offset:256
	s_waitcnt vmcnt(1)
	ds_write_b128 v53, v[76:79]
	s_waitcnt vmcnt(0)
	ds_write_b128 v54, v[2:5]
	s_waitcnt lgkmcnt(0)
	s_barrier
	ds_read_b128 v[2:5], v55
	ds_read_b128 v[76:79], v45 offset:256
	ds_read_b128 v[80:83], v45 offset:768
	ds_read_b128 v[84:87], v45 offset:1280
	ds_read_b128 v[88:91], v45 offset:1792
	s_waitcnt lgkmcnt(3)
	;;#ASMSTART
	v_dot2_f32_f16 v50, v2, v76, v50
	;;#ASMEND
	;;#ASMSTART
	v_dot2_f32_f16 v50, v3, v77, v50
	;;#ASMEND
	;;#ASMSTART
	v_dot2_f32_f16 v50, v4, v78, v50
	;;#ASMEND
	;;#ASMSTART
	v_dot2_f32_f16 v50, v5, v79, v50
	;;#ASMEND
	s_waitcnt lgkmcnt(2)
	;;#ASMSTART
	v_dot2_f32_f16 v49, v2, v80, v49
	;;#ASMEND
	;;#ASMSTART
	v_dot2_f32_f16 v49, v3, v81, v49
	;;#ASMEND
	;;#ASMSTART
	v_dot2_f32_f16 v49, v4, v82, v49
	;;#ASMEND
	;;#ASMSTART
	v_dot2_f32_f16 v49, v5, v83, v49
	;;#ASMEND
	s_waitcnt lgkmcnt(1)
	;;#ASMSTART
	v_dot2_f32_f16 v48, v2, v84, v48
	;;#ASMEND
	;;#ASMSTART
	v_dot2_f32_f16 v48, v3, v85, v48
	;;#ASMEND
	;;#ASMSTART
	v_dot2_f32_f16 v48, v4, v86, v48
	;;#ASMEND
	;;#ASMSTART
	v_dot2_f32_f16 v48, v5, v87, v48
	;;#ASMEND
	s_waitcnt lgkmcnt(0)
	;;#ASMSTART
	v_dot2_f32_f16 v47, v2, v88, v47
	;;#ASMEND
	;;#ASMSTART
	v_dot2_f32_f16 v47, v3, v89, v47
	;;#ASMEND
	;;#ASMSTART
	v_dot2_f32_f16 v47, v4, v90, v47
	;;#ASMEND
	;;#ASMSTART
	v_dot2_f32_f16 v47, v5, v91, v47
	;;#ASMEND
	ds_read_b128 v[2:5], v55 offset:16
	ds_read_b128 v[76:79], v45 offset:272
	ds_read_b128 v[80:83], v45 offset:784
	ds_read_b128 v[84:87], v45 offset:1296
	ds_read_b128 v[88:91], v45 offset:1808
	s_waitcnt lgkmcnt(3)
	;;#ASMSTART
	v_dot2_f32_f16 v50, v2, v76, v50
	;;#ASMEND
	;;#ASMSTART
	v_dot2_f32_f16 v50, v3, v77, v50
	;;#ASMEND
	;;#ASMSTART
	v_dot2_f32_f16 v50, v4, v78, v50
	;;#ASMEND
	;;#ASMSTART
	v_dot2_f32_f16 v50, v5, v79, v50
	;;#ASMEND
	s_waitcnt lgkmcnt(2)
	;;#ASMSTART
	v_dot2_f32_f16 v49, v2, v80, v49
	;;#ASMEND
	;;#ASMSTART
	v_dot2_f32_f16 v49, v3, v81, v49
	;;#ASMEND
	;;#ASMSTART
	v_dot2_f32_f16 v49, v4, v82, v49
	;;#ASMEND
	;;#ASMSTART
	v_dot2_f32_f16 v49, v5, v83, v49
	;;#ASMEND
	s_waitcnt lgkmcnt(1)
	;;#ASMSTART
	v_dot2_f32_f16 v48, v2, v84, v48
	;;#ASMEND
	;;#ASMSTART
	v_dot2_f32_f16 v48, v3, v85, v48
	;;#ASMEND
	;;#ASMSTART
	v_dot2_f32_f16 v48, v4, v86, v48
	;;#ASMEND
	;;#ASMSTART
	v_dot2_f32_f16 v48, v5, v87, v48
	;;#ASMEND
	s_waitcnt lgkmcnt(0)
	;;#ASMSTART
	v_dot2_f32_f16 v47, v2, v88, v47
	;;#ASMEND
	;;#ASMSTART
	v_dot2_f32_f16 v47, v3, v89, v47
	;;#ASMEND
	;;#ASMSTART
	v_dot2_f32_f16 v47, v4, v90, v47
	;;#ASMEND
	;;#ASMSTART
	v_dot2_f32_f16 v47, v5, v91, v47
	;;#ASMEND
	ds_read_b128 v[2:5], v55 offset:32
	;; [unrolled: 57-line block ×15, first 2 shown]
	ds_read_b128 v[76:79], v45 offset:496
	ds_read_b128 v[80:83], v45 offset:1008
	;; [unrolled: 1-line block ×4, first 2 shown]
	s_waitcnt lgkmcnt(3)
	;;#ASMSTART
	v_dot2_f32_f16 v50, v2, v76, v50
	;;#ASMEND
	;;#ASMSTART
	v_dot2_f32_f16 v50, v3, v77, v50
	;;#ASMEND
	;;#ASMSTART
	v_dot2_f32_f16 v50, v4, v78, v50
	;;#ASMEND
	;;#ASMSTART
	v_dot2_f32_f16 v50, v5, v79, v50
	;;#ASMEND
	s_waitcnt lgkmcnt(2)
	;;#ASMSTART
	v_dot2_f32_f16 v49, v2, v80, v49
	;;#ASMEND
	;;#ASMSTART
	v_dot2_f32_f16 v49, v3, v81, v49
	;;#ASMEND
	;;#ASMSTART
	v_dot2_f32_f16 v49, v4, v82, v49
	;;#ASMEND
	;;#ASMSTART
	v_dot2_f32_f16 v49, v5, v83, v49
	;;#ASMEND
	;; [unrolled: 13-line block ×3, first 2 shown]
	s_waitcnt lgkmcnt(0)
	;;#ASMSTART
	v_dot2_f32_f16 v47, v2, v88, v47
	;;#ASMEND
	;;#ASMSTART
	v_dot2_f32_f16 v47, v3, v89, v47
	;;#ASMEND
	;; [unrolled: 3-line block ×3, first 2 shown]
	v_cmp_nlt_f32_e64 s[6:7], |v50|, s43
	;;#ASMSTART
	v_dot2_f32_f16 v47, v5, v91, v47
	;;#ASMEND
                                        ; implicit-def: $vgpr2
	s_and_saveexec_b64 s[14:15], s[6:7]
	s_xor_b64 s[6:7], exec, s[14:15]
	s_cbranch_execz .LBB70_10
; %bb.9:                                ;   in Loop: Header=BB70_8 Depth=1
	v_add_f32_e64 v2, |v50|, |v50|
	v_mul_f32_e32 v3, 0x3fb8aa3b, v2
	v_rndne_f32_e32 v4, v3
	v_sub_f32_e32 v5, v3, v4
	v_fma_f32 v3, v2, s44, -v3
	v_fmac_f32_e32 v3, 0x32a5705f, v2
	v_add_f32_e32 v3, v5, v3
	v_cvt_i32_f32_e32 v4, v4
	v_exp_f32_e32 v3, v3
	v_cmp_ngt_f32_e32 vcc, s45, v2
	v_ldexp_f32 v3, v3, v4
	v_cndmask_b32_e32 v3, 0, v3, vcc
	v_cmp_nlt_f32_e32 vcc, s46, v2
	v_cndmask_b32_e32 v2, v15, v3, vcc
	v_add_f32_e32 v2, 1.0, v2
	v_rcp_f32_e32 v2, v2
	v_fma_f32 v2, v2, -2.0, 1.0
.LBB70_10:                              ;   in Loop: Header=BB70_8 Depth=1
	s_andn2_saveexec_b64 s[6:7], s[6:7]
; %bb.11:                               ;   in Loop: Header=BB70_8 Depth=1
	v_mul_f32_e32 v2, v50, v50
	v_mov_b32_e32 v3, 0x3ca908c9
	v_fmac_f32_e32 v3, 0xbbbac73d, v2
	v_fma_f32 v3, v2, v3, v64
	v_fma_f32 v3, v2, v3, v65
	;; [unrolled: 1-line block ×3, first 2 shown]
	v_mul_f32_e64 v3, |v50|, v3
	v_fma_f32 v2, v2, v3, |v50|
; %bb.12:                               ;   in Loop: Header=BB70_8 Depth=1
	s_or_b64 exec, exec, s[6:7]
	v_cndmask_b32_e64 v3, 0, 1, s[10:11]
	v_cmp_ne_u32_e64 s[6:7], 1, v3
	s_andn2_b64 vcc, exec, s[10:11]
	v_add_u32_e32 v3, s22, v0
	s_cbranch_vccnz .LBB70_14
; %bb.13:                               ;   in Loop: Header=BB70_8 Depth=1
	v_add_u32_e32 v4, v3, v56
	v_ashrrev_i32_e32 v5, 31, v4
	v_lshlrev_b64 v[4:5], 1, v[4:5]
	v_mov_b32_e32 v76, s41
	v_add_co_u32_e32 v4, vcc, s40, v4
	v_addc_co_u32_e32 v5, vcc, v76, v5, vcc
	global_load_ushort v4, v[4:5], off
	s_waitcnt vmcnt(0)
	v_cvt_f32_f16_e32 v4, v4
	v_mul_f32_e32 v76, v27, v4
	s_branch .LBB70_15
.LBB70_14:                              ;   in Loop: Header=BB70_8 Depth=1
	v_mov_b32_e32 v76, 0
.LBB70_15:                              ;   in Loop: Header=BB70_8 Depth=1
	v_bfi_b32 v4, s47, v2, v50
	v_and_b32_e32 v2, 0x60, v67
	v_add_u32_e32 v5, 32, v2
	v_xor_b32_e32 v2, 16, v67
	v_cmp_lt_i32_e32 vcc, v2, v5
	v_fmac_f32_e32 v76, s19, v4
	v_cndmask_b32_e32 v2, v67, v2, vcc
	v_add_f32_e32 v4, 0x40051340, v76
	v_max_f32_e32 v50, v75, v75
	v_lshlrev_b32_e32 v2, 2, v2
	v_max_f32_e32 v4, v50, v4
	ds_bpermute_b32 v50, v2, v4
	v_xor_b32_e32 v77, 8, v67
	v_cmp_lt_i32_e32 vcc, v77, v5
	v_cndmask_b32_e32 v77, v67, v77, vcc
	v_lshlrev_b32_e32 v80, 2, v77
	s_waitcnt lgkmcnt(0)
	v_max_f32_e32 v50, v50, v50
	v_max_f32_e32 v50, v4, v50
	ds_bpermute_b32 v77, v80, v50
	v_xor_b32_e32 v4, 4, v67
	v_cmp_lt_i32_e32 vcc, v4, v5
	v_cndmask_b32_e32 v4, v67, v4, vcc
	v_lshlrev_b32_e32 v4, 2, v4
	s_waitcnt lgkmcnt(0)
	v_max_f32_e32 v77, v77, v77
	;; [unrolled: 8-line block ×4, first 2 shown]
	v_max_f32_e32 v81, v50, v78
	ds_bpermute_b32 v82, v5, v81
	v_cmp_nlt_f32_e64 s[14:15], |v49|, s43
                                        ; implicit-def: $vgpr50
	s_and_saveexec_b64 s[50:51], s[14:15]
	s_xor_b64 s[14:15], exec, s[50:51]
	s_cbranch_execnz .LBB70_19
; %bb.16:                               ;   in Loop: Header=BB70_8 Depth=1
	s_andn2_saveexec_b64 s[14:15], s[14:15]
	s_cbranch_execnz .LBB70_20
.LBB70_17:                              ;   in Loop: Header=BB70_8 Depth=1
	s_or_b64 exec, exec, s[14:15]
	s_and_b64 vcc, exec, s[6:7]
	s_cbranch_vccnz .LBB70_21
.LBB70_18:                              ;   in Loop: Header=BB70_8 Depth=1
	v_add_u32_e32 v78, v3, v57
	v_ashrrev_i32_e32 v79, 31, v78
	v_lshlrev_b64 v[78:79], 1, v[78:79]
	v_mov_b32_e32 v83, s41
	v_add_co_u32_e32 v78, vcc, s40, v78
	v_addc_co_u32_e32 v79, vcc, v83, v79, vcc
	global_load_ushort v78, v[78:79], off
	s_waitcnt vmcnt(0)
	v_cvt_f32_f16_e32 v78, v78
	v_mul_f32_e32 v79, v27, v78
	s_branch .LBB70_22
.LBB70_19:                              ;   in Loop: Header=BB70_8 Depth=1
	v_add_f32_e64 v50, |v49|, |v49|
	v_mul_f32_e32 v78, 0x3fb8aa3b, v50
	v_rndne_f32_e32 v79, v78
	v_sub_f32_e32 v83, v78, v79
	v_fma_f32 v78, v50, s44, -v78
	v_fmac_f32_e32 v78, 0x32a5705f, v50
	v_add_f32_e32 v78, v83, v78
	v_cvt_i32_f32_e32 v79, v79
	v_exp_f32_e32 v78, v78
	v_cmp_ngt_f32_e32 vcc, s45, v50
	v_ldexp_f32 v78, v78, v79
	v_cndmask_b32_e32 v78, 0, v78, vcc
	v_cmp_nlt_f32_e32 vcc, s46, v50
	v_cndmask_b32_e32 v50, v15, v78, vcc
	v_add_f32_e32 v50, 1.0, v50
	v_rcp_f32_e32 v50, v50
	v_fma_f32 v50, v50, -2.0, 1.0
	s_andn2_saveexec_b64 s[14:15], s[14:15]
	s_cbranch_execz .LBB70_17
.LBB70_20:                              ;   in Loop: Header=BB70_8 Depth=1
	v_mul_f32_e32 v50, v49, v49
	v_mov_b32_e32 v78, 0x3ca908c9
	v_fmac_f32_e32 v78, 0xbbbac73d, v50
	v_fma_f32 v78, v50, v78, v64
	v_fma_f32 v78, v50, v78, v65
	;; [unrolled: 1-line block ×3, first 2 shown]
	v_mul_f32_e64 v78, |v49|, v78
	v_fma_f32 v50, v50, v78, |v49|
	s_or_b64 exec, exec, s[14:15]
	s_and_b64 vcc, exec, s[6:7]
	s_cbranch_vccz .LBB70_18
.LBB70_21:                              ;   in Loop: Header=BB70_8 Depth=1
	v_mov_b32_e32 v79, 0
.LBB70_22:                              ;   in Loop: Header=BB70_8 Depth=1
	v_bfi_b32 v49, s47, v50, v49
	v_fmac_f32_e32 v79, s19, v49
	v_add_f32_e32 v49, 0x40051340, v79
	v_max_f32_e32 v50, v73, v73
	v_max_f32_e32 v49, v50, v49
	ds_bpermute_b32 v50, v2, v49
	v_cmp_nlt_f32_e64 s[14:15], |v48|, s43
                                        ; implicit-def: $vgpr78
	s_waitcnt lgkmcnt(0)
	v_max_f32_e32 v50, v50, v50
	v_max_f32_e32 v49, v49, v50
	ds_bpermute_b32 v50, v80, v49
	s_waitcnt lgkmcnt(0)
	v_max_f32_e32 v50, v50, v50
	v_max_f32_e32 v49, v49, v50
	ds_bpermute_b32 v50, v4, v49
	;; [unrolled: 4-line block ×4, first 2 shown]
	s_and_saveexec_b64 s[50:51], s[14:15]
	s_xor_b64 s[14:15], exec, s[50:51]
	s_cbranch_execnz .LBB70_26
; %bb.23:                               ;   in Loop: Header=BB70_8 Depth=1
	s_andn2_saveexec_b64 s[14:15], s[14:15]
	s_cbranch_execnz .LBB70_27
.LBB70_24:                              ;   in Loop: Header=BB70_8 Depth=1
	s_or_b64 exec, exec, s[14:15]
	s_and_b64 vcc, exec, s[6:7]
	s_cbranch_vccnz .LBB70_28
.LBB70_25:                              ;   in Loop: Header=BB70_8 Depth=1
	v_add_u32_e32 v84, v3, v58
	v_ashrrev_i32_e32 v85, 31, v84
	v_lshlrev_b64 v[84:85], 1, v[84:85]
	v_mov_b32_e32 v50, s41
	v_add_co_u32_e32 v84, vcc, s40, v84
	v_addc_co_u32_e32 v85, vcc, v50, v85, vcc
	global_load_ushort v50, v[84:85], off
	s_waitcnt vmcnt(0)
	v_cvt_f32_f16_e32 v50, v50
	v_mul_f32_e32 v50, v27, v50
	s_branch .LBB70_29
.LBB70_26:                              ;   in Loop: Header=BB70_8 Depth=1
	v_add_f32_e64 v50, |v48|, |v48|
	v_mul_f32_e32 v78, 0x3fb8aa3b, v50
	v_rndne_f32_e32 v84, v78
	v_sub_f32_e32 v85, v78, v84
	v_fma_f32 v78, v50, s44, -v78
	v_fmac_f32_e32 v78, 0x32a5705f, v50
	v_add_f32_e32 v78, v85, v78
	v_cvt_i32_f32_e32 v84, v84
	v_exp_f32_e32 v78, v78
	v_cmp_ngt_f32_e32 vcc, s45, v50
	v_ldexp_f32 v78, v78, v84
	v_cndmask_b32_e32 v78, 0, v78, vcc
	v_cmp_nlt_f32_e32 vcc, s46, v50
	v_cndmask_b32_e32 v50, v15, v78, vcc
	v_add_f32_e32 v50, 1.0, v50
	v_rcp_f32_e32 v50, v50
	v_fma_f32 v78, v50, -2.0, 1.0
	s_andn2_saveexec_b64 s[14:15], s[14:15]
	s_cbranch_execz .LBB70_24
.LBB70_27:                              ;   in Loop: Header=BB70_8 Depth=1
	v_mul_f32_e32 v50, v48, v48
	v_mov_b32_e32 v78, 0x3ca908c9
	v_fmac_f32_e32 v78, 0xbbbac73d, v50
	v_fma_f32 v78, v50, v78, v64
	v_fma_f32 v78, v50, v78, v65
	;; [unrolled: 1-line block ×3, first 2 shown]
	v_mul_f32_e64 v78, |v48|, v78
	v_fma_f32 v78, v50, v78, |v48|
	s_or_b64 exec, exec, s[14:15]
	s_and_b64 vcc, exec, s[6:7]
	s_cbranch_vccz .LBB70_25
.LBB70_28:                              ;   in Loop: Header=BB70_8 Depth=1
	v_mov_b32_e32 v50, 0
.LBB70_29:                              ;   in Loop: Header=BB70_8 Depth=1
	v_bfi_b32 v48, s47, v78, v48
	v_fmac_f32_e32 v50, s19, v48
	v_add_f32_e32 v48, 0x40051340, v50
	v_max_f32_e32 v78, v71, v71
	v_max_f32_e32 v48, v78, v48
	ds_bpermute_b32 v78, v2, v48
	v_cmp_nlt_f32_e64 s[14:15], |v47|, s43
                                        ; implicit-def: $vgpr85
	s_waitcnt lgkmcnt(0)
	v_max_f32_e32 v78, v78, v78
	v_max_f32_e32 v48, v48, v78
	ds_bpermute_b32 v78, v80, v48
	s_waitcnt lgkmcnt(0)
	v_max_f32_e32 v78, v78, v78
	v_max_f32_e32 v48, v48, v78
	ds_bpermute_b32 v78, v4, v48
	;; [unrolled: 4-line block ×4, first 2 shown]
	s_and_saveexec_b64 s[50:51], s[14:15]
	s_xor_b64 s[14:15], exec, s[50:51]
	s_cbranch_execnz .LBB70_33
; %bb.30:                               ;   in Loop: Header=BB70_8 Depth=1
	s_andn2_saveexec_b64 s[14:15], s[14:15]
	s_cbranch_execnz .LBB70_34
.LBB70_31:                              ;   in Loop: Header=BB70_8 Depth=1
	s_or_b64 exec, exec, s[14:15]
	s_and_b64 vcc, exec, s[6:7]
	s_cbranch_vccnz .LBB70_35
.LBB70_32:                              ;   in Loop: Header=BB70_8 Depth=1
	v_add_u32_e32 v86, v3, v59
	v_ashrrev_i32_e32 v87, 31, v86
	v_lshlrev_b64 v[86:87], 1, v[86:87]
	v_mov_b32_e32 v3, s41
	v_add_co_u32_e32 v86, vcc, s40, v86
	v_addc_co_u32_e32 v87, vcc, v3, v87, vcc
	global_load_ushort v3, v[86:87], off
	s_waitcnt vmcnt(0)
	v_cvt_f32_f16_e32 v3, v3
	v_mul_f32_e32 v78, v27, v3
	s_branch .LBB70_36
.LBB70_33:                              ;   in Loop: Header=BB70_8 Depth=1
	v_add_f32_e64 v78, |v47|, |v47|
	v_mul_f32_e32 v85, 0x3fb8aa3b, v78
	v_rndne_f32_e32 v86, v85
	v_sub_f32_e32 v87, v85, v86
	v_fma_f32 v85, v78, s44, -v85
	v_fmac_f32_e32 v85, 0x32a5705f, v78
	v_add_f32_e32 v85, v87, v85
	v_cvt_i32_f32_e32 v86, v86
	v_exp_f32_e32 v85, v85
	v_cmp_ngt_f32_e32 vcc, s45, v78
	v_ldexp_f32 v85, v85, v86
	v_cndmask_b32_e32 v85, 0, v85, vcc
	v_cmp_nlt_f32_e32 vcc, s46, v78
	v_cndmask_b32_e32 v78, v15, v85, vcc
	v_add_f32_e32 v78, 1.0, v78
	v_rcp_f32_e32 v78, v78
	v_fma_f32 v85, v78, -2.0, 1.0
	s_andn2_saveexec_b64 s[14:15], s[14:15]
	s_cbranch_execz .LBB70_31
.LBB70_34:                              ;   in Loop: Header=BB70_8 Depth=1
	v_mul_f32_e32 v78, v47, v47
	v_mov_b32_e32 v85, 0x3ca908c9
	v_fmac_f32_e32 v85, 0xbbbac73d, v78
	v_fma_f32 v85, v78, v85, v64
	v_fma_f32 v85, v78, v85, v65
	;; [unrolled: 1-line block ×3, first 2 shown]
	v_mul_f32_e64 v85, |v47|, v85
	v_fma_f32 v85, v78, v85, |v47|
	s_or_b64 exec, exec, s[14:15]
	s_and_b64 vcc, exec, s[6:7]
	s_cbranch_vccz .LBB70_32
.LBB70_35:                              ;   in Loop: Header=BB70_8 Depth=1
	v_mov_b32_e32 v78, 0
.LBB70_36:                              ;   in Loop: Header=BB70_8 Depth=1
	v_bfi_b32 v3, s47, v85, v47
	v_fmac_f32_e32 v78, s19, v3
	v_add_f32_e32 v3, 0x40051340, v78
	v_max_f32_e32 v47, v69, v69
	v_max_f32_e32 v3, v47, v3
	ds_bpermute_b32 v2, v2, v3
	s_waitcnt lgkmcnt(1)
	v_max_f32_e32 v47, v84, v84
	v_max_f32_e32 v48, v48, v48
	v_max_f32_e32 v83, v83, v83
	v_max_f32_e32 v49, v49, v49
	s_waitcnt lgkmcnt(0)
	v_max_f32_e32 v2, v2, v2
	v_max_f32_e32 v2, v3, v2
	ds_bpermute_b32 v3, v80, v2
	v_max_f32_e32 v80, v82, v82
	v_max_f32_e32 v81, v81, v81
	s_mul_hi_i32 s7, s22, s8
	s_mul_i32 s6, s22, s8
	s_waitcnt lgkmcnt(0)
	v_max_f32_e32 v3, v3, v3
	v_max_f32_e32 v82, v2, v3
	ds_bpermute_b32 v84, v4, v82
	v_max_f32_e32 v4, v48, v47
	v_max_f32_e32 v3, v49, v83
	;; [unrolled: 1-line block ×3, first 2 shown]
	v_sub_f32_e32 v47, v75, v2
	s_waitcnt lgkmcnt(0)
	v_max_f32_e32 v48, v84, v84
	v_max_f32_e32 v48, v82, v48
	ds_bpermute_b32 v49, v77, v48
	v_mul_f32_e32 v75, 0x3fb8aa3b, v47
	v_fma_f32 v77, v47, s44, -v75
	v_rndne_f32_e32 v80, v75
	v_fmac_f32_e32 v77, 0x32a5705f, v47
	s_waitcnt lgkmcnt(0)
	v_max_f32_e32 v49, v49, v49
	v_max_f32_e32 v48, v48, v49
	ds_bpermute_b32 v5, v5, v48
	v_sub_f32_e32 v49, v75, v80
	v_add_f32_e32 v49, v49, v77
	v_cvt_i32_f32_e32 v75, v80
	v_exp_f32_e32 v49, v49
	s_waitcnt lgkmcnt(0)
	v_max_f32_e32 v5, v5, v5
	v_max_f32_e32 v5, v48, v5
	v_cmp_ngt_f32_e32 vcc, s45, v47
	v_ldexp_f32 v48, v49, v75
	v_sub_f32_e32 v49, v76, v2
	v_mul_f32_e32 v75, 0x3fb8aa3b, v49
	v_fma_f32 v76, v49, s44, -v75
	v_rndne_f32_e32 v77, v75
	v_fmac_f32_e32 v76, 0x32a5705f, v49
	v_sub_f32_e32 v75, v75, v77
	v_add_f32_e32 v75, v75, v76
	v_exp_f32_e32 v75, v75
	v_cvt_i32_f32_e32 v76, v77
	v_cndmask_b32_e32 v48, 0, v48, vcc
	v_cmp_nlt_f32_e32 vcc, s46, v47
	v_cndmask_b32_e32 v47, v15, v48, vcc
	v_ldexp_f32 v48, v75, v76
	v_cmp_ngt_f32_e32 vcc, s45, v49
	v_cndmask_b32_e32 v48, 0, v48, vcc
	v_cvt_f16_f32_e32 v75, v47
	v_cmp_nlt_f32_e32 vcc, s46, v49
	v_cndmask_b32_e32 v49, v15, v48, vcc
	v_cvt_f16_f32_e32 v76, v49
	v_fmac_f32_e32 v49, v74, v47
	v_sub_f32_e32 v47, v73, v3
	v_mul_f32_e32 v48, 0x3fb8aa3b, v47
	v_mul_u32_u24_e32 v74, 0x10001, v75
	v_fma_f32 v73, v47, s44, -v48
	v_rndne_f32_e32 v75, v48
	v_fmac_f32_e32 v73, 0x32a5705f, v47
	v_sub_f32_e32 v48, v48, v75
	v_add_f32_e32 v48, v48, v73
	v_exp_f32_e32 v48, v48
	v_cvt_i32_f32_e32 v73, v75
	v_pk_mul_f16 v91, v44, v74
	v_sub_f32_e32 v44, v79, v3
	v_pk_mul_f16 v92, v42, v74
	v_pk_mul_f16 v42, v43, v74
	v_ldexp_f32 v43, v48, v73
	v_mul_f32_e32 v48, 0x3fb8aa3b, v44
	v_fma_f32 v73, v44, s44, -v48
	v_rndne_f32_e32 v75, v48
	v_fmac_f32_e32 v73, 0x32a5705f, v44
	v_sub_f32_e32 v48, v48, v75
	v_add_f32_e32 v48, v48, v73
	v_exp_f32_e32 v48, v48
	v_cvt_i32_f32_e32 v73, v75
	v_cmp_ngt_f32_e32 vcc, s45, v47
	v_cndmask_b32_e32 v43, 0, v43, vcc
	v_cmp_nlt_f32_e32 vcc, s46, v47
	v_cndmask_b32_e32 v43, v15, v43, vcc
	v_ldexp_f32 v47, v48, v73
	v_cmp_ngt_f32_e32 vcc, s45, v44
	s_lshl_b64 s[6:7], s[6:7], 2
	v_cndmask_b32_e32 v47, 0, v47, vcc
	v_cmp_nlt_f32_e32 vcc, s46, v44
	s_add_u32 s6, s16, s6
	v_cndmask_b32_e32 v48, v15, v47, vcc
	s_addc_u32 s7, s17, s7
	v_cvt_f16_f32_e32 v73, v43
	v_cvt_f16_f32_e32 v75, v48
	v_fmac_f32_e32 v48, v72, v43
	v_mov_b32_e32 v43, s7
	v_add_co_u32_e32 v44, vcc, s6, v10
	v_addc_co_u32_e32 v47, vcc, v43, v11, vcc
	v_add_co_u32_e32 v43, vcc, v44, v25
	v_addc_co_u32_e32 v44, vcc, 0, v47, vcc
	v_mov_b32_e32 v47, s7
	v_add_co_u32_e32 v72, vcc, s6, v12
	v_addc_co_u32_e32 v47, vcc, v47, v13, vcc
	v_add_co_u32_e32 v72, vcc, v72, v25
	s_barrier
	v_mul_u32_u24_e32 v93, 0x10001, v73
	v_addc_co_u32_e32 v73, vcc, 0, v47, vcc
	global_load_dwordx4 v[79:82], v[43:44], off
	global_load_dwordx4 v[83:86], v[72:73], off
	v_sub_f32_e32 v43, v71, v4
	v_mul_f32_e32 v44, 0x3fb8aa3b, v43
	v_fma_f32 v47, v43, s44, -v44
	v_rndne_f32_e32 v71, v44
	v_fmac_f32_e32 v47, 0x32a5705f, v43
	v_sub_f32_e32 v44, v44, v71
	v_add_f32_e32 v44, v44, v47
	v_exp_f32_e32 v44, v44
	v_cvt_i32_f32_e32 v47, v71
	v_cmp_ngt_f32_e32 vcc, s45, v43
	v_pk_mul_f16 v40, v40, v93
	v_pk_mul_f16 v38, v38, v93
	v_ldexp_f32 v44, v44, v47
	v_sub_f32_e32 v47, v50, v4
	v_mul_f32_e32 v50, 0x3fb8aa3b, v47
	v_fma_f32 v71, v47, s44, -v50
	v_rndne_f32_e32 v72, v50
	v_fmac_f32_e32 v71, 0x32a5705f, v47
	v_sub_f32_e32 v50, v50, v72
	v_add_f32_e32 v50, v50, v71
	v_exp_f32_e32 v50, v50
	v_cvt_i32_f32_e32 v71, v72
	v_cndmask_b32_e32 v44, 0, v44, vcc
	v_cmp_nlt_f32_e32 vcc, s46, v43
	v_cndmask_b32_e32 v43, v15, v44, vcc
	v_ldexp_f32 v44, v50, v71
	v_cvt_f16_f32_e32 v71, v43
	v_cmp_ngt_f32_e32 vcc, s45, v47
	v_cndmask_b32_e32 v44, 0, v44, vcc
	v_cmp_nlt_f32_e32 vcc, s46, v47
	v_sub_f32_e32 v47, v69, v5
	v_cndmask_b32_e32 v50, v15, v44, vcc
	v_mul_f32_e32 v69, 0x3fb8aa3b, v47
	v_cvt_f16_f32_e32 v44, v50
	v_fmac_f32_e32 v50, v70, v43
	v_mul_u32_u24_e32 v43, 0x10001, v71
	v_fma_f32 v70, v47, s44, -v69
	v_rndne_f32_e32 v71, v69
	v_fmac_f32_e32 v70, 0x32a5705f, v47
	v_sub_f32_e32 v69, v69, v71
	v_add_f32_e32 v69, v69, v70
	v_exp_f32_e32 v69, v69
	v_cvt_i32_f32_e32 v70, v71
	v_cmp_ngt_f32_e32 vcc, s45, v47
	v_pk_mul_f16 v39, v39, v93
	v_pk_mul_f16 v35, v35, v43
	v_ldexp_f32 v69, v69, v70
	v_sub_f32_e32 v70, v78, v5
	v_mul_f32_e32 v71, 0x3fb8aa3b, v70
	v_fma_f32 v72, v70, s44, -v71
	v_rndne_f32_e32 v73, v71
	v_fmac_f32_e32 v72, 0x32a5705f, v70
	v_sub_f32_e32 v71, v71, v73
	v_add_f32_e32 v71, v71, v72
	v_exp_f32_e32 v71, v71
	v_cvt_i32_f32_e32 v72, v73
	v_cndmask_b32_e32 v69, 0, v69, vcc
	v_cmp_nlt_f32_e32 vcc, s46, v47
	v_cndmask_b32_e32 v69, v15, v69, vcc
	v_ldexp_f32 v47, v71, v72
	v_cmp_ngt_f32_e32 vcc, s45, v70
	v_cndmask_b32_e32 v47, 0, v47, vcc
	v_cmp_nlt_f32_e32 vcc, s46, v70
	v_cvt_f16_f32_e32 v71, v69
	v_cndmask_b32_e32 v47, v15, v47, vcc
	v_cvt_f16_f32_e32 v70, v47
	v_fmac_f32_e32 v47, v68, v69
	v_mul_u32_u24_e32 v68, 0x10001, v71
	v_pk_mul_f16 v72, v30, v68
	v_pk_mul_f16 v73, v29, v68
	;; [unrolled: 1-line block ×3, first 2 shown]
	v_add_u32_e32 v30, v60, v26
	v_pack_b32_f16 v29, v44, v70
	v_pack_b32_f16 v28, v76, v75
	v_pk_mul_f16 v31, v31, v68
	ds_write_b64 v30, v[28:29]
	s_waitcnt vmcnt(1)
	ds_write_b128 v61, v[79:82]
	s_waitcnt vmcnt(0)
	ds_write_b128 v62, v[83:86]
	s_waitcnt lgkmcnt(0)
	s_barrier
	v_add_u32_e32 v30, 0x4000, v26
	ds_read_b128 v[68:71], v60
	ds_read2_b64 v[75:78], v30 offset1:32
	ds_read_b128 v[79:82], v60 offset:16
	ds_read_b128 v[83:86], v60 offset:32
	;; [unrolled: 1-line block ×3, first 2 shown]
	s_waitcnt lgkmcnt(4)
	v_mul_u32_u24_sdwa v28, v68, s48 dst_sel:DWORD dst_unused:UNUSED_PAD src0_sel:WORD_0 src1_sel:DWORD
	v_mul_u32_u24_sdwa v29, v68, s48 dst_sel:DWORD dst_unused:UNUSED_PAD src0_sel:WORD_1 src1_sel:DWORD
	v_mul_u32_u24_sdwa v44, v69, s48 dst_sel:DWORD dst_unused:UNUSED_PAD src0_sel:WORD_0 src1_sel:DWORD
	v_mul_u32_u24_sdwa v68, v69, s48 dst_sel:DWORD dst_unused:UNUSED_PAD src0_sel:WORD_1 src1_sel:DWORD
	s_waitcnt lgkmcnt(3)
	v_pk_mul_f16 v69, v75, v28
	v_pk_fma_f16 v37, v37, v74, v69
	v_pk_mul_f16 v69, v75, v29
	v_pk_mul_f16 v33, v33, v43
	;; [unrolled: 1-line block ×3, first 2 shown]
	v_pk_fma_f16 v36, v36, v93, v69
	v_pk_mul_f16 v69, v75, v44
	v_pk_fma_f16 v43, v32, v43, v69
	v_pk_fma_f16 v69, v75, v68, v72
	;; [unrolled: 1-line block ×10, first 2 shown]
	ds_read2_b64 v[31:34], v30 offset0:64 offset1:96
	v_pk_fma_f16 v75, v77, v28, v92
	v_pk_fma_f16 v73, v77, v68, v73
	;; [unrolled: 1-line block ×4, first 2 shown]
	v_mul_u32_u24_sdwa v44, v70, s48 dst_sel:DWORD dst_unused:UNUSED_PAD src0_sel:WORD_0 src1_sel:DWORD
	v_mul_u32_u24_sdwa v68, v70, s48 dst_sel:DWORD dst_unused:UNUSED_PAD src0_sel:WORD_1 src1_sel:DWORD
	v_mul_u32_u24_sdwa v70, v71, s48 dst_sel:DWORD dst_unused:UNUSED_PAD src0_sel:WORD_0 src1_sel:DWORD
	v_mul_u32_u24_sdwa v71, v71, s48 dst_sel:DWORD dst_unused:UNUSED_PAD src0_sel:WORD_1 src1_sel:DWORD
	s_waitcnt lgkmcnt(0)
	v_pk_fma_f16 v37, v31, v44, v37
	v_pk_fma_f16 v36, v31, v68, v36
	;; [unrolled: 1-line block ×16, first 2 shown]
	ds_read2_b64 v[31:34], v30 offset0:128 offset1:160
	v_mul_u32_u24_sdwa v44, v79, s48 dst_sel:DWORD dst_unused:UNUSED_PAD src0_sel:WORD_0 src1_sel:DWORD
	v_mul_u32_u24_sdwa v68, v79, s48 dst_sel:DWORD dst_unused:UNUSED_PAD src0_sel:WORD_1 src1_sel:DWORD
	v_mul_u32_u24_sdwa v70, v80, s48 dst_sel:DWORD dst_unused:UNUSED_PAD src0_sel:WORD_0 src1_sel:DWORD
	v_mul_u32_u24_sdwa v71, v80, s48 dst_sel:DWORD dst_unused:UNUSED_PAD src0_sel:WORD_1 src1_sel:DWORD
	s_waitcnt lgkmcnt(0)
	v_pk_fma_f16 v37, v31, v44, v37
	v_pk_fma_f16 v36, v31, v68, v36
	;; [unrolled: 1-line block ×16, first 2 shown]
	ds_read2_b64 v[31:34], v30 offset0:192 offset1:224
	v_mul_u32_u24_sdwa v44, v81, s48 dst_sel:DWORD dst_unused:UNUSED_PAD src0_sel:WORD_0 src1_sel:DWORD
	v_mul_u32_u24_sdwa v68, v81, s48 dst_sel:DWORD dst_unused:UNUSED_PAD src0_sel:WORD_1 src1_sel:DWORD
	v_mul_u32_u24_sdwa v70, v82, s48 dst_sel:DWORD dst_unused:UNUSED_PAD src0_sel:WORD_0 src1_sel:DWORD
	v_mul_u32_u24_sdwa v71, v82, s48 dst_sel:DWORD dst_unused:UNUSED_PAD src0_sel:WORD_1 src1_sel:DWORD
	s_waitcnt lgkmcnt(0)
	v_pk_fma_f16 v37, v31, v44, v37
	v_pk_fma_f16 v36, v31, v68, v36
	;; [unrolled: 1-line block ×4, first 2 shown]
	v_add_u32_e32 v31, 0x4800, v26
	v_pk_fma_f16 v72, v32, v44, v72
	v_pk_fma_f16 v40, v32, v68, v40
	;; [unrolled: 1-line block ×12, first 2 shown]
	ds_read2_b64 v[32:35], v31 offset1:32
	v_mul_u32_u24_sdwa v44, v83, s48 dst_sel:DWORD dst_unused:UNUSED_PAD src0_sel:WORD_0 src1_sel:DWORD
	v_mul_u32_u24_sdwa v68, v83, s48 dst_sel:DWORD dst_unused:UNUSED_PAD src0_sel:WORD_1 src1_sel:DWORD
	v_mul_u32_u24_sdwa v70, v84, s48 dst_sel:DWORD dst_unused:UNUSED_PAD src0_sel:WORD_0 src1_sel:DWORD
	v_mul_u32_u24_sdwa v71, v84, s48 dst_sel:DWORD dst_unused:UNUSED_PAD src0_sel:WORD_1 src1_sel:DWORD
	s_waitcnt lgkmcnt(0)
	v_pk_fma_f16 v37, v32, v44, v37
	v_pk_fma_f16 v36, v32, v68, v36
	v_pk_fma_f16 v43, v32, v70, v43
	v_pk_fma_f16 v69, v32, v71, v69
	v_pk_fma_f16 v72, v33, v44, v72
	v_pk_fma_f16 v40, v33, v68, v40
	v_pk_fma_f16 v77, v33, v70, v77
	v_pk_fma_f16 v74, v33, v71, v74
	v_pk_fma_f16 v75, v34, v44, v75
	v_pk_fma_f16 v38, v34, v68, v38
	v_pk_fma_f16 v76, v34, v70, v76
	v_pk_fma_f16 v73, v34, v71, v73
	v_pk_fma_f16 v28, v35, v44, v28
	v_pk_fma_f16 v29, v35, v68, v29
	v_pk_fma_f16 v39, v35, v70, v39
	v_pk_fma_f16 v42, v35, v71, v42
	ds_read2_b64 v[32:35], v31 offset0:64 offset1:96
	v_mul_u32_u24_sdwa v44, v85, s48 dst_sel:DWORD dst_unused:UNUSED_PAD src0_sel:WORD_0 src1_sel:DWORD
	v_mul_u32_u24_sdwa v68, v85, s48 dst_sel:DWORD dst_unused:UNUSED_PAD src0_sel:WORD_1 src1_sel:DWORD
	v_mul_u32_u24_sdwa v70, v86, s48 dst_sel:DWORD dst_unused:UNUSED_PAD src0_sel:WORD_0 src1_sel:DWORD
	v_mul_u32_u24_sdwa v71, v86, s48 dst_sel:DWORD dst_unused:UNUSED_PAD src0_sel:WORD_1 src1_sel:DWORD
	s_waitcnt lgkmcnt(0)
	v_pk_fma_f16 v37, v32, v44, v37
	v_pk_fma_f16 v36, v32, v68, v36
	v_pk_fma_f16 v43, v32, v70, v43
	v_pk_fma_f16 v69, v32, v71, v69
	v_pk_fma_f16 v72, v33, v44, v72
	v_pk_fma_f16 v40, v33, v68, v40
	v_pk_fma_f16 v77, v33, v70, v77
	v_pk_fma_f16 v74, v33, v71, v74
	v_pk_fma_f16 v75, v34, v44, v75
	v_pk_fma_f16 v38, v34, v68, v38
	v_pk_fma_f16 v76, v34, v70, v76
	v_pk_fma_f16 v73, v34, v71, v73
	v_pk_fma_f16 v28, v35, v44, v28
	v_pk_fma_f16 v29, v35, v68, v29
	v_pk_fma_f16 v39, v35, v70, v39
	v_pk_fma_f16 v42, v35, v71, v42
	ds_read2_b64 v[32:35], v31 offset0:128 offset1:160
	;; [unrolled: 22-line block ×3, first 2 shown]
	v_mul_u32_u24_sdwa v44, v89, s48 dst_sel:DWORD dst_unused:UNUSED_PAD src0_sel:WORD_0 src1_sel:DWORD
	v_mul_u32_u24_sdwa v68, v89, s48 dst_sel:DWORD dst_unused:UNUSED_PAD src0_sel:WORD_1 src1_sel:DWORD
	v_mul_u32_u24_sdwa v70, v90, s48 dst_sel:DWORD dst_unused:UNUSED_PAD src0_sel:WORD_0 src1_sel:DWORD
	v_mul_u32_u24_sdwa v71, v90, s48 dst_sel:DWORD dst_unused:UNUSED_PAD src0_sel:WORD_1 src1_sel:DWORD
	s_waitcnt lgkmcnt(0)
	v_pk_fma_f16 v78, v32, v44, v37
	v_pk_fma_f16 v79, v32, v68, v36
	;; [unrolled: 1-line block ×4, first 2 shown]
	ds_read_b128 v[36:39], v60 offset:64
	v_pk_fma_f16 v72, v33, v44, v72
	v_pk_fma_f16 v75, v34, v44, v75
	;; [unrolled: 1-line block ×3, first 2 shown]
	v_add_u32_e32 v28, 0x5000, v26
	v_pk_fma_f16 v43, v32, v70, v43
	v_pk_fma_f16 v80, v32, v71, v69
	;; [unrolled: 1-line block ×9, first 2 shown]
	ds_read2_b64 v[32:35], v28 offset1:32
	ds_read_b128 v[68:71], v60 offset:80
	s_waitcnt lgkmcnt(2)
	v_mul_u32_u24_sdwa v83, v36, s48 dst_sel:DWORD dst_unused:UNUSED_PAD src0_sel:WORD_0 src1_sel:DWORD
	v_mul_u32_u24_sdwa v36, v36, s48 dst_sel:DWORD dst_unused:UNUSED_PAD src0_sel:WORD_1 src1_sel:DWORD
	v_mul_u32_u24_sdwa v84, v37, s48 dst_sel:DWORD dst_unused:UNUSED_PAD src0_sel:WORD_0 src1_sel:DWORD
	v_mul_u32_u24_sdwa v37, v37, s48 dst_sel:DWORD dst_unused:UNUSED_PAD src0_sel:WORD_1 src1_sel:DWORD
	s_waitcnt lgkmcnt(1)
	v_pk_fma_f16 v78, v32, v83, v78
	v_pk_fma_f16 v79, v32, v36, v79
	v_pk_fma_f16 v43, v32, v84, v43
	v_pk_fma_f16 v80, v32, v37, v80
	v_pk_fma_f16 v72, v33, v83, v72
	v_pk_fma_f16 v40, v33, v36, v40
	v_pk_fma_f16 v77, v33, v84, v77
	v_pk_fma_f16 v74, v33, v37, v74
	v_pk_fma_f16 v75, v34, v83, v75
	v_pk_fma_f16 v81, v34, v36, v81
	v_pk_fma_f16 v76, v34, v84, v76
	v_pk_fma_f16 v73, v34, v37, v73
	v_pk_fma_f16 v44, v35, v83, v44
	v_pk_fma_f16 v29, v35, v36, v29
	v_pk_fma_f16 v36, v35, v84, v82
	v_pk_fma_f16 v37, v35, v37, v42
	ds_read2_b64 v[32:35], v28 offset0:64 offset1:96
	v_mul_u32_u24_sdwa v42, v38, s48 dst_sel:DWORD dst_unused:UNUSED_PAD src0_sel:WORD_0 src1_sel:DWORD
	v_mul_u32_u24_sdwa v38, v38, s48 dst_sel:DWORD dst_unused:UNUSED_PAD src0_sel:WORD_1 src1_sel:DWORD
	v_mul_u32_u24_sdwa v82, v39, s48 dst_sel:DWORD dst_unused:UNUSED_PAD src0_sel:WORD_0 src1_sel:DWORD
	v_mul_u32_u24_sdwa v39, v39, s48 dst_sel:DWORD dst_unused:UNUSED_PAD src0_sel:WORD_1 src1_sel:DWORD
	s_waitcnt lgkmcnt(0)
	v_pk_fma_f16 v78, v32, v42, v78
	v_pk_fma_f16 v79, v32, v38, v79
	v_pk_fma_f16 v43, v32, v82, v43
	v_pk_fma_f16 v80, v32, v39, v80
	v_pk_fma_f16 v72, v33, v42, v72
	v_pk_fma_f16 v40, v33, v38, v40
	v_pk_fma_f16 v77, v33, v82, v77
	v_pk_fma_f16 v74, v33, v39, v74
	v_pk_fma_f16 v75, v34, v42, v75
	v_pk_fma_f16 v81, v34, v38, v81
	v_pk_fma_f16 v76, v34, v82, v76
	v_pk_fma_f16 v73, v34, v39, v73
	v_pk_fma_f16 v42, v35, v42, v44
	v_pk_fma_f16 v29, v35, v38, v29
	v_pk_fma_f16 v36, v35, v82, v36
	v_pk_fma_f16 v37, v35, v39, v37
	ds_read2_b64 v[32:35], v28 offset0:128 offset1:160
	;; [unrolled: 22-line block ×3, first 2 shown]
	s_or_b32 s6, s22, 16
	s_mul_hi_i32 s7, s6, s8
	s_mul_i32 s6, s6, s8
	s_lshl_b64 s[6:7], s[6:7], 2
	s_add_u32 s6, s16, s6
	v_mul_u32_u24_sdwa v44, v71, s48 dst_sel:DWORD dst_unused:UNUSED_PAD src0_sel:WORD_0 src1_sel:DWORD
	v_mul_u32_u24_sdwa v68, v71, s48 dst_sel:DWORD dst_unused:UNUSED_PAD src0_sel:WORD_1 src1_sel:DWORD
	s_addc_u32 s7, s17, s7
	s_waitcnt lgkmcnt(0)
	v_pk_fma_f16 v94, v32, v44, v43
	v_pk_fma_f16 v105, v35, v68, v42
	v_mov_b32_e32 v42, s7
	v_add_co_u32_e32 v43, vcc, s6, v10
	v_addc_co_u32_e32 v84, vcc, v42, v11, vcc
	v_add_co_u32_e32 v42, vcc, v43, v25
	v_addc_co_u32_e32 v43, vcc, 0, v84, vcc
	v_mov_b32_e32 v84, s7
	v_add_co_u32_e32 v85, vcc, s6, v12
	v_addc_co_u32_e32 v84, vcc, v84, v13, vcc
	v_mul_u32_u24_sdwa v39, v70, s48 dst_sel:DWORD dst_unused:UNUSED_PAD src0_sel:WORD_1 src1_sel:DWORD
	v_add_co_u32_e32 v88, vcc, v85, v25
	v_mul_u32_u24_sdwa v37, v70, s48 dst_sel:DWORD dst_unused:UNUSED_PAD src0_sel:WORD_0 src1_sel:DWORD
	v_pk_fma_f16 v104, v35, v39, v29
	v_add_u32_e32 v29, 0x5800, v26
	v_addc_co_u32_e32 v89, vcc, 0, v84, vcc
	v_pk_fma_f16 v92, v32, v37, v69
	v_pk_fma_f16 v93, v32, v39, v78
	;; [unrolled: 1-line block ×13, first 2 shown]
	ds_read_b128 v[36:39], v60 offset:96
	ds_read2_b64 v[32:35], v29 offset1:32
	ds_read_b128 v[68:71], v60 offset:112
	ds_read2_b64 v[72:75], v29 offset0:64 offset1:96
	ds_read2_b64 v[76:79], v29 offset0:128 offset1:160
	;; [unrolled: 1-line block ×3, first 2 shown]
	s_waitcnt lgkmcnt(0)
	s_barrier
	global_load_dwordx4 v[84:87], v[42:43], off
	s_nop 0
	global_load_dwordx4 v[88:91], v[88:89], off
	v_mul_u32_u24_sdwa v106, v36, s48 dst_sel:DWORD dst_unused:UNUSED_PAD src0_sel:WORD_0 src1_sel:DWORD
	v_mul_u32_u24_sdwa v36, v36, s48 dst_sel:DWORD dst_unused:UNUSED_PAD src0_sel:WORD_1 src1_sel:DWORD
	v_mul_u32_u24_sdwa v42, v37, s48 dst_sel:DWORD dst_unused:UNUSED_PAD src0_sel:WORD_0 src1_sel:DWORD
	v_mul_u32_u24_sdwa v37, v37, s48 dst_sel:DWORD dst_unused:UNUSED_PAD src0_sel:WORD_1 src1_sel:DWORD
	v_pk_fma_f16 v43, v32, v106, v92
	v_pk_fma_f16 v92, v32, v36, v93
	v_pk_fma_f16 v93, v32, v42, v94
	v_pk_fma_f16 v32, v32, v37, v95
	v_pk_fma_f16 v94, v33, v106, v96
	v_pk_fma_f16 v40, v33, v36, v40
	v_pk_fma_f16 v95, v33, v42, v97
	v_pk_fma_f16 v33, v33, v37, v98
	v_pk_fma_f16 v96, v34, v106, v99
	v_pk_fma_f16 v97, v34, v36, v100
	v_pk_fma_f16 v98, v34, v42, v101
	v_pk_fma_f16 v34, v34, v37, v102
	v_pk_fma_f16 v99, v35, v106, v103
	v_pk_fma_f16 v36, v35, v36, v104
	v_pk_fma_f16 v42, v35, v42, v44
	v_pk_fma_f16 v35, v35, v37, v105
	v_mul_u32_u24_sdwa v37, v38, s48 dst_sel:DWORD dst_unused:UNUSED_PAD src0_sel:WORD_0 src1_sel:DWORD
	v_mul_u32_u24_sdwa v38, v38, s48 dst_sel:DWORD dst_unused:UNUSED_PAD src0_sel:WORD_1 src1_sel:DWORD
	v_mul_u32_u24_sdwa v44, v39, s48 dst_sel:DWORD dst_unused:UNUSED_PAD src0_sel:WORD_0 src1_sel:DWORD
	v_mul_u32_u24_sdwa v39, v39, s48 dst_sel:DWORD dst_unused:UNUSED_PAD src0_sel:WORD_1 src1_sel:DWORD
	v_pk_fma_f16 v43, v72, v37, v43
	v_pk_fma_f16 v92, v72, v38, v92
	v_pk_fma_f16 v93, v72, v44, v93
	v_pk_fma_f16 v32, v72, v39, v32
	v_pk_fma_f16 v72, v73, v37, v94
	v_pk_fma_f16 v40, v73, v38, v40
	v_pk_fma_f16 v94, v73, v44, v95
	v_pk_fma_f16 v33, v73, v39, v33
	v_pk_fma_f16 v73, v74, v37, v96
	v_pk_fma_f16 v95, v74, v38, v97
	v_pk_fma_f16 v96, v74, v44, v98
	v_pk_fma_f16 v34, v74, v39, v34
	v_pk_fma_f16 v37, v75, v37, v99
	v_pk_fma_f16 v36, v75, v38, v36
	v_pk_fma_f16 v38, v75, v44, v42
	v_pk_fma_f16 v35, v75, v39, v35
	;; [unrolled: 20-line block ×4, first 2 shown]
	s_waitcnt vmcnt(1)
	ds_write_b128 v61, v[84:87]
	s_waitcnt vmcnt(0)
	ds_write_b128 v62, v[88:91]
	s_waitcnt lgkmcnt(0)
	s_barrier
	ds_read_b128 v[32:35], v60 offset:128
	ds_read2_b64 v[36:39], v30 offset1:32
	ds_read_b128 v[68:71], v60 offset:144
	ds_read_b128 v[72:75], v60 offset:160
	;; [unrolled: 1-line block ×3, first 2 shown]
	s_waitcnt lgkmcnt(4)
	v_mul_u32_u24_sdwa v84, v32, s48 dst_sel:DWORD dst_unused:UNUSED_PAD src0_sel:WORD_0 src1_sel:DWORD
	v_mul_u32_u24_sdwa v32, v32, s48 dst_sel:DWORD dst_unused:UNUSED_PAD src0_sel:WORD_1 src1_sel:DWORD
	v_mul_u32_u24_sdwa v85, v33, s48 dst_sel:DWORD dst_unused:UNUSED_PAD src0_sel:WORD_0 src1_sel:DWORD
	v_mul_u32_u24_sdwa v33, v33, s48 dst_sel:DWORD dst_unused:UNUSED_PAD src0_sel:WORD_1 src1_sel:DWORD
	s_waitcnt lgkmcnt(3)
	v_pk_fma_f16 v43, v36, v84, v43
	v_pk_fma_f16 v86, v36, v32, v92
	v_pk_fma_f16 v87, v36, v85, v93
	v_pk_fma_f16 v80, v36, v33, v80
	v_pk_fma_f16 v88, v37, v84, v94
	v_pk_fma_f16 v40, v37, v32, v40
	v_pk_fma_f16 v89, v37, v85, v95
	v_pk_fma_f16 v81, v37, v33, v81
	v_pk_fma_f16 v90, v38, v84, v96
	v_pk_fma_f16 v91, v38, v32, v97
	v_pk_fma_f16 v92, v38, v85, v98
	v_pk_fma_f16 v82, v38, v33, v82
	v_pk_fma_f16 v84, v39, v84, v99
	v_pk_fma_f16 v32, v39, v32, v42
	v_pk_fma_f16 v42, v39, v85, v44
	v_pk_fma_f16 v33, v39, v33, v83
	ds_read2_b64 v[36:39], v30 offset0:64 offset1:96
	v_mul_u32_u24_sdwa v44, v34, s48 dst_sel:DWORD dst_unused:UNUSED_PAD src0_sel:WORD_0 src1_sel:DWORD
	v_mul_u32_u24_sdwa v34, v34, s48 dst_sel:DWORD dst_unused:UNUSED_PAD src0_sel:WORD_1 src1_sel:DWORD
	v_mul_u32_u24_sdwa v83, v35, s48 dst_sel:DWORD dst_unused:UNUSED_PAD src0_sel:WORD_0 src1_sel:DWORD
	v_mul_u32_u24_sdwa v35, v35, s48 dst_sel:DWORD dst_unused:UNUSED_PAD src0_sel:WORD_1 src1_sel:DWORD
	s_waitcnt lgkmcnt(0)
	v_pk_fma_f16 v43, v36, v44, v43
	v_pk_fma_f16 v85, v36, v34, v86
	v_pk_fma_f16 v86, v36, v83, v87
	v_pk_fma_f16 v36, v36, v35, v80
	v_pk_fma_f16 v80, v37, v44, v88
	v_pk_fma_f16 v40, v37, v34, v40
	v_pk_fma_f16 v87, v37, v83, v89
	v_pk_fma_f16 v37, v37, v35, v81
	v_pk_fma_f16 v81, v38, v44, v90
	v_pk_fma_f16 v88, v38, v34, v91
	v_pk_fma_f16 v89, v38, v83, v92
	v_pk_fma_f16 v38, v38, v35, v82
	v_pk_fma_f16 v44, v39, v44, v84
	v_pk_fma_f16 v82, v39, v34, v32
	v_pk_fma_f16 v42, v39, v83, v42
	v_pk_fma_f16 v39, v39, v35, v33
	ds_read2_b64 v[32:35], v30 offset0:128 offset1:160
	;; [unrolled: 22-line block ×3, first 2 shown]
	v_mul_u32_u24_sdwa v30, v70, s48 dst_sel:DWORD dst_unused:UNUSED_PAD src0_sel:WORD_0 src1_sel:DWORD
	v_mul_u32_u24_sdwa v69, v70, s48 dst_sel:DWORD dst_unused:UNUSED_PAD src0_sel:WORD_1 src1_sel:DWORD
	v_mul_u32_u24_sdwa v70, v71, s48 dst_sel:DWORD dst_unused:UNUSED_PAD src0_sel:WORD_0 src1_sel:DWORD
	v_mul_u32_u24_sdwa v71, v71, s48 dst_sel:DWORD dst_unused:UNUSED_PAD src0_sel:WORD_1 src1_sel:DWORD
	s_waitcnt lgkmcnt(0)
	v_pk_fma_f16 v43, v32, v30, v43
	v_pk_fma_f16 v82, v32, v69, v85
	;; [unrolled: 1-line block ×16, first 2 shown]
	ds_read2_b64 v[32:35], v31 offset1:32
	v_mul_u32_u24_sdwa v68, v72, s48 dst_sel:DWORD dst_unused:UNUSED_PAD src0_sel:WORD_0 src1_sel:DWORD
	v_mul_u32_u24_sdwa v69, v72, s48 dst_sel:DWORD dst_unused:UNUSED_PAD src0_sel:WORD_1 src1_sel:DWORD
	v_mul_u32_u24_sdwa v70, v73, s48 dst_sel:DWORD dst_unused:UNUSED_PAD src0_sel:WORD_0 src1_sel:DWORD
	v_mul_u32_u24_sdwa v71, v73, s48 dst_sel:DWORD dst_unused:UNUSED_PAD src0_sel:WORD_1 src1_sel:DWORD
	s_waitcnt lgkmcnt(0)
	v_pk_fma_f16 v43, v32, v68, v43
	v_pk_fma_f16 v72, v32, v69, v82
	;; [unrolled: 1-line block ×16, first 2 shown]
	ds_read2_b64 v[32:35], v31 offset0:64 offset1:96
	v_mul_u32_u24_sdwa v68, v74, s48 dst_sel:DWORD dst_unused:UNUSED_PAD src0_sel:WORD_0 src1_sel:DWORD
	v_mul_u32_u24_sdwa v69, v74, s48 dst_sel:DWORD dst_unused:UNUSED_PAD src0_sel:WORD_1 src1_sel:DWORD
	v_mul_u32_u24_sdwa v70, v75, s48 dst_sel:DWORD dst_unused:UNUSED_PAD src0_sel:WORD_0 src1_sel:DWORD
	v_mul_u32_u24_sdwa v71, v75, s48 dst_sel:DWORD dst_unused:UNUSED_PAD src0_sel:WORD_1 src1_sel:DWORD
	s_waitcnt lgkmcnt(0)
	v_pk_fma_f16 v43, v32, v68, v43
	v_pk_fma_f16 v72, v32, v69, v72
	v_pk_fma_f16 v73, v32, v70, v73
	v_pk_fma_f16 v36, v32, v71, v36
	v_pk_fma_f16 v74, v33, v68, v80
	v_pk_fma_f16 v40, v33, v69, v40
	v_pk_fma_f16 v75, v33, v70, v82
	v_pk_fma_f16 v37, v33, v71, v37
	v_pk_fma_f16 v80, v34, v68, v81
	v_pk_fma_f16 v81, v34, v69, v83
	v_pk_fma_f16 v82, v34, v70, v84
	v_pk_fma_f16 v38, v34, v71, v38
	v_pk_fma_f16 v30, v35, v68, v30
	v_pk_fma_f16 v44, v35, v69, v44
	v_pk_fma_f16 v42, v35, v70, v42
	v_pk_fma_f16 v39, v35, v71, v39
	ds_read2_b64 v[32:35], v31 offset0:128 offset1:160
	v_mul_u32_u24_sdwa v68, v76, s48 dst_sel:DWORD dst_unused:UNUSED_PAD src0_sel:WORD_0 src1_sel:DWORD
	v_mul_u32_u24_sdwa v69, v76, s48 dst_sel:DWORD dst_unused:UNUSED_PAD src0_sel:WORD_1 src1_sel:DWORD
	v_mul_u32_u24_sdwa v70, v77, s48 dst_sel:DWORD dst_unused:UNUSED_PAD src0_sel:WORD_0 src1_sel:DWORD
	v_mul_u32_u24_sdwa v71, v77, s48 dst_sel:DWORD dst_unused:UNUSED_PAD src0_sel:WORD_1 src1_sel:DWORD
	s_waitcnt lgkmcnt(0)
	v_pk_fma_f16 v43, v32, v68, v43
	v_pk_fma_f16 v72, v32, v69, v72
	;; [unrolled: 1-line block ×13, first 2 shown]
	ds_read2_b64 v[30:33], v31 offset0:192 offset1:224
	v_pk_fma_f16 v44, v35, v69, v44
	v_pk_fma_f16 v42, v35, v70, v42
	;; [unrolled: 1-line block ×3, first 2 shown]
	v_mul_u32_u24_sdwa v35, v78, s48 dst_sel:DWORD dst_unused:UNUSED_PAD src0_sel:WORD_0 src1_sel:DWORD
	v_mul_u32_u24_sdwa v70, v79, s48 dst_sel:DWORD dst_unused:UNUSED_PAD src0_sel:WORD_1 src1_sel:DWORD
	v_mul_u32_u24_sdwa v68, v78, s48 dst_sel:DWORD dst_unused:UNUSED_PAD src0_sel:WORD_1 src1_sel:DWORD
	v_mul_u32_u24_sdwa v69, v79, s48 dst_sel:DWORD dst_unused:UNUSED_PAD src0_sel:WORD_0 src1_sel:DWORD
	s_waitcnt lgkmcnt(0)
	v_pk_fma_f16 v43, v30, v35, v43
	v_pk_fma_f16 v78, v30, v70, v36
	;; [unrolled: 1-line block ×7, first 2 shown]
	ds_read_b128 v[34:37], v60 offset:192
	v_pk_fma_f16 v72, v30, v68, v72
	v_pk_fma_f16 v73, v30, v69, v73
	;; [unrolled: 1-line block ×9, first 2 shown]
	ds_read2_b64 v[30:33], v28 offset1:32
	ds_read_b128 v[68:71], v60 offset:208
	s_waitcnt lgkmcnt(2)
	v_mul_u32_u24_sdwa v82, v34, s48 dst_sel:DWORD dst_unused:UNUSED_PAD src0_sel:WORD_0 src1_sel:DWORD
	v_mul_u32_u24_sdwa v34, v34, s48 dst_sel:DWORD dst_unused:UNUSED_PAD src0_sel:WORD_1 src1_sel:DWORD
	v_mul_u32_u24_sdwa v83, v35, s48 dst_sel:DWORD dst_unused:UNUSED_PAD src0_sel:WORD_0 src1_sel:DWORD
	v_mul_u32_u24_sdwa v35, v35, s48 dst_sel:DWORD dst_unused:UNUSED_PAD src0_sel:WORD_1 src1_sel:DWORD
	s_waitcnt lgkmcnt(1)
	v_pk_fma_f16 v43, v30, v82, v43
	v_pk_fma_f16 v72, v30, v34, v72
	v_pk_fma_f16 v73, v30, v83, v73
	v_pk_fma_f16 v78, v30, v35, v78
	v_pk_fma_f16 v74, v31, v82, v74
	v_pk_fma_f16 v40, v31, v34, v40
	v_pk_fma_f16 v75, v31, v83, v75
	v_pk_fma_f16 v79, v31, v35, v79
	v_pk_fma_f16 v76, v32, v82, v76
	v_pk_fma_f16 v77, v32, v34, v77
	v_pk_fma_f16 v80, v32, v83, v80
	v_pk_fma_f16 v81, v32, v35, v81
	v_pk_fma_f16 v38, v33, v82, v38
	v_pk_fma_f16 v34, v33, v34, v44
	v_pk_fma_f16 v42, v33, v83, v42
	v_pk_fma_f16 v35, v33, v35, v39
	ds_read2_b64 v[30:33], v28 offset0:64 offset1:96
	v_mul_u32_u24_sdwa v39, v36, s48 dst_sel:DWORD dst_unused:UNUSED_PAD src0_sel:WORD_0 src1_sel:DWORD
	v_mul_u32_u24_sdwa v36, v36, s48 dst_sel:DWORD dst_unused:UNUSED_PAD src0_sel:WORD_1 src1_sel:DWORD
	v_mul_u32_u24_sdwa v44, v37, s48 dst_sel:DWORD dst_unused:UNUSED_PAD src0_sel:WORD_0 src1_sel:DWORD
	v_mul_u32_u24_sdwa v37, v37, s48 dst_sel:DWORD dst_unused:UNUSED_PAD src0_sel:WORD_1 src1_sel:DWORD
	s_waitcnt lgkmcnt(0)
	v_pk_fma_f16 v43, v30, v39, v43
	v_pk_fma_f16 v72, v30, v36, v72
	v_pk_fma_f16 v73, v30, v44, v73
	v_pk_fma_f16 v78, v30, v37, v78
	v_pk_fma_f16 v74, v31, v39, v74
	v_pk_fma_f16 v40, v31, v36, v40
	v_pk_fma_f16 v75, v31, v44, v75
	v_pk_fma_f16 v79, v31, v37, v79
	v_pk_fma_f16 v76, v32, v39, v76
	v_pk_fma_f16 v77, v32, v36, v77
	v_pk_fma_f16 v80, v32, v44, v80
	v_pk_fma_f16 v81, v32, v37, v81
	v_pk_fma_f16 v38, v33, v39, v38
	v_pk_fma_f16 v34, v33, v36, v34
	v_pk_fma_f16 v36, v33, v44, v42
	v_pk_fma_f16 v35, v33, v37, v35
	ds_read2_b64 v[30:33], v28 offset0:128 offset1:160
	;; [unrolled: 22-line block ×3, first 2 shown]
	v_mul_u32_u24_sdwa v28, v70, s48 dst_sel:DWORD dst_unused:UNUSED_PAD src0_sel:WORD_0 src1_sel:DWORD
	v_mul_u32_u24_sdwa v35, v70, s48 dst_sel:DWORD dst_unused:UNUSED_PAD src0_sel:WORD_1 src1_sel:DWORD
	v_mul_u32_u24_sdwa v42, v71, s48 dst_sel:DWORD dst_unused:UNUSED_PAD src0_sel:WORD_0 src1_sel:DWORD
	v_mul_u32_u24_sdwa v44, v71, s48 dst_sel:DWORD dst_unused:UNUSED_PAD src0_sel:WORD_1 src1_sel:DWORD
	s_waitcnt lgkmcnt(0)
	v_pk_fma_f16 v43, v30, v28, v43
	v_pk_fma_f16 v80, v30, v35, v68
	;; [unrolled: 1-line block ×8, first 2 shown]
	ds_read_b128 v[34:37], v60 offset:224
	v_pk_fma_f16 v81, v30, v42, v69
	v_pk_fma_f16 v72, v30, v44, v72
	;; [unrolled: 1-line block ×8, first 2 shown]
	ds_read2_b64 v[30:33], v29 offset1:32
	ds_read_b128 v[68:71], v60 offset:240
	s_waitcnt lgkmcnt(2)
	v_mul_u32_u24_sdwa v42, v34, s48 dst_sel:DWORD dst_unused:UNUSED_PAD src0_sel:WORD_0 src1_sel:DWORD
	v_mul_u32_u24_sdwa v34, v34, s48 dst_sel:DWORD dst_unused:UNUSED_PAD src0_sel:WORD_1 src1_sel:DWORD
	v_mul_u32_u24_sdwa v44, v35, s48 dst_sel:DWORD dst_unused:UNUSED_PAD src0_sel:WORD_0 src1_sel:DWORD
	v_mul_u32_u24_sdwa v35, v35, s48 dst_sel:DWORD dst_unused:UNUSED_PAD src0_sel:WORD_1 src1_sel:DWORD
	s_waitcnt lgkmcnt(1)
	v_pk_fma_f16 v43, v30, v42, v43
	v_pk_fma_f16 v80, v30, v34, v80
	;; [unrolled: 1-line block ×16, first 2 shown]
	ds_read2_b64 v[30:33], v29 offset0:64 offset1:96
	v_mul_u32_u24_sdwa v39, v36, s48 dst_sel:DWORD dst_unused:UNUSED_PAD src0_sel:WORD_0 src1_sel:DWORD
	v_mul_u32_u24_sdwa v36, v36, s48 dst_sel:DWORD dst_unused:UNUSED_PAD src0_sel:WORD_1 src1_sel:DWORD
	v_mul_u32_u24_sdwa v42, v37, s48 dst_sel:DWORD dst_unused:UNUSED_PAD src0_sel:WORD_0 src1_sel:DWORD
	v_mul_u32_u24_sdwa v37, v37, s48 dst_sel:DWORD dst_unused:UNUSED_PAD src0_sel:WORD_1 src1_sel:DWORD
	s_waitcnt lgkmcnt(0)
	v_pk_fma_f16 v43, v30, v39, v43
	v_pk_fma_f16 v44, v30, v36, v80
	;; [unrolled: 1-line block ×16, first 2 shown]
	ds_read2_b64 v[30:33], v29 offset0:128 offset1:160
	v_mul_u32_u24_sdwa v37, v68, s48 dst_sel:DWORD dst_unused:UNUSED_PAD src0_sel:WORD_0 src1_sel:DWORD
	v_mul_u32_u24_sdwa v38, v68, s48 dst_sel:DWORD dst_unused:UNUSED_PAD src0_sel:WORD_1 src1_sel:DWORD
	v_mul_u32_u24_sdwa v39, v69, s48 dst_sel:DWORD dst_unused:UNUSED_PAD src0_sel:WORD_0 src1_sel:DWORD
	v_mul_u32_u24_sdwa v42, v69, s48 dst_sel:DWORD dst_unused:UNUSED_PAD src0_sel:WORD_1 src1_sel:DWORD
	s_waitcnt lgkmcnt(0)
	v_pk_fma_f16 v43, v30, v37, v43
	v_pk_fma_f16 v44, v30, v38, v44
	;; [unrolled: 1-line block ×8, first 2 shown]
	ds_read2_b64 v[72:75], v29 offset0:192 offset1:224
	s_waitcnt lgkmcnt(0)
	s_barrier
	s_load_dword s6, s[12:13], 0x4
	v_pk_fma_f16 v76, v32, v37, v76
	v_pk_fma_f16 v77, v32, v38, v77
	;; [unrolled: 1-line block ×4, first 2 shown]
	s_waitcnt lgkmcnt(0)
	s_lshl_b32 s6, s6, 5
	v_pk_fma_f16 v28, v33, v37, v28
	v_pk_fma_f16 v34, v33, v38, v34
	;; [unrolled: 1-line block ×4, first 2 shown]
	v_mul_u32_u24_sdwa v39, v70, s48 dst_sel:DWORD dst_unused:UNUSED_PAD src0_sel:WORD_0 src1_sel:DWORD
	v_mul_u32_u24_sdwa v70, v70, s48 dst_sel:DWORD dst_unused:UNUSED_PAD src0_sel:WORD_1 src1_sel:DWORD
	v_mul_u32_u24_sdwa v83, v71, s48 dst_sel:DWORD dst_unused:UNUSED_PAD src0_sel:WORD_0 src1_sel:DWORD
	v_mul_u32_u24_sdwa v71, v71, s48 dst_sel:DWORD dst_unused:UNUSED_PAD src0_sel:WORD_1 src1_sel:DWORD
	s_add_i32 s22, s6, s22
	v_pk_fma_f16 v37, v72, v39, v43
	v_pk_fma_f16 v36, v72, v70, v44
	;; [unrolled: 1-line block ×15, first 2 shown]
	s_cmp_lt_i32 s22, s39
	v_pk_fma_f16 v28, v75, v71, v82
	s_cbranch_scc0 .LBB70_39
; %bb.37:                               ;   in Loop: Header=BB70_8 Depth=1
	v_mov_b32_e32 v75, v2
	v_mov_b32_e32 v73, v3
	;; [unrolled: 1-line block ×8, first 2 shown]
	s_branch .LBB70_8
.LBB70_38:
	v_mov_b32_e32 v2, 0xfeffffff
	v_mov_b32_e32 v3, v2
	;; [unrolled: 1-line block ×23, first 2 shown]
.LBB70_39:
	s_cmp_gt_i32 s42, s22
	s_cbranch_scc1 .LBB70_41
; %bb.40:
	v_mbcnt_hi_u32_b32 v53, -1, v46
	v_and_b32_e32 v6, 0x60, v53
	v_add_u32_e32 v54, 32, v6
	v_xor_b32_e32 v55, 16, v53
	v_xor_b32_e32 v56, 8, v53
	;; [unrolled: 1-line block ×5, first 2 shown]
	s_cbranch_execz .LBB70_42
	s_branch .LBB70_79
.LBB70_41:
                                        ; implicit-def: $vgpr53
                                        ; implicit-def: $vgpr54
                                        ; implicit-def: $vgpr55
                                        ; implicit-def: $vgpr56
                                        ; implicit-def: $vgpr57
                                        ; implicit-def: $vgpr58
                                        ; implicit-def: $vgpr59
.LBB70_42:
	v_lshl_add_u32 v12, v1, 1, v52
	v_mul_lo_u32 v10, s36, v12
	s_mul_hi_i32 s11, s22, s36
	s_mul_i32 s10, s22, s36
	s_sub_i32 s14, s42, s22
	s_lshl_b64 s[10:11], s[10:11], 2
	v_ashrrev_i32_e32 v11, 31, v10
	s_add_u32 s10, s37, s10
	v_lshlrev_b64 v[6:7], 2, v[10:11]
	s_addc_u32 s11, s38, s11
	v_mov_b32_e32 v8, s11
	v_add_co_u32_e32 v6, vcc, s10, v6
	v_lshlrev_b32_e32 v13, 2, v51
	v_addc_co_u32_e32 v7, vcc, v8, v7, vcc
	s_mov_b64 s[6:7], src_private_base
	v_add_co_u32_e32 v61, vcc, v6, v13
	v_mov_b32_e32 v55, 0
	v_addc_co_u32_e32 v62, vcc, 0, v7, vcc
	v_mov_b32_e32 v57, s7
	v_cmp_gt_i32_e64 s[6:7], s14, v12
	v_mov_b32_e32 v58, 0
	buffer_store_dword v55, off, s[0:3], 0
	buffer_store_dword v55, off, s[0:3], 0 offset:4
	buffer_store_dword v55, off, s[0:3], 0 offset:8
	;; [unrolled: 1-line block ×3, first 2 shown]
	v_cndmask_b32_e64 v7, v57, v62, s[6:7]
	v_cndmask_b32_e64 v6, v58, v61, s[6:7]
	flat_load_dwordx4 v[6:9], v[6:7]
	v_lshl_add_u32 v10, s36, 4, v10
	v_ashrrev_i32_e32 v11, 31, v10
	v_lshlrev_b64 v[10:11], 2, v[10:11]
	v_mov_b32_e32 v15, s11
	v_add_co_u32_e32 v10, vcc, s10, v10
	v_addc_co_u32_e32 v11, vcc, v15, v11, vcc
	s_movk_i32 s12, 0x110
	v_add_co_u32_e32 v59, vcc, v10, v13
	v_mad_u32_u24 v56, v12, s12, v13
	v_add_u32_e32 v12, 16, v12
	v_addc_co_u32_e32 v60, vcc, 0, v11, vcc
	v_cmp_gt_i32_e32 vcc, s14, v12
	buffer_store_dword v55, off, s[0:3], 0
	buffer_store_dword v55, off, s[0:3], 0 offset:4
	buffer_store_dword v55, off, s[0:3], 0 offset:8
	;; [unrolled: 1-line block ×3, first 2 shown]
	v_cndmask_b32_e32 v11, v57, v60, vcc
	v_cndmask_b32_e32 v10, v58, v59, vcc
	v_mul_u32_u24_e32 v54, 0x110, v0
	v_mov_b32_e32 v53, 0
	v_mov_b32_e32 v52, 0
	;; [unrolled: 1-line block ×4, first 2 shown]
	s_movk_i32 s12, 0x100
	s_waitcnt vmcnt(0) lgkmcnt(0)
	ds_write_b128 v56, v[6:9] offset:16384
	flat_load_dwordx4 v[6:9], v[10:11]
	s_waitcnt vmcnt(0) lgkmcnt(0)
	ds_write_b128 v56, v[6:9] offset:20736
	s_waitcnt lgkmcnt(0)
	s_barrier
	ds_read_b128 v[6:9], v54 offset:16384
	ds_read_b128 v[10:13], v45
	ds_read_b128 v[63:66], v45 offset:512
	ds_read_b128 v[67:70], v45 offset:1024
	ds_read_b128 v[71:74], v45 offset:1536
	s_waitcnt lgkmcnt(3)
	;;#ASMSTART
	v_dot2_f32_f16 v53, v6, v10, v53
	;;#ASMEND
	;;#ASMSTART
	v_dot2_f32_f16 v53, v7, v11, v53
	;;#ASMEND
	;;#ASMSTART
	v_dot2_f32_f16 v53, v8, v12, v53
	;;#ASMEND
	;;#ASMSTART
	v_dot2_f32_f16 v53, v9, v13, v53
	;;#ASMEND
	s_waitcnt lgkmcnt(2)
	;;#ASMSTART
	v_dot2_f32_f16 v52, v6, v63, v52
	;;#ASMEND
	;;#ASMSTART
	v_dot2_f32_f16 v52, v7, v64, v52
	;;#ASMEND
	;;#ASMSTART
	v_dot2_f32_f16 v52, v8, v65, v52
	;;#ASMEND
	;;#ASMSTART
	v_dot2_f32_f16 v52, v9, v66, v52
	;;#ASMEND
	s_waitcnt lgkmcnt(1)
	;;#ASMSTART
	v_dot2_f32_f16 v51, v6, v67, v51
	;;#ASMEND
	;;#ASMSTART
	v_dot2_f32_f16 v51, v7, v68, v51
	;;#ASMEND
	;;#ASMSTART
	v_dot2_f32_f16 v51, v8, v69, v51
	;;#ASMEND
	;;#ASMSTART
	v_dot2_f32_f16 v51, v9, v70, v51
	;;#ASMEND
	s_waitcnt lgkmcnt(0)
	;;#ASMSTART
	v_dot2_f32_f16 v15, v6, v71, v15
	;;#ASMEND
	;;#ASMSTART
	v_dot2_f32_f16 v15, v7, v72, v15
	;;#ASMEND
	;;#ASMSTART
	v_dot2_f32_f16 v15, v8, v73, v15
	;;#ASMEND
	;;#ASMSTART
	v_dot2_f32_f16 v15, v9, v74, v15
	;;#ASMEND
	ds_read_b128 v[6:9], v54 offset:16400
	ds_read_b128 v[10:13], v45 offset:16
	ds_read_b128 v[63:66], v45 offset:528
	ds_read_b128 v[67:70], v45 offset:1040
	ds_read_b128 v[71:74], v45 offset:1552
	s_waitcnt lgkmcnt(3)
	;;#ASMSTART
	v_dot2_f32_f16 v53, v6, v10, v53
	;;#ASMEND
	;;#ASMSTART
	v_dot2_f32_f16 v53, v7, v11, v53
	;;#ASMEND
	;;#ASMSTART
	v_dot2_f32_f16 v53, v8, v12, v53
	;;#ASMEND
	;;#ASMSTART
	v_dot2_f32_f16 v53, v9, v13, v53
	;;#ASMEND
	s_waitcnt lgkmcnt(2)
	;;#ASMSTART
	v_dot2_f32_f16 v52, v6, v63, v52
	;;#ASMEND
	;;#ASMSTART
	v_dot2_f32_f16 v52, v7, v64, v52
	;;#ASMEND
	;;#ASMSTART
	v_dot2_f32_f16 v52, v8, v65, v52
	;;#ASMEND
	;;#ASMSTART
	v_dot2_f32_f16 v52, v9, v66, v52
	;;#ASMEND
	s_waitcnt lgkmcnt(1)
	;;#ASMSTART
	v_dot2_f32_f16 v51, v6, v67, v51
	;;#ASMEND
	;;#ASMSTART
	v_dot2_f32_f16 v51, v7, v68, v51
	;;#ASMEND
	;;#ASMSTART
	v_dot2_f32_f16 v51, v8, v69, v51
	;;#ASMEND
	;;#ASMSTART
	v_dot2_f32_f16 v51, v9, v70, v51
	;;#ASMEND
	s_waitcnt lgkmcnt(0)
	;;#ASMSTART
	v_dot2_f32_f16 v15, v6, v71, v15
	;;#ASMEND
	;;#ASMSTART
	v_dot2_f32_f16 v15, v7, v72, v15
	;;#ASMEND
	;;#ASMSTART
	v_dot2_f32_f16 v15, v8, v73, v15
	;;#ASMEND
	;;#ASMSTART
	v_dot2_f32_f16 v15, v9, v74, v15
	;;#ASMEND
	ds_read_b128 v[6:9], v54 offset:16416
	ds_read_b128 v[10:13], v45 offset:32
	;; [unrolled: 57-line block ×13, first 2 shown]
	v_add_co_u32_e64 v73, s[10:11], s12, v61
	v_addc_co_u32_e64 v74, s[10:11], 0, v62, s[10:11]
	ds_read_b128 v[61:64], v45 offset:720
	ds_read_b128 v[65:68], v45 offset:1232
	;; [unrolled: 1-line block ×3, first 2 shown]
	s_waitcnt lgkmcnt(3)
	;;#ASMSTART
	v_dot2_f32_f16 v53, v6, v10, v53
	;;#ASMEND
	;;#ASMSTART
	v_dot2_f32_f16 v53, v7, v11, v53
	;;#ASMEND
	;;#ASMSTART
	v_dot2_f32_f16 v53, v8, v12, v53
	;;#ASMEND
	;;#ASMSTART
	v_dot2_f32_f16 v53, v9, v13, v53
	;;#ASMEND
	s_waitcnt lgkmcnt(2)
	;;#ASMSTART
	v_dot2_f32_f16 v52, v6, v61, v52
	;;#ASMEND
	;;#ASMSTART
	v_dot2_f32_f16 v52, v7, v62, v52
	;;#ASMEND
	;;#ASMSTART
	v_dot2_f32_f16 v52, v8, v63, v52
	;;#ASMEND
	;;#ASMSTART
	v_dot2_f32_f16 v52, v9, v64, v52
	;;#ASMEND
	;; [unrolled: 13-line block ×4, first 2 shown]
	ds_read_b128 v[6:9], v54 offset:16608
	ds_read_b128 v[10:13], v45 offset:224
	;; [unrolled: 1-line block ×5, first 2 shown]
	s_waitcnt lgkmcnt(3)
	;;#ASMSTART
	v_dot2_f32_f16 v53, v6, v10, v53
	;;#ASMEND
	;;#ASMSTART
	v_dot2_f32_f16 v53, v7, v11, v53
	;;#ASMEND
	;;#ASMSTART
	v_dot2_f32_f16 v53, v8, v12, v53
	;;#ASMEND
	;;#ASMSTART
	v_dot2_f32_f16 v53, v9, v13, v53
	;;#ASMEND
	s_waitcnt lgkmcnt(2)
	;;#ASMSTART
	v_dot2_f32_f16 v52, v6, v61, v52
	;;#ASMEND
	;;#ASMSTART
	v_dot2_f32_f16 v52, v7, v62, v52
	;;#ASMEND
	;;#ASMSTART
	v_dot2_f32_f16 v52, v8, v63, v52
	;;#ASMEND
	;;#ASMSTART
	v_dot2_f32_f16 v52, v9, v64, v52
	;;#ASMEND
	;; [unrolled: 13-line block ×4, first 2 shown]
	ds_read_b128 v[6:9], v54 offset:16624
	ds_read_b128 v[10:13], v45 offset:240
	ds_read_b128 v[61:64], v45 offset:752
	ds_read_b128 v[65:68], v45 offset:1264
	ds_read_b128 v[69:72], v45 offset:1776
	s_waitcnt lgkmcnt(3)
	;;#ASMSTART
	v_dot2_f32_f16 v53, v6, v10, v53
	;;#ASMEND
	;;#ASMSTART
	v_dot2_f32_f16 v53, v7, v11, v53
	;;#ASMEND
	;;#ASMSTART
	v_dot2_f32_f16 v53, v8, v12, v53
	;;#ASMEND
	;;#ASMSTART
	v_dot2_f32_f16 v53, v9, v13, v53
	;;#ASMEND
	s_waitcnt lgkmcnt(2)
	;;#ASMSTART
	v_dot2_f32_f16 v52, v6, v61, v52
	;;#ASMEND
	;;#ASMSTART
	v_dot2_f32_f16 v52, v7, v62, v52
	;;#ASMEND
	;;#ASMSTART
	v_dot2_f32_f16 v52, v8, v63, v52
	;;#ASMEND
	;;#ASMSTART
	v_dot2_f32_f16 v52, v9, v64, v52
	;;#ASMEND
	;; [unrolled: 13-line block ×3, first 2 shown]
	s_waitcnt lgkmcnt(0)
	;;#ASMSTART
	v_dot2_f32_f16 v15, v6, v69, v15
	;;#ASMEND
	;;#ASMSTART
	v_dot2_f32_f16 v15, v7, v70, v15
	;;#ASMEND
	;; [unrolled: 3-line block ×3, first 2 shown]
	v_cndmask_b32_e64 v74, v57, v74, s[6:7]
	v_cndmask_b32_e64 v73, v58, v73, s[6:7]
	;;#ASMSTART
	v_dot2_f32_f16 v15, v9, v72, v15
	;;#ASMEND
	s_barrier
	buffer_store_dword v55, off, s[0:3], 0
	buffer_store_dword v55, off, s[0:3], 0 offset:4
	buffer_store_dword v55, off, s[0:3], 0 offset:8
	;; [unrolled: 1-line block ×3, first 2 shown]
	flat_load_dwordx4 v[6:9], v[73:74]
	v_add_co_u32_e64 v10, s[6:7], s12, v59
	v_addc_co_u32_e64 v11, s[6:7], 0, v60, s[6:7]
	v_cndmask_b32_e32 v11, v57, v11, vcc
	v_cndmask_b32_e32 v10, v58, v10, vcc
	buffer_store_dword v55, off, s[0:3], 0
	buffer_store_dword v55, off, s[0:3], 0 offset:4
	buffer_store_dword v55, off, s[0:3], 0 offset:8
	;; [unrolled: 1-line block ×3, first 2 shown]
	s_mov_b32 s6, 0x3f200000
	s_waitcnt vmcnt(0) lgkmcnt(0)
	ds_write_b128 v56, v[6:9] offset:16384
	flat_load_dwordx4 v[6:9], v[10:11]
	s_waitcnt vmcnt(0) lgkmcnt(0)
	ds_write_b128 v56, v[6:9] offset:20736
	s_waitcnt lgkmcnt(0)
	s_barrier
	ds_read_b128 v[6:9], v54 offset:16384
	ds_read_b128 v[10:13], v45 offset:256
	ds_read_b128 v[55:58], v45 offset:768
	ds_read_b128 v[59:62], v45 offset:1280
	ds_read_b128 v[63:66], v45 offset:1792
	s_waitcnt lgkmcnt(3)
	;;#ASMSTART
	v_dot2_f32_f16 v53, v6, v10, v53
	;;#ASMEND
	;;#ASMSTART
	v_dot2_f32_f16 v53, v7, v11, v53
	;;#ASMEND
	;;#ASMSTART
	v_dot2_f32_f16 v53, v8, v12, v53
	;;#ASMEND
	;;#ASMSTART
	v_dot2_f32_f16 v53, v9, v13, v53
	;;#ASMEND
	s_waitcnt lgkmcnt(2)
	;;#ASMSTART
	v_dot2_f32_f16 v52, v6, v55, v52
	;;#ASMEND
	;;#ASMSTART
	v_dot2_f32_f16 v52, v7, v56, v52
	;;#ASMEND
	;;#ASMSTART
	v_dot2_f32_f16 v52, v8, v57, v52
	;;#ASMEND
	;;#ASMSTART
	v_dot2_f32_f16 v52, v9, v58, v52
	;;#ASMEND
	s_waitcnt lgkmcnt(1)
	;;#ASMSTART
	v_dot2_f32_f16 v51, v6, v59, v51
	;;#ASMEND
	;;#ASMSTART
	v_dot2_f32_f16 v51, v7, v60, v51
	;;#ASMEND
	;;#ASMSTART
	v_dot2_f32_f16 v51, v8, v61, v51
	;;#ASMEND
	;;#ASMSTART
	v_dot2_f32_f16 v51, v9, v62, v51
	;;#ASMEND
	s_waitcnt lgkmcnt(0)
	;;#ASMSTART
	v_dot2_f32_f16 v15, v6, v63, v15
	;;#ASMEND
	;;#ASMSTART
	v_dot2_f32_f16 v15, v7, v64, v15
	;;#ASMEND
	;;#ASMSTART
	v_dot2_f32_f16 v15, v8, v65, v15
	;;#ASMEND
	;;#ASMSTART
	v_dot2_f32_f16 v15, v9, v66, v15
	;;#ASMEND
	ds_read_b128 v[6:9], v54 offset:16400
	ds_read_b128 v[10:13], v45 offset:272
	ds_read_b128 v[55:58], v45 offset:784
	ds_read_b128 v[59:62], v45 offset:1296
	ds_read_b128 v[63:66], v45 offset:1808
	s_waitcnt lgkmcnt(3)
	;;#ASMSTART
	v_dot2_f32_f16 v53, v6, v10, v53
	;;#ASMEND
	;;#ASMSTART
	v_dot2_f32_f16 v53, v7, v11, v53
	;;#ASMEND
	;;#ASMSTART
	v_dot2_f32_f16 v53, v8, v12, v53
	;;#ASMEND
	;;#ASMSTART
	v_dot2_f32_f16 v53, v9, v13, v53
	;;#ASMEND
	s_waitcnt lgkmcnt(2)
	;;#ASMSTART
	v_dot2_f32_f16 v52, v6, v55, v52
	;;#ASMEND
	;;#ASMSTART
	v_dot2_f32_f16 v52, v7, v56, v52
	;;#ASMEND
	;;#ASMSTART
	v_dot2_f32_f16 v52, v8, v57, v52
	;;#ASMEND
	;;#ASMSTART
	v_dot2_f32_f16 v52, v9, v58, v52
	;;#ASMEND
	s_waitcnt lgkmcnt(1)
	;;#ASMSTART
	v_dot2_f32_f16 v51, v6, v59, v51
	;;#ASMEND
	;;#ASMSTART
	v_dot2_f32_f16 v51, v7, v60, v51
	;;#ASMEND
	;;#ASMSTART
	v_dot2_f32_f16 v51, v8, v61, v51
	;;#ASMEND
	;;#ASMSTART
	v_dot2_f32_f16 v51, v9, v62, v51
	;;#ASMEND
	s_waitcnt lgkmcnt(0)
	;;#ASMSTART
	v_dot2_f32_f16 v15, v6, v63, v15
	;;#ASMEND
	;;#ASMSTART
	v_dot2_f32_f16 v15, v7, v64, v15
	;;#ASMEND
	;;#ASMSTART
	v_dot2_f32_f16 v15, v8, v65, v15
	;;#ASMEND
	;;#ASMSTART
	v_dot2_f32_f16 v15, v9, v66, v15
	;;#ASMEND
	;; [unrolled: 57-line block ×15, first 2 shown]
	ds_read_b128 v[6:9], v54 offset:16624
	ds_read_b128 v[10:13], v45 offset:496
	;; [unrolled: 1-line block ×5, first 2 shown]
	s_waitcnt lgkmcnt(3)
	;;#ASMSTART
	v_dot2_f32_f16 v53, v6, v10, v53
	;;#ASMEND
	;;#ASMSTART
	v_dot2_f32_f16 v53, v7, v11, v53
	;;#ASMEND
	;;#ASMSTART
	v_dot2_f32_f16 v53, v8, v12, v53
	;;#ASMEND
	;;#ASMSTART
	v_dot2_f32_f16 v53, v9, v13, v53
	;;#ASMEND
	s_waitcnt lgkmcnt(2)
	;;#ASMSTART
	v_dot2_f32_f16 v52, v6, v54, v52
	;;#ASMEND
	;;#ASMSTART
	v_dot2_f32_f16 v52, v7, v55, v52
	;;#ASMEND
	;;#ASMSTART
	v_dot2_f32_f16 v52, v8, v56, v52
	;;#ASMEND
	;;#ASMSTART
	v_dot2_f32_f16 v52, v9, v57, v52
	;;#ASMEND
	;; [unrolled: 13-line block ×3, first 2 shown]
	s_waitcnt lgkmcnt(0)
	;;#ASMSTART
	v_dot2_f32_f16 v15, v6, v62, v15
	;;#ASMEND
	;;#ASMSTART
	v_dot2_f32_f16 v15, v7, v63, v15
	;;#ASMEND
	;; [unrolled: 3-line block ×3, first 2 shown]
	v_cmp_nlt_f32_e64 s[6:7], |v53|, s6
	;;#ASMSTART
	v_dot2_f32_f16 v15, v9, v65, v15
	;;#ASMEND
                                        ; implicit-def: $vgpr6
	s_and_saveexec_b64 s[10:11], s[6:7]
	s_xor_b64 s[6:7], exec, s[10:11]
	s_cbranch_execz .LBB70_44
; %bb.43:
	v_add_f32_e64 v6, |v53|, |v53|
	v_mul_f32_e32 v7, 0x3fb8aa3b, v6
	s_mov_b32 s10, 0x3fb8aa3b
	v_rndne_f32_e32 v8, v7
	v_sub_f32_e32 v9, v7, v8
	v_fma_f32 v7, v6, s10, -v7
	v_fmac_f32_e32 v7, 0x32a5705f, v6
	v_add_f32_e32 v7, v9, v7
	v_exp_f32_e32 v7, v7
	v_cvt_i32_f32_e32 v8, v8
	s_mov_b32 s10, 0xc2ce8ed0
	v_cmp_ngt_f32_e32 vcc, s10, v6
	s_mov_b32 s10, 0x42b17218
	v_ldexp_f32 v7, v7, v8
	v_cndmask_b32_e32 v7, 0, v7, vcc
	v_mov_b32_e32 v8, 0x7f800000
	v_cmp_nlt_f32_e32 vcc, s10, v6
	v_cndmask_b32_e32 v6, v8, v7, vcc
	v_add_f32_e32 v6, 1.0, v6
	v_rcp_f32_e32 v6, v6
	v_fma_f32 v6, v6, -2.0, 1.0
.LBB70_44:
	s_andn2_saveexec_b64 s[6:7], s[6:7]
	s_cbranch_execz .LBB70_46
; %bb.45:
	v_mul_f32_e32 v6, v53, v53
	v_mov_b32_e32 v7, 0x3ca908c9
	v_fmac_f32_e32 v7, 0xbbbac73d, v6
	v_mov_b32_e32 v8, 0xbd5c1c4e
	v_fmac_f32_e32 v8, v6, v7
	;; [unrolled: 2-line block ×4, first 2 shown]
	v_mul_f32_e64 v7, |v53|, v8
	v_fma_f32 v6, v6, v7, |v53|
.LBB70_46:
	s_or_b64 exec, exec, s[6:7]
	s_cmp_lg_u64 s[40:41], 0
	s_brev_b32 s10, -2
	v_bfi_b32 v6, s10, v6, v53
	s_cselect_b64 s[10:11], -1, 0
	v_mul_f32_e32 v11, s19, v6
	v_cndmask_b32_e64 v6, 0, 1, s[10:11]
	v_cmp_ne_u32_e64 s[10:11], 1, v6
	v_mov_b32_e32 v9, v5
	v_cmp_gt_i32_e64 s[6:7], s14, v0
	v_add_u32_e32 v10, s22, v0
	v_mov_b32_e32 v8, v4
	v_mov_b32_e32 v7, v3
	;; [unrolled: 1-line block ×4, first 2 shown]
	s_and_saveexec_b64 s[12:13], s[6:7]
	s_cbranch_execz .LBB70_51
; %bb.47:
	s_and_b64 vcc, exec, s[10:11]
	s_cbranch_vccnz .LBB70_49
; %bb.48:
	v_mad_u64_u32 v[6:7], s[36:37], v41, s23, v[10:11]
	v_mov_b32_e32 v8, s41
	v_ashrrev_i32_e32 v7, 31, v6
	v_lshlrev_b64 v[6:7], 1, v[6:7]
	v_add_co_u32_e32 v6, vcc, s40, v6
	v_addc_co_u32_e32 v7, vcc, v8, v7, vcc
	global_load_ushort v6, v[6:7], off
	s_waitcnt vmcnt(0)
	v_cvt_f32_f16_e32 v6, v6
	v_mul_f32_e32 v6, v27, v6
	s_branch .LBB70_50
.LBB70_49:
	v_mov_b32_e32 v6, 0
.LBB70_50:
	v_add_f32_e32 v11, v11, v6
	v_add_f32_e32 v6, 0x40051340, v11
	v_max_f32_e32 v7, v2, v2
	v_max_f32_e32 v12, v7, v6
	v_mov_b32_e32 v9, v5
	v_mov_b32_e32 v8, v4
	;; [unrolled: 1-line block ×4, first 2 shown]
.LBB70_51:
	s_or_b64 exec, exec, s[12:13]
	v_mbcnt_hi_u32_b32 v53, -1, v46
	v_and_b32_e32 v6, 0x60, v53
	v_add_u32_e32 v54, 32, v6
	v_xor_b32_e32 v55, 16, v53
	v_cmp_lt_i32_e32 vcc, v55, v54
	v_cndmask_b32_e32 v6, v53, v55, vcc
	v_lshlrev_b32_e32 v41, 2, v6
	ds_bpermute_b32 v6, v41, v12
	v_xor_b32_e32 v56, 8, v53
	v_cmp_lt_i32_e32 vcc, v56, v54
	v_cndmask_b32_e32 v13, v53, v56, vcc
	v_max_f32_e32 v12, v12, v12
	s_waitcnt lgkmcnt(0)
	v_max_f32_e32 v6, v6, v6
	v_lshlrev_b32_e32 v46, 2, v13
	v_max_f32_e32 v6, v12, v6
	ds_bpermute_b32 v12, v46, v6
	v_xor_b32_e32 v57, 4, v53
	v_cmp_lt_i32_e32 vcc, v57, v54
	v_cndmask_b32_e32 v13, v53, v57, vcc
	v_lshlrev_b32_e32 v45, 2, v13
	s_waitcnt lgkmcnt(0)
	v_max_f32_e32 v12, v12, v12
	v_max_f32_e32 v6, v6, v12
	ds_bpermute_b32 v12, v45, v6
	v_xor_b32_e32 v58, 2, v53
	v_cmp_lt_i32_e32 vcc, v58, v54
	v_cndmask_b32_e32 v13, v53, v58, vcc
	v_lshlrev_b32_e32 v13, 2, v13
	s_waitcnt lgkmcnt(0)
	v_max_f32_e32 v12, v12, v12
	;; [unrolled: 8-line block ×3, first 2 shown]
	v_max_f32_e32 v6, v6, v60
	ds_bpermute_b32 v60, v12, v6
	s_mov_b32 s12, 0x3f200000
	v_cmp_nlt_f32_e64 s[12:13], |v52|, s12
                                        ; implicit-def: $vgpr61
	s_and_saveexec_b64 s[36:37], s[12:13]
	s_xor_b64 s[12:13], exec, s[36:37]
	s_cbranch_execz .LBB70_53
; %bb.52:
	v_add_f32_e64 v61, |v52|, |v52|
	v_mul_f32_e32 v62, 0x3fb8aa3b, v61
	s_mov_b32 s15, 0x3fb8aa3b
	v_rndne_f32_e32 v63, v62
	v_sub_f32_e32 v64, v62, v63
	v_fma_f32 v62, v61, s15, -v62
	v_fmac_f32_e32 v62, 0x32a5705f, v61
	v_add_f32_e32 v62, v64, v62
	v_exp_f32_e32 v62, v62
	v_cvt_i32_f32_e32 v63, v63
	s_mov_b32 s15, 0xc2ce8ed0
	v_cmp_ngt_f32_e32 vcc, s15, v61
	s_mov_b32 s15, 0x42b17218
	v_ldexp_f32 v62, v62, v63
	v_cndmask_b32_e32 v62, 0, v62, vcc
	v_mov_b32_e32 v63, 0x7f800000
	v_cmp_nlt_f32_e32 vcc, s15, v61
	v_cndmask_b32_e32 v61, v63, v62, vcc
	v_add_f32_e32 v61, 1.0, v61
	v_rcp_f32_e32 v61, v61
	v_fma_f32 v61, v61, -2.0, 1.0
.LBB70_53:
	s_andn2_saveexec_b64 s[12:13], s[12:13]
	s_cbranch_execz .LBB70_55
; %bb.54:
	v_mul_f32_e32 v61, v52, v52
	v_mov_b32_e32 v62, 0x3ca908c9
	v_fmac_f32_e32 v62, 0xbbbac73d, v61
	v_mov_b32_e32 v63, 0xbd5c1c4e
	v_fmac_f32_e32 v63, v61, v62
	;; [unrolled: 2-line block ×4, first 2 shown]
	v_mul_f32_e64 v62, |v52|, v63
	v_fma_f32 v61, v61, v62, |v52|
.LBB70_55:
	s_or_b64 exec, exec, s[12:13]
	s_brev_b32 s12, -2
	s_waitcnt lgkmcnt(0)
	v_max_f32_e32 v60, v60, v60
	v_max_f32_e32 v6, v6, v6
	v_bfi_b32 v52, s12, v61, v52
	v_max_f32_e32 v6, v6, v60
	v_mul_f32_e32 v52, s19, v52
	s_and_saveexec_b64 s[12:13], s[6:7]
	s_cbranch_execz .LBB70_60
; %bb.56:
	s_and_b64 vcc, exec, s[10:11]
	s_cbranch_vccnz .LBB70_58
; %bb.57:
	v_or_b32_e32 v60, 1, v24
	v_mul_hi_u32 v61, s28, v60
	v_mov_b32_e32 v62, s41
	v_add_u32_e32 v61, v60, v61
	v_lshrrev_b32_e32 v61, s29, v61
	v_mul_lo_u32 v61, v61, s30
	v_sub_u32_e32 v60, v60, v61
	v_mad_u64_u32 v[60:61], s[36:37], v60, s23, v[10:11]
	v_ashrrev_i32_e32 v61, 31, v60
	v_lshlrev_b64 v[60:61], 1, v[60:61]
	v_add_co_u32_e32 v60, vcc, s40, v60
	v_addc_co_u32_e32 v61, vcc, v62, v61, vcc
	global_load_ushort v60, v[60:61], off
	s_waitcnt vmcnt(0)
	v_cvt_f32_f16_e32 v60, v60
	v_mul_f32_e32 v60, v27, v60
	s_branch .LBB70_59
.LBB70_58:
	v_mov_b32_e32 v60, 0
.LBB70_59:
	v_add_f32_e32 v52, v52, v60
	v_add_f32_e32 v60, 0x40051340, v52
	v_max_f32_e32 v7, v7, v7
	v_max_f32_e32 v7, v7, v60
.LBB70_60:
	s_or_b64 exec, exec, s[12:13]
	ds_bpermute_b32 v60, v41, v7
	v_max_f32_e32 v7, v7, v7
	s_mov_b32 s12, 0x3f200000
	v_cmp_nlt_f32_e64 s[12:13], |v51|, s12
                                        ; implicit-def: $vgpr61
	s_waitcnt lgkmcnt(0)
	v_max_f32_e32 v60, v60, v60
	v_max_f32_e32 v7, v7, v60
	ds_bpermute_b32 v60, v46, v7
	s_waitcnt lgkmcnt(0)
	v_max_f32_e32 v60, v60, v60
	v_max_f32_e32 v7, v7, v60
	ds_bpermute_b32 v60, v45, v7
	;; [unrolled: 4-line block ×4, first 2 shown]
	s_and_saveexec_b64 s[36:37], s[12:13]
	s_xor_b64 s[12:13], exec, s[36:37]
	s_cbranch_execz .LBB70_62
; %bb.61:
	v_add_f32_e64 v61, |v51|, |v51|
	v_mul_f32_e32 v62, 0x3fb8aa3b, v61
	s_mov_b32 s15, 0x3fb8aa3b
	v_rndne_f32_e32 v63, v62
	v_sub_f32_e32 v64, v62, v63
	v_fma_f32 v62, v61, s15, -v62
	v_fmac_f32_e32 v62, 0x32a5705f, v61
	v_add_f32_e32 v62, v64, v62
	v_exp_f32_e32 v62, v62
	v_cvt_i32_f32_e32 v63, v63
	s_mov_b32 s15, 0xc2ce8ed0
	v_cmp_ngt_f32_e32 vcc, s15, v61
	s_mov_b32 s15, 0x42b17218
	v_ldexp_f32 v62, v62, v63
	v_cndmask_b32_e32 v62, 0, v62, vcc
	v_mov_b32_e32 v63, 0x7f800000
	v_cmp_nlt_f32_e32 vcc, s15, v61
	v_cndmask_b32_e32 v61, v63, v62, vcc
	v_add_f32_e32 v61, 1.0, v61
	v_rcp_f32_e32 v61, v61
	v_fma_f32 v61, v61, -2.0, 1.0
.LBB70_62:
	s_andn2_saveexec_b64 s[12:13], s[12:13]
	s_cbranch_execz .LBB70_64
; %bb.63:
	v_mul_f32_e32 v61, v51, v51
	v_mov_b32_e32 v62, 0x3ca908c9
	v_fmac_f32_e32 v62, 0xbbbac73d, v61
	v_mov_b32_e32 v63, 0xbd5c1c4e
	v_fmac_f32_e32 v63, v61, v62
	;; [unrolled: 2-line block ×4, first 2 shown]
	v_mul_f32_e64 v62, |v51|, v63
	v_fma_f32 v61, v61, v62, |v51|
.LBB70_64:
	s_or_b64 exec, exec, s[12:13]
	s_brev_b32 s12, -2
	s_waitcnt lgkmcnt(0)
	v_max_f32_e32 v60, v60, v60
	v_max_f32_e32 v7, v7, v7
	v_bfi_b32 v51, s12, v61, v51
	v_max_f32_e32 v7, v7, v60
	v_mul_f32_e32 v51, s19, v51
	s_and_saveexec_b64 s[12:13], s[6:7]
	s_cbranch_execz .LBB70_69
; %bb.65:
	s_and_b64 vcc, exec, s[10:11]
	s_cbranch_vccnz .LBB70_67
; %bb.66:
	v_or_b32_e32 v60, 2, v24
	v_mul_hi_u32 v61, s28, v60
	v_mov_b32_e32 v62, s41
	v_add_u32_e32 v61, v60, v61
	v_lshrrev_b32_e32 v61, s29, v61
	v_mul_lo_u32 v61, v61, s30
	v_sub_u32_e32 v60, v60, v61
	v_mad_u64_u32 v[60:61], s[36:37], v60, s23, v[10:11]
	v_ashrrev_i32_e32 v61, 31, v60
	v_lshlrev_b64 v[60:61], 1, v[60:61]
	v_add_co_u32_e32 v60, vcc, s40, v60
	v_addc_co_u32_e32 v61, vcc, v62, v61, vcc
	global_load_ushort v60, v[60:61], off
	s_waitcnt vmcnt(0)
	v_cvt_f32_f16_e32 v60, v60
	v_mul_f32_e32 v60, v27, v60
	s_branch .LBB70_68
.LBB70_67:
	v_mov_b32_e32 v60, 0
.LBB70_68:
	v_add_f32_e32 v51, v51, v60
	v_add_f32_e32 v60, 0x40051340, v51
	v_max_f32_e32 v8, v8, v8
	v_max_f32_e32 v8, v8, v60
.LBB70_69:
	s_or_b64 exec, exec, s[12:13]
	ds_bpermute_b32 v60, v41, v8
	v_max_f32_e32 v8, v8, v8
	s_mov_b32 s12, 0x3f200000
	v_cmp_nlt_f32_e64 s[12:13], |v15|, s12
                                        ; implicit-def: $vgpr61
	s_waitcnt lgkmcnt(0)
	v_max_f32_e32 v60, v60, v60
	v_max_f32_e32 v8, v8, v60
	ds_bpermute_b32 v60, v46, v8
	s_waitcnt lgkmcnt(0)
	v_max_f32_e32 v60, v60, v60
	v_max_f32_e32 v8, v8, v60
	ds_bpermute_b32 v60, v45, v8
	;; [unrolled: 4-line block ×4, first 2 shown]
	s_and_saveexec_b64 s[36:37], s[12:13]
	s_xor_b64 s[12:13], exec, s[36:37]
	s_cbranch_execz .LBB70_71
; %bb.70:
	v_add_f32_e64 v61, |v15|, |v15|
	v_mul_f32_e32 v62, 0x3fb8aa3b, v61
	s_mov_b32 s15, 0x3fb8aa3b
	v_rndne_f32_e32 v63, v62
	v_sub_f32_e32 v64, v62, v63
	v_fma_f32 v62, v61, s15, -v62
	v_fmac_f32_e32 v62, 0x32a5705f, v61
	v_add_f32_e32 v62, v64, v62
	v_exp_f32_e32 v62, v62
	v_cvt_i32_f32_e32 v63, v63
	s_mov_b32 s15, 0xc2ce8ed0
	v_cmp_ngt_f32_e32 vcc, s15, v61
	s_mov_b32 s15, 0x42b17218
	v_ldexp_f32 v62, v62, v63
	v_cndmask_b32_e32 v62, 0, v62, vcc
	v_mov_b32_e32 v63, 0x7f800000
	v_cmp_nlt_f32_e32 vcc, s15, v61
	v_cndmask_b32_e32 v61, v63, v62, vcc
	v_add_f32_e32 v61, 1.0, v61
	v_rcp_f32_e32 v61, v61
	v_fma_f32 v61, v61, -2.0, 1.0
.LBB70_71:
	s_andn2_saveexec_b64 s[12:13], s[12:13]
	s_cbranch_execz .LBB70_73
; %bb.72:
	v_mul_f32_e32 v61, v15, v15
	v_mov_b32_e32 v62, 0x3ca908c9
	v_fmac_f32_e32 v62, 0xbbbac73d, v61
	v_mov_b32_e32 v63, 0xbd5c1c4e
	v_fmac_f32_e32 v63, v61, v62
	;; [unrolled: 2-line block ×4, first 2 shown]
	v_mul_f32_e64 v62, |v15|, v63
	v_fma_f32 v61, v61, v62, |v15|
.LBB70_73:
	s_or_b64 exec, exec, s[12:13]
	s_brev_b32 s12, -2
	s_waitcnt lgkmcnt(0)
	v_max_f32_e32 v60, v60, v60
	v_max_f32_e32 v8, v8, v8
	v_bfi_b32 v15, s12, v61, v15
	v_max_f32_e32 v8, v8, v60
	v_mul_f32_e32 v15, s19, v15
	s_and_saveexec_b64 s[12:13], s[6:7]
	s_cbranch_execz .LBB70_78
; %bb.74:
	s_and_b64 vcc, exec, s[10:11]
	s_cbranch_vccnz .LBB70_76
; %bb.75:
	v_or_b32_e32 v60, 3, v24
	v_mul_hi_u32 v61, s28, v60
	v_add_u32_e32 v61, v60, v61
	v_lshrrev_b32_e32 v61, s29, v61
	v_mul_lo_u32 v61, v61, s30
	v_sub_u32_e32 v60, v60, v61
	v_mad_u64_u32 v[60:61], s[6:7], v60, s23, v[10:11]
	v_mov_b32_e32 v10, s41
	v_ashrrev_i32_e32 v61, 31, v60
	v_lshlrev_b64 v[60:61], 1, v[60:61]
	v_add_co_u32_e32 v60, vcc, s40, v60
	v_addc_co_u32_e32 v61, vcc, v10, v61, vcc
	global_load_ushort v10, v[60:61], off
	s_waitcnt vmcnt(0)
	v_cvt_f32_f16_e32 v10, v10
	v_mul_f32_e32 v10, v27, v10
	s_branch .LBB70_77
.LBB70_76:
	v_mov_b32_e32 v10, 0
.LBB70_77:
	v_add_f32_e32 v15, v15, v10
	v_add_f32_e32 v10, 0x40051340, v15
	v_max_f32_e32 v9, v9, v9
	v_max_f32_e32 v9, v9, v10
.LBB70_78:
	s_or_b64 exec, exec, s[12:13]
	ds_bpermute_b32 v10, v41, v9
	v_max_f32_e32 v9, v9, v9
	s_mov_b64 s[10:11], src_private_base
	v_sub_f32_e32 v11, v11, v6
	s_mov_b32 s10, 0x3fb8aa3b
	s_waitcnt lgkmcnt(0)
	v_max_f32_e32 v10, v10, v10
	v_max_f32_e32 v9, v9, v10
	ds_bpermute_b32 v10, v46, v9
	v_mul_f32_e32 v27, 0x3fb8aa3b, v11
	v_rndne_f32_e32 v46, v27
	s_mov_b32 s13, 0xc2ce8ed0
	s_mov_b32 s12, 0x42b17218
	s_waitcnt lgkmcnt(0)
	v_max_f32_e32 v10, v10, v10
	v_max_f32_e32 v9, v9, v10
	ds_bpermute_b32 v10, v45, v9
	v_fma_f32 v45, v11, s10, -v27
	v_fmac_f32_e32 v45, 0x32a5705f, v11
	v_cmp_ngt_f32_e32 vcc, s13, v11
	v_mov_b32_e32 v63, 0x7f800000
	s_waitcnt lgkmcnt(0)
	v_max_f32_e32 v10, v10, v10
	v_max_f32_e32 v9, v9, v10
	ds_bpermute_b32 v10, v13, v9
	v_sub_f32_e32 v13, v27, v46
	v_add_f32_e32 v13, v13, v45
	v_cvt_i32_f32_e32 v27, v46
	v_exp_f32_e32 v13, v13
	s_waitcnt lgkmcnt(0)
	v_max_f32_e32 v10, v10, v10
	v_max_f32_e32 v9, v9, v10
	ds_bpermute_b32 v10, v12, v9
	v_ldexp_f32 v12, v13, v27
	v_lshlrev_b32_e32 v41, 8, v1
	s_waitcnt lgkmcnt(0)
	s_barrier
	v_max_f32_e32 v10, v10, v10
	v_max_f32_e32 v9, v9, v10
	v_cndmask_b32_e32 v10, 0, v12, vcc
	v_cmp_nlt_f32_e32 vcc, s12, v11
	v_sub_f32_e32 v11, v52, v7
	v_mul_f32_e32 v12, 0x3fb8aa3b, v11
	v_fma_f32 v13, v11, s10, -v12
	v_rndne_f32_e32 v27, v12
	v_fmac_f32_e32 v13, 0x32a5705f, v11
	v_sub_f32_e32 v12, v12, v27
	v_add_f32_e32 v12, v12, v13
	v_exp_f32_e32 v12, v12
	v_cvt_i32_f32_e32 v13, v27
	v_cmp_ngt_f32_e64 s[6:7], s13, v11
	v_cndmask_b32_e32 v10, v63, v10, vcc
	v_cmp_gt_u32_e32 vcc, s14, v0
	v_ldexp_f32 v12, v12, v13
	v_sub_f32_e32 v13, v51, v8
	v_mul_f32_e32 v45, 0x3fb8aa3b, v13
	v_fma_f32 v46, v13, s10, -v45
	v_rndne_f32_e32 v51, v45
	v_fmac_f32_e32 v46, 0x32a5705f, v13
	v_sub_f32_e32 v45, v45, v51
	v_add_f32_e32 v45, v45, v46
	v_exp_f32_e32 v46, v45
	v_cvt_i32_f32_e32 v51, v51
	v_cndmask_b32_e64 v12, 0, v12, s[6:7]
	v_cmp_nlt_f32_e64 s[6:7], s12, v11
	v_cndmask_b32_e64 v11, v63, v12, s[6:7]
	v_sub_f32_e32 v12, v15, v9
	v_mul_f32_e32 v15, 0x3fb8aa3b, v12
	v_cndmask_b32_e32 v45, 0, v11, vcc
	v_ldexp_f32 v11, v46, v51
	v_fma_f32 v46, v12, s10, -v15
	v_rndne_f32_e32 v51, v15
	v_fmac_f32_e32 v46, 0x32a5705f, v12
	v_sub_f32_e32 v15, v15, v51
	v_add_f32_e32 v15, v15, v46
	v_exp_f32_e32 v15, v15
	v_cvt_i32_f32_e32 v51, v51
	v_cmp_ngt_f32_e64 s[6:7], s13, v13
	v_cndmask_b32_e64 v11, 0, v11, s[6:7]
	v_cmp_nlt_f32_e64 s[6:7], s12, v13
	v_cndmask_b32_e64 v11, v63, v11, s[6:7]
	v_ldexp_f32 v13, v15, v51
	v_cmp_ngt_f32_e64 s[6:7], s13, v12
	v_cndmask_b32_e64 v13, 0, v13, s[6:7]
	v_cmp_nlt_f32_e64 s[6:7], s12, v12
	v_cndmask_b32_e64 v12, v63, v13, s[6:7]
	v_cndmask_b32_e32 v27, 0, v10, vcc
	v_cndmask_b32_e32 v46, 0, v11, vcc
	;; [unrolled: 1-line block ×3, first 2 shown]
	v_cvt_f16_f32_e32 v10, v27
	v_cvt_f16_f32_e32 v11, v46
	;; [unrolled: 1-line block ×4, first 2 shown]
	s_movk_i32 s6, 0x6200
	v_add3_u32 v15, v41, s6, v26
	v_pack_b32_f16 v11, v11, v12
	v_pack_b32_f16 v10, v10, v13
	s_mul_hi_i32 s7, s22, s8
	s_mul_i32 s6, s22, s8
	ds_write_b64 v15, v[10:11]
	v_ashrrev_i32_e32 v15, 31, v14
	s_lshl_b64 s[6:7], s[6:7], 2
	s_add_u32 s6, s16, s6
	v_lshlrev_b64 v[12:13], 2, v[14:15]
	s_addc_u32 s7, s17, s7
	v_mov_b32_e32 v10, s7
	v_add_co_u32_e32 v11, vcc, s6, v12
	v_addc_co_u32_e32 v10, vcc, v10, v13, vcc
	v_add_co_u32_e32 v61, vcc, v11, v25
	v_addc_co_u32_e32 v10, vcc, 0, v10, vcc
	v_mov_b32_e32 v52, 0
	v_mov_b32_e32 v15, s11
	v_cmp_gt_i32_e32 vcc, s14, v1
	v_mov_b32_e32 v60, 0
	buffer_store_dword v52, off, s[0:3], 0
	buffer_store_dword v52, off, s[0:3], 0 offset:4
	buffer_store_dword v52, off, s[0:3], 0 offset:8
	;; [unrolled: 1-line block ×3, first 2 shown]
	v_cndmask_b32_e32 v11, v15, v10, vcc
	v_cndmask_b32_e32 v10, v60, v61, vcc
	flat_load_dwordx4 v[64:67], v[10:11]
	v_lshl_add_u32 v10, s8, 3, v14
	v_ashrrev_i32_e32 v11, 31, v10
	v_lshlrev_b64 v[10:11], 2, v[10:11]
	v_lshl_add_u32 v62, v1, 9, v25
	v_add_u32_e32 v61, 8, v1
	buffer_store_dword v52, off, s[0:3], 0
	v_sub_f32_e32 v2, v2, v6
	v_mul_f32_e32 v14, 0x3fb8aa3b, v2
	v_fma_f32 v68, v2, s10, -v14
	v_rndne_f32_e32 v69, v14
	v_fmac_f32_e32 v68, 0x32a5705f, v2
	v_sub_f32_e32 v14, v14, v69
	v_add_f32_e32 v14, v14, v68
	v_exp_f32_e32 v14, v14
	v_cvt_i32_f32_e32 v68, v69
	v_sub_f32_e32 v3, v3, v7
	v_sub_f32_e32 v4, v4, v8
	;; [unrolled: 1-line block ×3, first 2 shown]
	v_ldexp_f32 v14, v14, v68
	s_waitcnt vmcnt(0) lgkmcnt(0)
	ds_write_b128 v62, v[64:67] offset:16384
	v_mov_b32_e32 v64, s7
	v_add_co_u32_e32 v65, vcc, s6, v10
	v_addc_co_u32_e32 v64, vcc, v64, v11, vcc
	v_add_co_u32_e32 v66, vcc, v65, v25
	v_addc_co_u32_e32 v64, vcc, 0, v64, vcc
	v_cmp_gt_i32_e32 vcc, s14, v61
	buffer_store_dword v52, off, s[0:3], 0 offset:4
	buffer_store_dword v52, off, s[0:3], 0 offset:8
	;; [unrolled: 1-line block ×3, first 2 shown]
	v_cndmask_b32_e32 v65, v15, v64, vcc
	v_cndmask_b32_e32 v64, v60, v66, vcc
	flat_load_dwordx4 v[64:67], v[64:65]
	v_cmp_ngt_f32_e32 vcc, s13, v2
	v_cndmask_b32_e32 v14, 0, v14, vcc
	v_cmp_nlt_f32_e32 vcc, s12, v2
	v_cndmask_b32_e32 v2, v63, v14, vcc
	v_mul_f32_e32 v14, 0x3fb8aa3b, v3
	v_fmac_f32_e32 v27, v49, v2
	v_fma_f32 v49, v3, s10, -v14
	v_rndne_f32_e32 v68, v14
	v_fmac_f32_e32 v49, 0x32a5705f, v3
	v_sub_f32_e32 v14, v14, v68
	v_add_f32_e32 v14, v14, v49
	v_exp_f32_e32 v14, v14
	v_cvt_i32_f32_e32 v49, v68
	v_cmp_ngt_f32_e32 vcc, s13, v3
	v_cvt_f16_f32_e32 v2, v2
	s_mov_b32 s6, 0x10001
	v_ldexp_f32 v14, v14, v49
	v_cndmask_b32_e32 v14, 0, v14, vcc
	v_cmp_nlt_f32_e32 vcc, s12, v3
	v_cndmask_b32_e32 v3, v63, v14, vcc
	v_cvt_f16_f32_e32 v14, v3
	v_fmac_f32_e32 v45, v48, v3
	v_cmp_ngt_f32_e32 vcc, s13, v4
	v_mul_u32_u24_e32 v2, 0x10001, v2
	v_mul_u32_u24_e32 v3, 0x10001, v14
	v_mul_f32_e32 v14, 0x3fb8aa3b, v4
	v_fma_f32 v48, v4, s10, -v14
	v_rndne_f32_e32 v49, v14
	v_fmac_f32_e32 v48, 0x32a5705f, v4
	v_sub_f32_e32 v14, v14, v49
	v_add_f32_e32 v14, v14, v48
	v_exp_f32_e32 v14, v14
	v_cvt_i32_f32_e32 v48, v49
	v_pk_mul_f16 v44, v44, v2
	v_pk_mul_f16 v42, v42, v2
	;; [unrolled: 1-line block ×3, first 2 shown]
	v_ldexp_f32 v14, v14, v48
	v_mul_f32_e32 v48, 0x3fb8aa3b, v5
	v_fma_f32 v49, v5, s10, -v48
	v_rndne_f32_e32 v68, v48
	v_fmac_f32_e32 v49, 0x32a5705f, v5
	v_sub_f32_e32 v48, v48, v68
	v_add_f32_e32 v48, v48, v49
	v_exp_f32_e32 v48, v48
	v_cvt_i32_f32_e32 v49, v68
	v_cndmask_b32_e32 v14, 0, v14, vcc
	v_cmp_nlt_f32_e32 vcc, s12, v4
	v_cndmask_b32_e32 v4, v63, v14, vcc
	v_cvt_f16_f32_e32 v14, v4
	v_fmac_f32_e32 v46, v50, v4
	v_ldexp_f32 v4, v48, v49
	v_cmp_ngt_f32_e32 vcc, s13, v5
	v_cndmask_b32_e32 v4, 0, v4, vcc
	v_cmp_nlt_f32_e32 vcc, s12, v5
	v_cndmask_b32_e32 v4, v63, v4, vcc
	v_cvt_f16_f32_e32 v5, v4
	v_mul_u32_u24_e32 v75, 0x10001, v14
	v_fmac_f32_e32 v51, v47, v4
	v_lshl_add_u32 v14, v61, 9, v25
	v_mul_u32_u24_e32 v4, 0x10001, v5
	v_pk_mul_f16 v5, v30, v4
	v_pk_mul_f16 v76, v31, v4
	;; [unrolled: 1-line block ×4, first 2 shown]
	v_add_u32_e32 v4, 0x4000, v26
	v_pk_mul_f16 v40, v40, v3
	v_pk_mul_f16 v38, v38, v3
	v_pk_mul_f16 v39, v39, v3
	v_pk_mul_f16 v35, v35, v75
	v_pk_mul_f16 v33, v33, v75
	v_pk_mul_f16 v34, v34, v75
	s_or_b32 s7, s22, 16
	s_mul_hi_i32 s11, s7, s8
	s_mul_i32 s10, s7, s8
	s_lshl_b64 s[10:11], s[10:11], 2
	s_add_u32 s7, s16, s10
	s_addc_u32 s8, s17, s11
	v_add_co_u32_e32 v12, vcc, s7, v12
	s_waitcnt vmcnt(0) lgkmcnt(0)
	ds_write_b128 v14, v[64:67] offset:16384
	s_waitcnt lgkmcnt(0)
	s_barrier
	ds_read_b128 v[28:31], v41 offset:25088
	ds_read2_b64 v[47:50], v4 offset1:32
	ds_read_b128 v[63:66], v41 offset:25104
	ds_read_b128 v[67:70], v41 offset:25120
	;; [unrolled: 1-line block ×3, first 2 shown]
	s_waitcnt lgkmcnt(4)
	v_mul_u32_u24_sdwa v79, v28, s6 dst_sel:DWORD dst_unused:UNUSED_PAD src0_sel:WORD_0 src1_sel:DWORD
	v_mul_u32_u24_sdwa v28, v28, s6 dst_sel:DWORD dst_unused:UNUSED_PAD src0_sel:WORD_1 src1_sel:DWORD
	s_waitcnt lgkmcnt(3)
	v_pk_mul_f16 v81, v47, v79
	v_mul_u32_u24_sdwa v80, v29, s6 dst_sel:DWORD dst_unused:UNUSED_PAD src0_sel:WORD_0 src1_sel:DWORD
	v_pk_fma_f16 v2, v37, v2, v81
	v_pk_mul_f16 v37, v47, v28
	v_mul_u32_u24_sdwa v29, v29, s6 dst_sel:DWORD dst_unused:UNUSED_PAD src0_sel:WORD_1 src1_sel:DWORD
	v_pk_fma_f16 v3, v36, v3, v37
	v_pk_mul_f16 v36, v47, v80
	v_pk_fma_f16 v36, v32, v75, v36
	v_pk_fma_f16 v5, v47, v29, v5
	;; [unrolled: 1-line block ×10, first 2 shown]
	ds_read2_b64 v[32:35], v4 offset0:64 offset1:96
	v_pk_fma_f16 v42, v49, v79, v42
	v_pk_fma_f16 v49, v49, v29, v77
	;; [unrolled: 1-line block ×4, first 2 shown]
	v_mul_u32_u24_sdwa v50, v30, s6 dst_sel:DWORD dst_unused:UNUSED_PAD src0_sel:WORD_0 src1_sel:DWORD
	v_mul_u32_u24_sdwa v30, v30, s6 dst_sel:DWORD dst_unused:UNUSED_PAD src0_sel:WORD_1 src1_sel:DWORD
	v_mul_u32_u24_sdwa v75, v31, s6 dst_sel:DWORD dst_unused:UNUSED_PAD src0_sel:WORD_0 src1_sel:DWORD
	v_mul_u32_u24_sdwa v31, v31, s6 dst_sel:DWORD dst_unused:UNUSED_PAD src0_sel:WORD_1 src1_sel:DWORD
	s_waitcnt lgkmcnt(0)
	v_pk_fma_f16 v2, v32, v50, v2
	v_pk_fma_f16 v3, v32, v30, v3
	;; [unrolled: 1-line block ×16, first 2 shown]
	ds_read2_b64 v[28:31], v4 offset0:128 offset1:160
	v_mul_u32_u24_sdwa v48, v63, s6 dst_sel:DWORD dst_unused:UNUSED_PAD src0_sel:WORD_0 src1_sel:DWORD
	v_mul_u32_u24_sdwa v49, v63, s6 dst_sel:DWORD dst_unused:UNUSED_PAD src0_sel:WORD_1 src1_sel:DWORD
	v_mul_u32_u24_sdwa v50, v64, s6 dst_sel:DWORD dst_unused:UNUSED_PAD src0_sel:WORD_0 src1_sel:DWORD
	v_mul_u32_u24_sdwa v63, v64, s6 dst_sel:DWORD dst_unused:UNUSED_PAD src0_sel:WORD_1 src1_sel:DWORD
	s_waitcnt lgkmcnt(0)
	v_pk_fma_f16 v2, v28, v48, v2
	v_pk_fma_f16 v3, v28, v49, v3
	;; [unrolled: 1-line block ×16, first 2 shown]
	ds_read2_b64 v[28:31], v4 offset0:192 offset1:224
	v_mul_u32_u24_sdwa v63, v66, s6 dst_sel:DWORD dst_unused:UNUSED_PAD src0_sel:WORD_1 src1_sel:DWORD
	v_mul_u32_u24_sdwa v48, v65, s6 dst_sel:DWORD dst_unused:UNUSED_PAD src0_sel:WORD_0 src1_sel:DWORD
	v_mul_u32_u24_sdwa v49, v65, s6 dst_sel:DWORD dst_unused:UNUSED_PAD src0_sel:WORD_1 src1_sel:DWORD
	v_mul_u32_u24_sdwa v50, v66, s6 dst_sel:DWORD dst_unused:UNUSED_PAD src0_sel:WORD_0 src1_sel:DWORD
	s_waitcnt lgkmcnt(0)
	v_pk_fma_f16 v64, v28, v63, v5
	v_add_u32_e32 v5, 0x4800, v26
	v_pk_fma_f16 v2, v28, v48, v2
	v_pk_fma_f16 v3, v28, v49, v3
	;; [unrolled: 1-line block ×15, first 2 shown]
	ds_read2_b64 v[28:31], v5 offset1:32
	v_mul_u32_u24_sdwa v48, v67, s6 dst_sel:DWORD dst_unused:UNUSED_PAD src0_sel:WORD_0 src1_sel:DWORD
	v_mul_u32_u24_sdwa v49, v67, s6 dst_sel:DWORD dst_unused:UNUSED_PAD src0_sel:WORD_1 src1_sel:DWORD
	v_mul_u32_u24_sdwa v50, v68, s6 dst_sel:DWORD dst_unused:UNUSED_PAD src0_sel:WORD_0 src1_sel:DWORD
	v_mul_u32_u24_sdwa v63, v68, s6 dst_sel:DWORD dst_unused:UNUSED_PAD src0_sel:WORD_1 src1_sel:DWORD
	s_waitcnt lgkmcnt(0)
	v_pk_fma_f16 v2, v28, v48, v2
	v_pk_fma_f16 v3, v28, v49, v3
	v_pk_fma_f16 v36, v28, v50, v36
	v_pk_fma_f16 v64, v28, v63, v64
	v_pk_fma_f16 v32, v29, v48, v32
	v_pk_fma_f16 v37, v29, v49, v37
	v_pk_fma_f16 v40, v29, v50, v40
	v_pk_fma_f16 v33, v29, v63, v33
	v_pk_fma_f16 v42, v30, v48, v42
	v_pk_fma_f16 v38, v30, v49, v38
	v_pk_fma_f16 v44, v30, v50, v44
	v_pk_fma_f16 v34, v30, v63, v34
	v_pk_fma_f16 v43, v31, v48, v43
	v_pk_fma_f16 v47, v31, v49, v47
	v_pk_fma_f16 v39, v31, v50, v39
	v_pk_fma_f16 v35, v31, v63, v35
	ds_read2_b64 v[28:31], v5 offset0:64 offset1:96
	v_mul_u32_u24_sdwa v48, v69, s6 dst_sel:DWORD dst_unused:UNUSED_PAD src0_sel:WORD_0 src1_sel:DWORD
	v_mul_u32_u24_sdwa v49, v69, s6 dst_sel:DWORD dst_unused:UNUSED_PAD src0_sel:WORD_1 src1_sel:DWORD
	v_mul_u32_u24_sdwa v50, v70, s6 dst_sel:DWORD dst_unused:UNUSED_PAD src0_sel:WORD_0 src1_sel:DWORD
	v_mul_u32_u24_sdwa v63, v70, s6 dst_sel:DWORD dst_unused:UNUSED_PAD src0_sel:WORD_1 src1_sel:DWORD
	s_waitcnt lgkmcnt(0)
	v_pk_fma_f16 v2, v28, v48, v2
	v_pk_fma_f16 v3, v28, v49, v3
	v_pk_fma_f16 v36, v28, v50, v36
	v_pk_fma_f16 v64, v28, v63, v64
	v_pk_fma_f16 v32, v29, v48, v32
	v_pk_fma_f16 v37, v29, v49, v37
	v_pk_fma_f16 v40, v29, v50, v40
	v_pk_fma_f16 v33, v29, v63, v33
	v_pk_fma_f16 v42, v30, v48, v42
	v_pk_fma_f16 v38, v30, v49, v38
	v_pk_fma_f16 v44, v30, v50, v44
	v_pk_fma_f16 v34, v30, v63, v34
	v_pk_fma_f16 v43, v31, v48, v43
	v_pk_fma_f16 v47, v31, v49, v47
	v_pk_fma_f16 v39, v31, v50, v39
	v_pk_fma_f16 v35, v31, v63, v35
	ds_read2_b64 v[28:31], v5 offset0:128 offset1:160
	;; [unrolled: 22-line block ×3, first 2 shown]
	v_mul_u32_u24_sdwa v35, v73, s6 dst_sel:DWORD dst_unused:UNUSED_PAD src0_sel:WORD_0 src1_sel:DWORD
	v_mul_u32_u24_sdwa v49, v73, s6 dst_sel:DWORD dst_unused:UNUSED_PAD src0_sel:WORD_1 src1_sel:DWORD
	s_add_i32 s14, s14, -16
	v_mul_u32_u24_sdwa v50, v74, s6 dst_sel:DWORD dst_unused:UNUSED_PAD src0_sel:WORD_0 src1_sel:DWORD
	s_waitcnt lgkmcnt(0)
	v_pk_fma_f16 v99, v28, v35, v2
	v_pk_fma_f16 v100, v28, v49, v3
	v_add_u32_e32 v3, 0x5000, v26
	v_add_u32_e32 v2, 0x5800, v26
	v_mov_b32_e32 v26, s8
	v_addc_co_u32_e32 v13, vcc, v26, v13, vcc
	v_add_co_u32_e32 v12, vcc, v12, v25
	v_addc_co_u32_e32 v13, vcc, 0, v13, vcc
	v_mul_u32_u24_sdwa v63, v74, s6 dst_sel:DWORD dst_unused:UNUSED_PAD src0_sel:WORD_1 src1_sel:DWORD
	v_cmp_gt_i32_e32 vcc, s14, v1
	v_pk_fma_f16 v101, v28, v50, v36
	v_pk_fma_f16 v102, v28, v63, v64
	;; [unrolled: 1-line block ×13, first 2 shown]
	ds_read_b128 v[32:35], v41 offset:25152
	v_pk_fma_f16 v110, v31, v63, v48
	ds_read2_b64 v[28:31], v3 offset1:32
	ds_read_b128 v[36:39], v41 offset:25168
	ds_read2_b64 v[47:50], v3 offset0:64 offset1:96
	ds_read2_b64 v[63:66], v3 offset0:128 offset1:160
	;; [unrolled: 1-line block ×3, first 2 shown]
	ds_read2_b64 v[71:74], v2 offset1:32
	ds_read2_b64 v[75:78], v2 offset0:64 offset1:96
	ds_read2_b64 v[79:82], v2 offset0:128 offset1:160
	ds_read_b128 v[83:86], v41 offset:25184
	ds_read_b128 v[87:90], v41 offset:25200
	ds_read2_b64 v[91:94], v2 offset0:192 offset1:224
	s_waitcnt lgkmcnt(0)
	s_barrier
	buffer_store_dword v52, off, s[0:3], 0
	buffer_store_dword v52, off, s[0:3], 0 offset:4
	buffer_store_dword v52, off, s[0:3], 0 offset:8
	;; [unrolled: 1-line block ×3, first 2 shown]
	v_cndmask_b32_e32 v13, v15, v13, vcc
	v_cndmask_b32_e32 v12, v60, v12, vcc
	flat_load_dwordx4 v[95:98], v[12:13]
	v_mul_u32_u24_sdwa v111, v32, s6 dst_sel:DWORD dst_unused:UNUSED_PAD src0_sel:WORD_0 src1_sel:DWORD
	v_mul_u32_u24_sdwa v32, v32, s6 dst_sel:DWORD dst_unused:UNUSED_PAD src0_sel:WORD_1 src1_sel:DWORD
	v_mul_u32_u24_sdwa v1, v33, s6 dst_sel:DWORD dst_unused:UNUSED_PAD src0_sel:WORD_0 src1_sel:DWORD
	v_mul_u32_u24_sdwa v12, v33, s6 dst_sel:DWORD dst_unused:UNUSED_PAD src0_sel:WORD_1 src1_sel:DWORD
	v_pk_fma_f16 v13, v28, v111, v99
	v_pk_fma_f16 v26, v28, v32, v100
	;; [unrolled: 1-line block ×16, first 2 shown]
	v_mul_u32_u24_sdwa v31, v34, s6 dst_sel:DWORD dst_unused:UNUSED_PAD src0_sel:WORD_0 src1_sel:DWORD
	v_mul_u32_u24_sdwa v34, v34, s6 dst_sel:DWORD dst_unused:UNUSED_PAD src0_sel:WORD_1 src1_sel:DWORD
	v_mul_u32_u24_sdwa v102, v35, s6 dst_sel:DWORD dst_unused:UNUSED_PAD src0_sel:WORD_0 src1_sel:DWORD
	v_mul_u32_u24_sdwa v35, v35, s6 dst_sel:DWORD dst_unused:UNUSED_PAD src0_sel:WORD_1 src1_sel:DWORD
	v_pk_fma_f16 v13, v47, v31, v13
	v_pk_fma_f16 v26, v47, v34, v26
	;; [unrolled: 1-line block ×14, first 2 shown]
	v_mul_u32_u24_sdwa v34, v36, s6 dst_sel:DWORD dst_unused:UNUSED_PAD src0_sel:WORD_0 src1_sel:DWORD
	v_mul_u32_u24_sdwa v35, v36, s6 dst_sel:DWORD dst_unused:UNUSED_PAD src0_sel:WORD_1 src1_sel:DWORD
	v_mul_u32_u24_sdwa v36, v37, s6 dst_sel:DWORD dst_unused:UNUSED_PAD src0_sel:WORD_0 src1_sel:DWORD
	v_mul_u32_u24_sdwa v37, v37, s6 dst_sel:DWORD dst_unused:UNUSED_PAD src0_sel:WORD_1 src1_sel:DWORD
	v_pk_fma_f16 v44, v49, v102, v44
	v_pk_fma_f16 v1, v50, v102, v1
	;; [unrolled: 1-line block ×10, first 2 shown]
	v_mul_u32_u24_sdwa v34, v38, s6 dst_sel:DWORD dst_unused:UNUSED_PAD src0_sel:WORD_0 src1_sel:DWORD
	v_mul_u32_u24_sdwa v37, v39, s6 dst_sel:DWORD dst_unused:UNUSED_PAD src0_sel:WORD_1 src1_sel:DWORD
	v_pk_fma_f16 v26, v63, v35, v26
	v_pk_fma_f16 v33, v63, v36, v33
	;; [unrolled: 1-line block ×8, first 2 shown]
	v_mul_u32_u24_sdwa v35, v38, s6 dst_sel:DWORD dst_unused:UNUSED_PAD src0_sel:WORD_1 src1_sel:DWORD
	v_mul_u32_u24_sdwa v36, v39, s6 dst_sel:DWORD dst_unused:UNUSED_PAD src0_sel:WORD_0 src1_sel:DWORD
	v_pk_fma_f16 v38, v67, v34, v13
	v_pk_fma_f16 v39, v68, v34, v43
	;; [unrolled: 1-line block ×5, first 2 shown]
	v_mov_b32_e32 v12, s8
	v_add_co_u32_e32 v10, vcc, s7, v10
	v_addc_co_u32_e32 v11, vcc, v12, v11, vcc
	v_add_co_u32_e32 v10, vcc, v10, v25
	v_addc_co_u32_e32 v11, vcc, 0, v11, vcc
	v_cmp_gt_i32_e32 vcc, s14, v61
	s_waitcnt vmcnt(0) lgkmcnt(0)
	ds_write_b128 v62, v[95:98] offset:16384
	buffer_store_dword v52, off, s[0:3], 0
	buffer_store_dword v52, off, s[0:3], 0 offset:4
	buffer_store_dword v52, off, s[0:3], 0 offset:8
	;; [unrolled: 1-line block ×3, first 2 shown]
	v_cndmask_b32_e32 v11, v15, v11, vcc
	v_cndmask_b32_e32 v10, v60, v10, vcc
	flat_load_dwordx4 v[10:13], v[10:11]
	v_pk_fma_f16 v26, v67, v35, v26
	v_pk_fma_f16 v33, v67, v36, v33
	v_pk_fma_f16 v28, v67, v37, v28
	v_pk_fma_f16 v43, v68, v35, v47
	v_pk_fma_f16 v40, v68, v36, v40
	v_pk_fma_f16 v29, v68, v37, v29
	v_pk_fma_f16 v47, v69, v35, v48
	v_pk_fma_f16 v44, v69, v36, v44
	v_pk_fma_f16 v30, v69, v37, v30
	v_pk_fma_f16 v32, v70, v35, v32
	v_pk_fma_f16 v1, v70, v36, v1
	v_mul_u32_u24_sdwa v35, v83, s6 dst_sel:DWORD dst_unused:UNUSED_PAD src0_sel:WORD_0 src1_sel:DWORD
	v_mul_u32_u24_sdwa v15, v83, s6 dst_sel:DWORD dst_unused:UNUSED_PAD src0_sel:WORD_1 src1_sel:DWORD
	v_mul_u32_u24_sdwa v25, v84, s6 dst_sel:DWORD dst_unused:UNUSED_PAD src0_sel:WORD_0 src1_sel:DWORD
	v_mul_u32_u24_sdwa v36, v84, s6 dst_sel:DWORD dst_unused:UNUSED_PAD src0_sel:WORD_1 src1_sel:DWORD
	v_pk_fma_f16 v37, v71, v35, v38
	v_pk_fma_f16 v26, v71, v15, v26
	v_pk_fma_f16 v33, v71, v25, v33
	v_pk_fma_f16 v28, v71, v36, v28
	v_pk_fma_f16 v38, v72, v35, v39
	v_pk_fma_f16 v39, v72, v15, v43
	v_pk_fma_f16 v40, v72, v25, v40
	v_pk_fma_f16 v29, v72, v36, v29
	v_pk_fma_f16 v42, v73, v35, v42
	v_pk_fma_f16 v43, v73, v15, v47
	v_pk_fma_f16 v44, v73, v25, v44
	v_pk_fma_f16 v30, v73, v36, v30
	v_pk_fma_f16 v31, v74, v35, v31
	v_pk_fma_f16 v15, v74, v15, v32
	v_pk_fma_f16 v1, v74, v25, v1
	v_pk_fma_f16 v25, v74, v36, v34
	v_mul_u32_u24_sdwa v32, v85, s6 dst_sel:DWORD dst_unused:UNUSED_PAD src0_sel:WORD_0 src1_sel:DWORD
	v_mul_u32_u24_sdwa v34, v85, s6 dst_sel:DWORD dst_unused:UNUSED_PAD src0_sel:WORD_1 src1_sel:DWORD
	v_mul_u32_u24_sdwa v35, v86, s6 dst_sel:DWORD dst_unused:UNUSED_PAD src0_sel:WORD_0 src1_sel:DWORD
	v_mul_u32_u24_sdwa v36, v86, s6 dst_sel:DWORD dst_unused:UNUSED_PAD src0_sel:WORD_1 src1_sel:DWORD
	v_pk_fma_f16 v37, v75, v32, v37
	v_pk_fma_f16 v26, v75, v34, v26
	v_pk_fma_f16 v33, v75, v35, v33
	v_pk_fma_f16 v28, v75, v36, v28
	v_pk_fma_f16 v38, v76, v32, v38
	;; [unrolled: 20-line block ×4, first 2 shown]
	v_pk_fma_f16 v63, v92, v34, v39
	v_pk_fma_f16 v40, v92, v35, v40
	;; [unrolled: 1-line block ×11, first 2 shown]
	s_waitcnt vmcnt(0) lgkmcnt(0)
	ds_write_b128 v14, v[10:13] offset:16384
	s_waitcnt lgkmcnt(0)
	s_barrier
	ds_read_b128 v[10:13], v41 offset:25216
	ds_read2_b64 v[28:31], v4 offset1:32
	ds_read_b128 v[32:35], v41 offset:25232
	ds_read_b128 v[36:39], v41 offset:25248
	;; [unrolled: 1-line block ×3, first 2 shown]
	s_waitcnt lgkmcnt(4)
	v_mul_u32_u24_sdwa v14, v10, s6 dst_sel:DWORD dst_unused:UNUSED_PAD src0_sel:WORD_0 src1_sel:DWORD
	v_mul_u32_u24_sdwa v10, v10, s6 dst_sel:DWORD dst_unused:UNUSED_PAD src0_sel:WORD_1 src1_sel:DWORD
	v_mul_u32_u24_sdwa v67, v11, s6 dst_sel:DWORD dst_unused:UNUSED_PAD src0_sel:WORD_0 src1_sel:DWORD
	v_mul_u32_u24_sdwa v11, v11, s6 dst_sel:DWORD dst_unused:UNUSED_PAD src0_sel:WORD_1 src1_sel:DWORD
	s_waitcnt lgkmcnt(3)
	v_pk_fma_f16 v52, v28, v14, v52
	v_pk_fma_f16 v26, v28, v10, v26
	v_pk_fma_f16 v60, v28, v67, v60
	v_pk_fma_f16 v61, v28, v11, v61
	v_pk_fma_f16 v62, v29, v14, v62
	v_pk_fma_f16 v63, v29, v10, v63
	v_pk_fma_f16 v40, v29, v67, v40
	v_pk_fma_f16 v64, v29, v11, v64
	v_pk_fma_f16 v42, v30, v14, v42
	v_pk_fma_f16 v43, v30, v10, v43
	v_pk_fma_f16 v44, v30, v67, v44
	v_pk_fma_f16 v65, v30, v11, v65
	v_pk_fma_f16 v14, v31, v14, v66
	v_pk_fma_f16 v10, v31, v10, v15
	v_pk_fma_f16 v1, v31, v67, v1
	v_pk_fma_f16 v11, v31, v11, v25
	ds_read2_b64 v[28:31], v4 offset0:64 offset1:96
	v_mul_u32_u24_sdwa v15, v12, s6 dst_sel:DWORD dst_unused:UNUSED_PAD src0_sel:WORD_0 src1_sel:DWORD
	v_mul_u32_u24_sdwa v12, v12, s6 dst_sel:DWORD dst_unused:UNUSED_PAD src0_sel:WORD_1 src1_sel:DWORD
	v_mul_u32_u24_sdwa v25, v13, s6 dst_sel:DWORD dst_unused:UNUSED_PAD src0_sel:WORD_0 src1_sel:DWORD
	v_mul_u32_u24_sdwa v13, v13, s6 dst_sel:DWORD dst_unused:UNUSED_PAD src0_sel:WORD_1 src1_sel:DWORD
	s_waitcnt lgkmcnt(0)
	v_pk_fma_f16 v52, v28, v15, v52
	v_pk_fma_f16 v26, v28, v12, v26
	v_pk_fma_f16 v60, v28, v25, v60
	v_pk_fma_f16 v28, v28, v13, v61
	v_pk_fma_f16 v61, v29, v15, v62
	v_pk_fma_f16 v62, v29, v12, v63
	v_pk_fma_f16 v40, v29, v25, v40
	v_pk_fma_f16 v29, v29, v13, v64
	v_pk_fma_f16 v42, v30, v15, v42
	v_pk_fma_f16 v43, v30, v12, v43
	v_pk_fma_f16 v44, v30, v25, v44
	v_pk_fma_f16 v30, v30, v13, v65
	v_pk_fma_f16 v14, v31, v15, v14
	v_pk_fma_f16 v15, v31, v12, v10
	v_pk_fma_f16 v1, v31, v25, v1
	v_pk_fma_f16 v25, v31, v13, v11
	ds_read2_b64 v[10:13], v4 offset0:128 offset1:160
	;; [unrolled: 22-line block ×3, first 2 shown]
	v_mul_u32_u24_sdwa v4, v34, s6 dst_sel:DWORD dst_unused:UNUSED_PAD src0_sel:WORD_0 src1_sel:DWORD
	v_mul_u32_u24_sdwa v31, v34, s6 dst_sel:DWORD dst_unused:UNUSED_PAD src0_sel:WORD_1 src1_sel:DWORD
	v_mul_u32_u24_sdwa v32, v35, s6 dst_sel:DWORD dst_unused:UNUSED_PAD src0_sel:WORD_0 src1_sel:DWORD
	v_mul_u32_u24_sdwa v33, v35, s6 dst_sel:DWORD dst_unused:UNUSED_PAD src0_sel:WORD_1 src1_sel:DWORD
	s_waitcnt lgkmcnt(0)
	v_pk_fma_f16 v34, v10, v4, v52
	v_pk_fma_f16 v26, v10, v31, v26
	;; [unrolled: 1-line block ×16, first 2 shown]
	ds_read2_b64 v[10:13], v5 offset1:32
	v_mul_u32_u24_sdwa v25, v36, s6 dst_sel:DWORD dst_unused:UNUSED_PAD src0_sel:WORD_0 src1_sel:DWORD
	v_mul_u32_u24_sdwa v31, v36, s6 dst_sel:DWORD dst_unused:UNUSED_PAD src0_sel:WORD_1 src1_sel:DWORD
	v_mul_u32_u24_sdwa v32, v37, s6 dst_sel:DWORD dst_unused:UNUSED_PAD src0_sel:WORD_0 src1_sel:DWORD
	v_mul_u32_u24_sdwa v33, v37, s6 dst_sel:DWORD dst_unused:UNUSED_PAD src0_sel:WORD_1 src1_sel:DWORD
	s_waitcnt lgkmcnt(0)
	v_pk_fma_f16 v34, v10, v25, v34
	v_pk_fma_f16 v26, v10, v31, v26
	v_pk_fma_f16 v35, v10, v32, v35
	v_pk_fma_f16 v28, v10, v33, v28
	v_pk_fma_f16 v36, v11, v25, v52
	v_pk_fma_f16 v37, v11, v31, v60
	v_pk_fma_f16 v40, v11, v32, v40
	v_pk_fma_f16 v29, v11, v33, v29
	v_pk_fma_f16 v42, v12, v25, v42
	v_pk_fma_f16 v43, v12, v31, v43
	v_pk_fma_f16 v44, v12, v32, v44
	v_pk_fma_f16 v30, v12, v33, v30
	v_pk_fma_f16 v4, v13, v25, v4
	v_pk_fma_f16 v14, v13, v31, v14
	v_pk_fma_f16 v1, v13, v32, v1
	v_pk_fma_f16 v15, v13, v33, v15
	ds_read2_b64 v[10:13], v5 offset0:64 offset1:96
	v_mul_u32_u24_sdwa v25, v38, s6 dst_sel:DWORD dst_unused:UNUSED_PAD src0_sel:WORD_0 src1_sel:DWORD
	v_mul_u32_u24_sdwa v31, v38, s6 dst_sel:DWORD dst_unused:UNUSED_PAD src0_sel:WORD_1 src1_sel:DWORD
	v_mul_u32_u24_sdwa v32, v39, s6 dst_sel:DWORD dst_unused:UNUSED_PAD src0_sel:WORD_0 src1_sel:DWORD
	v_mul_u32_u24_sdwa v33, v39, s6 dst_sel:DWORD dst_unused:UNUSED_PAD src0_sel:WORD_1 src1_sel:DWORD
	s_waitcnt lgkmcnt(0)
	v_pk_fma_f16 v34, v10, v25, v34
	v_pk_fma_f16 v26, v10, v31, v26
	v_pk_fma_f16 v35, v10, v32, v35
	v_pk_fma_f16 v28, v10, v33, v28
	v_pk_fma_f16 v36, v11, v25, v36
	v_pk_fma_f16 v37, v11, v31, v37
	v_pk_fma_f16 v38, v11, v32, v40
	v_pk_fma_f16 v29, v11, v33, v29
	v_pk_fma_f16 v39, v12, v25, v42
	v_pk_fma_f16 v40, v12, v31, v43
	v_pk_fma_f16 v42, v12, v32, v44
	v_pk_fma_f16 v30, v12, v33, v30
	v_pk_fma_f16 v4, v13, v25, v4
	v_pk_fma_f16 v14, v13, v31, v14
	v_pk_fma_f16 v1, v13, v32, v1
	v_pk_fma_f16 v15, v13, v33, v15
	ds_read2_b64 v[10:13], v5 offset0:128 offset1:160
	;; [unrolled: 22-line block ×3, first 2 shown]
	v_mul_u32_u24_sdwa v33, v50, s6 dst_sel:DWORD dst_unused:UNUSED_PAD src0_sel:WORD_1 src1_sel:DWORD
	v_mul_u32_u24_sdwa v5, v49, s6 dst_sel:DWORD dst_unused:UNUSED_PAD src0_sel:WORD_0 src1_sel:DWORD
	v_mul_u32_u24_sdwa v25, v49, s6 dst_sel:DWORD dst_unused:UNUSED_PAD src0_sel:WORD_1 src1_sel:DWORD
	v_mul_u32_u24_sdwa v32, v50, s6 dst_sel:DWORD dst_unused:UNUSED_PAD src0_sel:WORD_0 src1_sel:DWORD
	s_waitcnt lgkmcnt(0)
	v_pk_fma_f16 v47, v10, v33, v28
	v_pk_fma_f16 v48, v11, v33, v29
	v_pk_fma_f16 v49, v12, v33, v30
	ds_read_b128 v[28:31], v41 offset:25280
	v_pk_fma_f16 v43, v10, v5, v34
	v_pk_fma_f16 v26, v10, v25, v26
	;; [unrolled: 1-line block ×13, first 2 shown]
	ds_read2_b64 v[10:13], v3 offset1:32
	ds_read_b128 v[32:35], v41 offset:25296
	s_waitcnt lgkmcnt(2)
	v_mul_u32_u24_sdwa v15, v28, s6 dst_sel:DWORD dst_unused:UNUSED_PAD src0_sel:WORD_0 src1_sel:DWORD
	v_mul_u32_u24_sdwa v25, v28, s6 dst_sel:DWORD dst_unused:UNUSED_PAD src0_sel:WORD_1 src1_sel:DWORD
	v_mul_u32_u24_sdwa v28, v29, s6 dst_sel:DWORD dst_unused:UNUSED_PAD src0_sel:WORD_0 src1_sel:DWORD
	v_mul_u32_u24_sdwa v29, v29, s6 dst_sel:DWORD dst_unused:UNUSED_PAD src0_sel:WORD_1 src1_sel:DWORD
	s_waitcnt lgkmcnt(1)
	v_pk_fma_f16 v43, v10, v15, v43
	v_pk_fma_f16 v26, v10, v25, v26
	v_pk_fma_f16 v44, v10, v28, v44
	v_pk_fma_f16 v47, v10, v29, v47
	v_pk_fma_f16 v36, v11, v15, v36
	v_pk_fma_f16 v37, v11, v25, v37
	v_pk_fma_f16 v38, v11, v28, v38
	v_pk_fma_f16 v48, v11, v29, v48
	v_pk_fma_f16 v39, v12, v15, v39
	v_pk_fma_f16 v40, v12, v25, v40
	v_pk_fma_f16 v42, v12, v28, v42
	v_pk_fma_f16 v49, v12, v29, v49
	v_pk_fma_f16 v4, v13, v15, v4
	v_pk_fma_f16 v5, v13, v25, v5
	v_pk_fma_f16 v1, v13, v28, v1
	v_pk_fma_f16 v14, v13, v29, v14
	ds_read2_b64 v[10:13], v3 offset0:64 offset1:96
	v_mul_u32_u24_sdwa v15, v30, s6 dst_sel:DWORD dst_unused:UNUSED_PAD src0_sel:WORD_0 src1_sel:DWORD
	v_mul_u32_u24_sdwa v25, v30, s6 dst_sel:DWORD dst_unused:UNUSED_PAD src0_sel:WORD_1 src1_sel:DWORD
	v_mul_u32_u24_sdwa v28, v31, s6 dst_sel:DWORD dst_unused:UNUSED_PAD src0_sel:WORD_0 src1_sel:DWORD
	v_mul_u32_u24_sdwa v29, v31, s6 dst_sel:DWORD dst_unused:UNUSED_PAD src0_sel:WORD_1 src1_sel:DWORD
	s_waitcnt lgkmcnt(0)
	v_pk_fma_f16 v30, v10, v15, v43
	v_pk_fma_f16 v26, v10, v25, v26
	v_pk_fma_f16 v31, v10, v28, v44
	v_pk_fma_f16 v43, v10, v29, v47
	v_pk_fma_f16 v36, v11, v15, v36
	v_pk_fma_f16 v37, v11, v25, v37
	v_pk_fma_f16 v38, v11, v28, v38
	v_pk_fma_f16 v44, v11, v29, v48
	v_pk_fma_f16 v39, v12, v15, v39
	v_pk_fma_f16 v40, v12, v25, v40
	v_pk_fma_f16 v42, v12, v28, v42
	v_pk_fma_f16 v47, v12, v29, v49
	v_pk_fma_f16 v4, v13, v15, v4
	v_pk_fma_f16 v5, v13, v25, v5
	v_pk_fma_f16 v1, v13, v28, v1
	v_pk_fma_f16 v14, v13, v29, v14
	ds_read2_b64 v[10:13], v3 offset0:128 offset1:160
	;; [unrolled: 22-line block ×3, first 2 shown]
	v_mul_u32_u24_sdwa v3, v34, s6 dst_sel:DWORD dst_unused:UNUSED_PAD src0_sel:WORD_0 src1_sel:DWORD
	v_mul_u32_u24_sdwa v25, v35, s6 dst_sel:DWORD dst_unused:UNUSED_PAD src0_sel:WORD_0 src1_sel:DWORD
	v_mul_u32_u24_sdwa v15, v34, s6 dst_sel:DWORD dst_unused:UNUSED_PAD src0_sel:WORD_1 src1_sel:DWORD
	v_mul_u32_u24_sdwa v34, v35, s6 dst_sel:DWORD dst_unused:UNUSED_PAD src0_sel:WORD_1 src1_sel:DWORD
	s_waitcnt lgkmcnt(0)
	v_pk_fma_f16 v44, v10, v3, v30
	v_pk_fma_f16 v47, v10, v25, v31
	ds_read_b128 v[28:31], v41 offset:25312
	v_pk_fma_f16 v26, v10, v15, v26
	v_pk_fma_f16 v48, v10, v34, v32
	;; [unrolled: 1-line block ×14, first 2 shown]
	ds_read2_b64 v[10:13], v2 offset1:32
	ds_read_b128 v[32:35], v41 offset:25328
	s_waitcnt lgkmcnt(2)
	v_mul_u32_u24_sdwa v14, v28, s6 dst_sel:DWORD dst_unused:UNUSED_PAD src0_sel:WORD_0 src1_sel:DWORD
	v_mul_u32_u24_sdwa v15, v28, s6 dst_sel:DWORD dst_unused:UNUSED_PAD src0_sel:WORD_1 src1_sel:DWORD
	v_mul_u32_u24_sdwa v25, v29, s6 dst_sel:DWORD dst_unused:UNUSED_PAD src0_sel:WORD_0 src1_sel:DWORD
	v_mul_u32_u24_sdwa v28, v29, s6 dst_sel:DWORD dst_unused:UNUSED_PAD src0_sel:WORD_1 src1_sel:DWORD
	s_waitcnt lgkmcnt(1)
	v_pk_fma_f16 v29, v10, v14, v44
	v_pk_fma_f16 v26, v10, v15, v26
	;; [unrolled: 1-line block ×16, first 2 shown]
	ds_read2_b64 v[10:13], v2 offset0:64 offset1:96
	v_mul_u32_u24_sdwa v14, v30, s6 dst_sel:DWORD dst_unused:UNUSED_PAD src0_sel:WORD_0 src1_sel:DWORD
	v_mul_u32_u24_sdwa v15, v30, s6 dst_sel:DWORD dst_unused:UNUSED_PAD src0_sel:WORD_1 src1_sel:DWORD
	v_mul_u32_u24_sdwa v25, v31, s6 dst_sel:DWORD dst_unused:UNUSED_PAD src0_sel:WORD_0 src1_sel:DWORD
	v_mul_u32_u24_sdwa v28, v31, s6 dst_sel:DWORD dst_unused:UNUSED_PAD src0_sel:WORD_1 src1_sel:DWORD
	s_waitcnt lgkmcnt(0)
	v_pk_fma_f16 v29, v10, v14, v29
	v_pk_fma_f16 v26, v10, v15, v26
	;; [unrolled: 1-line block ×16, first 2 shown]
	ds_read2_b64 v[10:13], v2 offset0:128 offset1:160
	v_mul_u32_u24_sdwa v14, v32, s6 dst_sel:DWORD dst_unused:UNUSED_PAD src0_sel:WORD_0 src1_sel:DWORD
	v_mul_u32_u24_sdwa v15, v32, s6 dst_sel:DWORD dst_unused:UNUSED_PAD src0_sel:WORD_1 src1_sel:DWORD
	v_mul_u32_u24_sdwa v25, v33, s6 dst_sel:DWORD dst_unused:UNUSED_PAD src0_sel:WORD_0 src1_sel:DWORD
	v_mul_u32_u24_sdwa v28, v33, s6 dst_sel:DWORD dst_unused:UNUSED_PAD src0_sel:WORD_1 src1_sel:DWORD
	s_waitcnt lgkmcnt(0)
	v_pk_fma_f16 v29, v10, v14, v29
	v_pk_fma_f16 v26, v10, v15, v26
	v_pk_fma_f16 v30, v10, v25, v30
	v_pk_fma_f16 v10, v10, v28, v31
	v_pk_fma_f16 v31, v11, v14, v41
	v_pk_fma_f16 v33, v11, v15, v36
	v_pk_fma_f16 v41, v11, v25, v37
	v_pk_fma_f16 v11, v11, v28, v38
	v_pk_fma_f16 v38, v12, v14, v39
	v_pk_fma_f16 v39, v12, v15, v40
	v_pk_fma_f16 v47, v12, v25, v42
	v_pk_fma_f16 v14, v13, v14, v3
	v_pk_fma_f16 v15, v13, v15, v4
	v_pk_fma_f16 v25, v13, v25, v1
	ds_read2_b64 v[1:4], v2 offset0:192 offset1:224
	v_pk_fma_f16 v12, v12, v28, v43
	v_pk_fma_f16 v5, v13, v28, v5
	v_mul_u32_u24_sdwa v13, v34, s6 dst_sel:DWORD dst_unused:UNUSED_PAD src0_sel:WORD_0 src1_sel:DWORD
	v_mul_u32_u24_sdwa v28, v34, s6 dst_sel:DWORD dst_unused:UNUSED_PAD src0_sel:WORD_1 src1_sel:DWORD
	v_mul_u32_u24_sdwa v34, v35, s6 dst_sel:DWORD dst_unused:UNUSED_PAD src0_sel:WORD_0 src1_sel:DWORD
	v_mul_u32_u24_sdwa v48, v35, s6 dst_sel:DWORD dst_unused:UNUSED_PAD src0_sel:WORD_1 src1_sel:DWORD
	s_waitcnt lgkmcnt(0)
	v_pk_fma_f16 v37, v1, v13, v29
	v_pk_fma_f16 v36, v1, v28, v26
	;; [unrolled: 1-line block ×15, first 2 shown]
	v_mov_b32_e32 v2, v6
	v_pk_fma_f16 v30, v1, v48, v10
	v_mov_b32_e32 v47, v51
	v_mov_b32_e32 v50, v46
	;; [unrolled: 1-line block ×7, first 2 shown]
	s_barrier
.LBB70_79:
	v_cmp_lt_i32_e32 vcc, v55, v54
	v_cndmask_b32_e32 v1, v53, v55, vcc
	v_lshlrev_b32_e32 v1, 2, v1
	ds_bpermute_b32 v6, v1, v49
	ds_bpermute_b32 v12, v1, v48
	ds_bpermute_b32 v13, v1, v50
	ds_bpermute_b32 v1, v1, v47
	v_cmp_lt_i32_e32 vcc, v56, v54
	v_cndmask_b32_e32 v7, v53, v56, vcc
	v_lshlrev_b32_e32 v7, 2, v7
	s_waitcnt lgkmcnt(3)
	v_add_f32_e32 v6, v49, v6
	s_waitcnt lgkmcnt(2)
	v_add_f32_e32 v12, v48, v12
	s_waitcnt lgkmcnt(1)
	v_add_f32_e32 v13, v50, v13
	s_waitcnt lgkmcnt(0)
	v_add_f32_e32 v1, v47, v1
	ds_bpermute_b32 v8, v7, v6
	ds_bpermute_b32 v14, v7, v12
	ds_bpermute_b32 v15, v7, v13
	ds_bpermute_b32 v7, v7, v1
	v_cmp_lt_i32_e32 vcc, v57, v54
	v_cndmask_b32_e32 v9, v53, v57, vcc
	v_lshlrev_b32_e32 v9, 2, v9
	s_waitcnt lgkmcnt(3)
	v_add_f32_e32 v6, v6, v8
	s_waitcnt lgkmcnt(2)
	v_add_f32_e32 v12, v12, v14
	s_waitcnt lgkmcnt(1)
	v_add_f32_e32 v13, v13, v15
	s_waitcnt lgkmcnt(0)
	v_add_f32_e32 v1, v1, v7
	ds_bpermute_b32 v8, v9, v6
	ds_bpermute_b32 v14, v9, v12
	ds_bpermute_b32 v15, v9, v13
	ds_bpermute_b32 v7, v9, v1
	v_cmp_lt_i32_e32 vcc, v58, v54
	v_cndmask_b32_e32 v10, v53, v58, vcc
	v_lshlrev_b32_e32 v10, 2, v10
	s_waitcnt lgkmcnt(3)
	v_add_f32_e32 v6, v6, v8
	s_waitcnt lgkmcnt(2)
	v_add_f32_e32 v9, v12, v14
	s_waitcnt lgkmcnt(1)
	v_add_f32_e32 v13, v13, v15
	s_waitcnt lgkmcnt(0)
	v_add_f32_e32 v1, v1, v7
	ds_bpermute_b32 v8, v10, v6
	ds_bpermute_b32 v12, v10, v9
	ds_bpermute_b32 v14, v10, v13
	ds_bpermute_b32 v7, v10, v1
	v_cmp_lt_i32_e32 vcc, v59, v54
	v_cndmask_b32_e32 v11, v53, v59, vcc
	v_lshlrev_b32_e32 v11, 2, v11
	s_waitcnt lgkmcnt(3)
	v_add_f32_e32 v6, v6, v8
	s_waitcnt lgkmcnt(2)
	v_add_f32_e32 v9, v9, v12
	s_waitcnt lgkmcnt(1)
	v_add_f32_e32 v12, v13, v14
	s_waitcnt lgkmcnt(0)
	v_add_f32_e32 v1, v1, v7
	ds_bpermute_b32 v8, v11, v6
	ds_bpermute_b32 v10, v11, v9
	;; [unrolled: 1-line block ×4, first 2 shown]
	s_cmp_eq_u64 s[20:21], 0
	s_cselect_b64 s[6:7], -1, 0
	s_cmp_lg_u32 s9, 0
	s_cselect_b64 s[10:11], -1, 0
	s_or_b64 s[6:7], s[10:11], s[6:7]
	s_waitcnt lgkmcnt(3)
	v_add_f32_e32 v6, v6, v8
	s_waitcnt lgkmcnt(2)
	v_add_f32_e32 v7, v9, v10
	;; [unrolled: 2-line block ×4, first 2 shown]
	s_and_b64 vcc, exec, s[6:7]
	s_cbranch_vccnz .LBB70_82
; %bb.80:
	s_lshl_b64 s[6:7], s[34:35], 2
	s_add_u32 s6, s20, s6
	s_addc_u32 s7, s21, s7
	v_mov_b32_e32 v1, 0
	global_load_dword v1, v1, s[6:7]
	v_max_f32_e32 v10, v2, v2
	v_max_f32_e32 v11, v3, v3
	s_mov_b32 s8, 0x3fb8aa3b
	s_mov_b32 s7, 0xc2ce8ed0
	;; [unrolled: 1-line block ×3, first 2 shown]
	v_max_f32_e32 v12, v4, v4
	v_mov_b32_e32 v13, 0x7f800000
	s_waitcnt vmcnt(0)
	v_max_f32_e32 v14, v1, v1
	v_max_f32_e32 v45, v10, v14
	v_sub_f32_e32 v2, v2, v45
	v_max_f32_e32 v46, v11, v14
	v_sub_f32_e32 v10, v1, v45
	v_mul_f32_e32 v15, 0x3fb8aa3b, v2
	v_sub_f32_e32 v3, v3, v46
	v_mul_f32_e32 v25, 0x3fb8aa3b, v10
	v_fma_f32 v49, v2, s8, -v15
	v_rndne_f32_e32 v50, v15
	v_sub_f32_e32 v11, v1, v46
	v_mul_f32_e32 v26, 0x3fb8aa3b, v3
	v_fma_f32 v51, v10, s8, -v25
	v_rndne_f32_e32 v52, v25
	v_fmac_f32_e32 v49, 0x32a5705f, v2
	v_sub_f32_e32 v15, v15, v50
	v_mul_f32_e32 v27, 0x3fb8aa3b, v11
	v_fma_f32 v53, v3, s8, -v26
	v_rndne_f32_e32 v54, v26
	v_fmac_f32_e32 v51, 0x32a5705f, v10
	v_sub_f32_e32 v25, v25, v52
	v_add_f32_e32 v15, v15, v49
	v_fma_f32 v55, v11, s8, -v27
	v_rndne_f32_e32 v56, v27
	v_cvt_i32_f32_e32 v50, v50
	v_fmac_f32_e32 v53, 0x32a5705f, v3
	v_sub_f32_e32 v26, v26, v54
	v_add_f32_e32 v25, v25, v51
	v_exp_f32_e32 v15, v15
	v_cvt_i32_f32_e32 v52, v52
	v_fmac_f32_e32 v55, 0x32a5705f, v11
	v_sub_f32_e32 v27, v27, v56
	v_add_f32_e32 v26, v26, v53
	v_exp_f32_e32 v25, v25
	v_cvt_i32_f32_e32 v54, v54
	v_add_f32_e32 v27, v27, v55
	v_exp_f32_e32 v26, v26
	v_cvt_i32_f32_e32 v56, v56
	v_exp_f32_e32 v27, v27
	v_ldexp_f32 v15, v15, v50
	v_cmp_ngt_f32_e32 vcc, s7, v2
	v_ldexp_f32 v25, v25, v52
	v_cndmask_b32_e32 v15, 0, v15, vcc
	v_cmp_ngt_f32_e32 vcc, s7, v10
	v_ldexp_f32 v26, v26, v54
	v_cndmask_b32_e32 v25, 0, v25, vcc
	;; [unrolled: 3-line block ×3, first 2 shown]
	v_cmp_ngt_f32_e32 vcc, s7, v11
	v_max_f32_e32 v47, v12, v14
	v_cndmask_b32_e32 v27, 0, v27, vcc
	v_cmp_nlt_f32_e32 vcc, s6, v2
	v_sub_f32_e32 v4, v4, v47
	v_cndmask_b32_e32 v2, v13, v15, vcc
	v_cmp_nlt_f32_e32 vcc, s6, v10
	v_mul_f32_e32 v41, 0x3fb8aa3b, v4
	v_cndmask_b32_e32 v10, v13, v25, vcc
	v_cmp_nlt_f32_e32 vcc, s6, v3
	v_fma_f32 v57, v4, s8, -v41
	v_rndne_f32_e32 v58, v41
	v_cndmask_b32_e32 v3, v13, v26, vcc
	v_sub_f32_e32 v12, v1, v47
	v_fmac_f32_e32 v57, 0x32a5705f, v4
	v_sub_f32_e32 v41, v41, v58
	v_cvt_f16_f32_e32 v15, v2
	v_cvt_f16_f32_e32 v25, v3
	v_mul_f32_e32 v48, 0x3fb8aa3b, v12
	v_add_f32_e32 v41, v41, v57
	v_fma_f32 v59, v12, s8, -v48
	v_rndne_f32_e32 v60, v48
	v_cvt_i32_f32_e32 v58, v58
	v_exp_f32_e32 v41, v41
	v_cmp_nlt_f32_e32 vcc, s6, v11
	v_fmac_f32_e32 v59, 0x32a5705f, v12
	v_sub_f32_e32 v48, v48, v60
	v_cndmask_b32_e32 v11, v13, v27, vcc
	v_add_f32_e32 v48, v48, v59
	v_fmac_f32_e32 v10, v6, v2
	v_fmac_f32_e32 v11, v7, v3
	v_mul_u32_u24_e32 v2, 0x10001, v15
	v_mul_u32_u24_e32 v3, 0x10001, v25
	v_pk_mul_f16 v37, v37, v2
	v_pk_mul_f16 v44, v44, v2
	;; [unrolled: 1-line block ×8, first 2 shown]
	v_exp_f32_e32 v2, v48
	v_cvt_i32_f32_e32 v3, v60
	v_ldexp_f32 v41, v41, v58
	v_cmp_ngt_f32_e32 vcc, s7, v4
	v_cndmask_b32_e32 v6, 0, v41, vcc
	v_cmp_nlt_f32_e32 vcc, s6, v4
	v_cndmask_b32_e32 v4, v13, v6, vcc
	v_ldexp_f32 v2, v2, v3
	v_cvt_f16_f32_e32 v3, v4
	v_cmp_ngt_f32_e32 vcc, s7, v12
	v_cndmask_b32_e32 v2, 0, v2, vcc
	v_cmp_nlt_f32_e32 vcc, s6, v12
	v_cndmask_b32_e32 v12, v13, v2, vcc
	v_mul_u32_u24_e32 v2, 0x10001, v3
	v_max_f32_e32 v3, v5, v5
	v_max_f32_e32 v48, v3, v14
	v_sub_f32_e32 v3, v5, v48
	v_fmac_f32_e32 v12, v8, v4
	v_mul_f32_e32 v4, 0x3fb8aa3b, v3
	v_fma_f32 v5, v3, s8, -v4
	v_rndne_f32_e32 v6, v4
	v_fmac_f32_e32 v5, 0x32a5705f, v3
	v_sub_f32_e32 v4, v4, v6
	v_add_f32_e32 v4, v4, v5
	v_exp_f32_e32 v4, v4
	v_cvt_i32_f32_e32 v5, v6
	v_sub_f32_e32 v1, v1, v48
	v_pk_mul_f16 v32, v32, v2
	v_pk_mul_f16 v35, v35, v2
	;; [unrolled: 1-line block ×4, first 2 shown]
	v_ldexp_f32 v2, v4, v5
	v_mul_f32_e32 v4, 0x3fb8aa3b, v1
	v_fma_f32 v5, v1, s8, -v4
	v_rndne_f32_e32 v6, v4
	v_fmac_f32_e32 v5, 0x32a5705f, v1
	v_sub_f32_e32 v4, v4, v6
	v_add_f32_e32 v4, v4, v5
	v_exp_f32_e32 v4, v4
	v_cvt_i32_f32_e32 v5, v6
	v_cmp_ngt_f32_e32 vcc, s7, v3
	v_cndmask_b32_e32 v2, 0, v2, vcc
	v_cmp_nlt_f32_e32 vcc, s6, v3
	v_cndmask_b32_e32 v2, v13, v2, vcc
	v_ldexp_f32 v3, v4, v5
	v_cvt_f16_f32_e32 v4, v2
	v_cmp_ngt_f32_e32 vcc, s7, v1
	v_cndmask_b32_e32 v3, 0, v3, vcc
	v_cmp_nlt_f32_e32 vcc, s6, v1
	v_cndmask_b32_e32 v13, v13, v3, vcc
	v_fmac_f32_e32 v13, v9, v2
	v_mul_u32_u24_e32 v1, 0x10001, v4
	v_mov_b32_e32 v6, v10
	v_mov_b32_e32 v2, v45
	v_pk_mul_f16 v30, v30, v1
	v_pk_mul_f16 v31, v31, v1
	;; [unrolled: 1-line block ×4, first 2 shown]
	v_mov_b32_e32 v7, v11
	v_mov_b32_e32 v8, v12
	;; [unrolled: 1-line block ×6, first 2 shown]
	v_cmp_gt_i32_e32 vcc, s30, v24
	s_and_saveexec_b64 s[6:7], vcc
	s_cbranch_execnz .LBB70_83
.LBB70_81:
	s_endpgm
.LBB70_82:
	v_mov_b32_e32 v10, v6
	v_mov_b32_e32 v11, v7
	;; [unrolled: 1-line block ×4, first 2 shown]
	v_cmp_gt_i32_e32 vcc, s30, v24
	s_and_saveexec_b64 s[6:7], vcc
	s_cbranch_execz .LBB70_81
.LBB70_83:
	s_load_dword s8, s[4:5], 0xd4
	v_mov_b32_e32 v1, 1.0
	s_waitcnt lgkmcnt(0)
	s_cmp_lg_u32 s8, 1
	s_cselect_b64 s[6:7], -1, 0
	s_cmp_eq_u32 s8, 1
	s_cselect_b64 s[10:11], -1, 0
	s_and_b64 vcc, exec, s[6:7]
	s_cbranch_vccnz .LBB70_85
; %bb.84:
	v_div_scale_f32 v1, s[4:5], v10, v10, 1.0
	v_div_scale_f32 v14, vcc, 1.0, v10, 1.0
	v_rcp_f32_e32 v15, v1
	v_fma_f32 v24, -v1, v15, 1.0
	v_fmac_f32_e32 v15, v24, v15
	v_mul_f32_e32 v24, v14, v15
	v_fma_f32 v25, -v1, v24, v14
	v_fmac_f32_e32 v24, v25, v15
	v_fma_f32 v1, -v1, v24, v14
	v_div_fmas_f32 v1, v1, v15, v24
	v_div_fixup_f32 v1, v1, v10, 1.0
.LBB70_85:
	s_mul_i32 s12, s33, s30
	s_add_i32 s12, s12, s18
	v_add_u32_e32 v10, s12, v23
	v_mul_lo_u32 v10, v10, s31
	v_cmp_eq_u32_e32 vcc, 0, v0
	v_cvt_f32_f16_sdwa v0, v44 dst_sel:DWORD dst_unused:UNUSED_PAD src0_sel:WORD_1
	v_cvt_f32_f16_e32 v15, v44
	v_add_u32_e32 v10, s34, v10
	v_mul_lo_u32 v10, s8, v10
	v_mul_f32_e32 v26, v1, v0
	v_cvt_f32_f16_sdwa v23, v37 dst_sel:DWORD dst_unused:UNUSED_PAD src0_sel:WORD_1
	v_cvt_f32_f16_e32 v27, v37
	v_add_u32_e32 v0, s9, v10
	v_lshl_add_u32 v14, v0, 8, v17
	v_mul_f32_e32 v25, v1, v15
	v_mov_b32_e32 v15, 0
	v_lshlrev_b64 v[44:45], 2, v[14:15]
	v_mov_b32_e32 v10, s25
	v_add_co_u32_e64 v44, s[4:5], s24, v44
	v_mul_f32_e32 v24, v1, v23
	v_mul_f32_e32 v23, v1, v27
	v_addc_co_u32_e64 v45, s[4:5], v10, v45, s[4:5]
	global_store_dwordx4 v[44:45], v[23:26], off
	v_cvt_f32_f16_sdwa v10, v43 dst_sel:DWORD dst_unused:UNUSED_PAD src0_sel:WORD_1
	v_cvt_f32_f16_e32 v23, v43
	v_cvt_f32_f16_sdwa v24, v42 dst_sel:DWORD dst_unused:UNUSED_PAD src0_sel:WORD_1
	v_cvt_f32_f16_e32 v27, v42
	v_add_u32_e32 v14, 0x80, v14
	v_lshlrev_b64 v[14:15], 2, v[14:15]
	v_mul_f32_e32 v26, v1, v10
	v_mul_f32_e32 v25, v1, v23
	;; [unrolled: 1-line block ×4, first 2 shown]
	v_mov_b32_e32 v1, s25
	v_add_co_u32_e64 v14, s[4:5], s24, v14
	v_addc_co_u32_e64 v15, s[4:5], v1, v15, s[4:5]
	s_and_b64 s[6:7], vcc, s[6:7]
	global_store_dwordx4 v[14:15], v[23:26], off
	s_and_saveexec_b64 s[4:5], s[6:7]
	s_cbranch_execz .LBB70_87
; %bb.86:
	v_ashrrev_i32_e32 v1, 31, v0
	v_lshlrev_b64 v[0:1], 3, v[0:1]
	v_mov_b32_e32 v10, s27
	v_add_co_u32_e32 v0, vcc, s26, v0
	v_addc_co_u32_e32 v1, vcc, v10, v1, vcc
	v_mov_b32_e32 v14, v2
	v_mov_b32_e32 v15, v6
	global_store_dwordx2 v[0:1], v[14:15], off
.LBB70_87:
	s_or_b64 exec, exec, s[4:5]
	v_cmp_gt_i32_e32 vcc, s30, v22
	s_and_b64 exec, exec, vcc
	s_cbranch_execz .LBB70_81
; %bb.88:
	v_cndmask_b32_e64 v0, 0, 1, s[10:11]
	v_cmp_ne_u32_e64 s[4:5], 1, v0
	s_andn2_b64 vcc, exec, s[10:11]
	v_mov_b32_e32 v1, 1.0
	s_cbranch_vccnz .LBB70_90
; %bb.89:
	v_div_scale_f32 v0, s[10:11], v11, v11, 1.0
	v_div_scale_f32 v1, vcc, 1.0, v11, 1.0
	v_rcp_f32_e32 v2, v0
	v_fma_f32 v6, -v0, v2, 1.0
	v_fmac_f32_e32 v2, v6, v2
	v_mul_f32_e32 v6, v1, v2
	v_fma_f32 v10, -v0, v6, v1
	v_fmac_f32_e32 v6, v10, v2
	v_fma_f32 v0, -v0, v6, v1
	v_div_fmas_f32 v0, v0, v2, v6
	v_div_fixup_f32 v1, v0, v11, 1.0
.LBB70_90:
	v_add_u32_e32 v0, s12, v21
	v_mul_lo_u32 v0, v0, s31
	v_cvt_f32_f16_sdwa v11, v36 dst_sel:DWORD dst_unused:UNUSED_PAD src0_sel:WORD_1
	v_cvt_f32_f16_e32 v14, v36
	v_cvt_f32_f16_sdwa v2, v40 dst_sel:DWORD dst_unused:UNUSED_PAD src0_sel:WORD_1
	v_add_u32_e32 v0, s34, v0
	v_mul_lo_u32 v0, s8, v0
	v_cvt_f32_f16_e32 v6, v40
	v_mul_f32_e32 v22, v1, v11
	v_mov_b32_e32 v11, 0
	v_add_u32_e32 v0, s9, v0
	v_lshl_add_u32 v10, v0, 8, v17
	v_mul_f32_e32 v21, v1, v14
	v_lshlrev_b64 v[14:15], 2, v[10:11]
	v_mul_f32_e32 v24, v1, v2
	v_mov_b32_e32 v2, s25
	v_add_co_u32_e32 v14, vcc, s24, v14
	v_mul_f32_e32 v23, v1, v6
	v_addc_co_u32_e32 v15, vcc, v2, v15, vcc
	global_store_dwordx4 v[14:15], v[21:24], off
	v_cvt_f32_f16_sdwa v2, v39 dst_sel:DWORD dst_unused:UNUSED_PAD src0_sel:WORD_1
	v_cvt_f32_f16_e32 v6, v39
	v_cvt_f32_f16_sdwa v14, v38 dst_sel:DWORD dst_unused:UNUSED_PAD src0_sel:WORD_1
	v_cvt_f32_f16_e32 v15, v38
	v_add_u32_e32 v10, 0x80, v10
	v_mul_f32_e32 v24, v1, v2
	v_mul_f32_e32 v23, v1, v6
	;; [unrolled: 1-line block ×4, first 2 shown]
	v_lshlrev_b64 v[1:2], 2, v[10:11]
	v_mov_b32_e32 v6, s25
	v_add_co_u32_e32 v1, vcc, s24, v1
	v_addc_co_u32_e32 v2, vcc, v6, v2, vcc
	global_store_dwordx4 v[1:2], v[21:24], off
	s_and_saveexec_b64 s[10:11], s[6:7]
	s_cbranch_execz .LBB70_92
; %bb.91:
	v_ashrrev_i32_e32 v1, 31, v0
	v_lshlrev_b64 v[0:1], 3, v[0:1]
	v_mov_b32_e32 v2, s27
	v_add_co_u32_e32 v0, vcc, s26, v0
	v_addc_co_u32_e32 v1, vcc, v2, v1, vcc
	v_mov_b32_e32 v6, v3
	global_store_dwordx2 v[0:1], v[6:7], off
.LBB70_92:
	s_or_b64 exec, exec, s[10:11]
	v_cmp_gt_i32_e32 vcc, s30, v20
	s_and_b64 exec, exec, vcc
	s_cbranch_execz .LBB70_81
; %bb.93:
	s_and_b64 vcc, exec, s[4:5]
	v_mov_b32_e32 v1, 1.0
	s_cbranch_vccnz .LBB70_95
; %bb.94:
	v_div_scale_f32 v0, s[10:11], v12, v12, 1.0
	v_div_scale_f32 v1, vcc, 1.0, v12, 1.0
	v_rcp_f32_e32 v2, v0
	v_fma_f32 v3, -v0, v2, 1.0
	v_fmac_f32_e32 v2, v3, v2
	v_mul_f32_e32 v3, v1, v2
	v_fma_f32 v6, -v0, v3, v1
	v_fmac_f32_e32 v3, v6, v2
	v_fma_f32 v0, -v0, v3, v1
	v_div_fmas_f32 v0, v0, v2, v3
	v_div_fixup_f32 v1, v0, v12, 1.0
.LBB70_95:
	v_add_u32_e32 v0, s12, v19
	v_mul_lo_u32 v0, v0, s31
	v_cvt_f32_f16_sdwa v2, v35 dst_sel:DWORD dst_unused:UNUSED_PAD src0_sel:WORD_1
	v_cvt_f32_f16_e32 v3, v35
	v_cvt_f32_f16_sdwa v6, v32 dst_sel:DWORD dst_unused:UNUSED_PAD src0_sel:WORD_1
	v_add_u32_e32 v0, s34, v0
	v_mul_lo_u32 v0, s8, v0
	v_cvt_f32_f16_e32 v7, v32
	v_mul_f32_e32 v22, v1, v2
	v_mul_f32_e32 v21, v1, v3
	v_add_u32_e32 v0, s9, v0
	v_lshl_add_u32 v2, v0, 8, v17
	v_mov_b32_e32 v3, 0
	v_mul_f32_e32 v20, v1, v6
	v_mul_f32_e32 v19, v1, v7
	v_lshlrev_b64 v[6:7], 2, v[2:3]
	v_mov_b32_e32 v10, s25
	v_add_co_u32_e32 v6, vcc, s24, v6
	v_addc_co_u32_e32 v7, vcc, v10, v7, vcc
	global_store_dwordx4 v[6:7], v[19:22], off
	v_cvt_f32_f16_sdwa v6, v34 dst_sel:DWORD dst_unused:UNUSED_PAD src0_sel:WORD_1
	v_cvt_f32_f16_e32 v7, v34
	v_cvt_f32_f16_sdwa v10, v33 dst_sel:DWORD dst_unused:UNUSED_PAD src0_sel:WORD_1
	v_cvt_f32_f16_e32 v11, v33
	v_add_u32_e32 v2, 0x80, v2
	v_mul_f32_e32 v22, v1, v6
	v_mul_f32_e32 v21, v1, v7
	v_mul_f32_e32 v20, v1, v10
	v_mul_f32_e32 v19, v1, v11
	v_lshlrev_b64 v[1:2], 2, v[2:3]
	v_mov_b32_e32 v3, s25
	v_add_co_u32_e32 v1, vcc, s24, v1
	v_addc_co_u32_e32 v2, vcc, v3, v2, vcc
	global_store_dwordx4 v[1:2], v[19:22], off
	s_and_saveexec_b64 s[10:11], s[6:7]
	s_cbranch_execz .LBB70_97
; %bb.96:
	v_ashrrev_i32_e32 v1, 31, v0
	v_lshlrev_b64 v[0:1], 3, v[0:1]
	v_mov_b32_e32 v2, s27
	v_add_co_u32_e32 v0, vcc, s26, v0
	v_addc_co_u32_e32 v1, vcc, v2, v1, vcc
	v_mov_b32_e32 v7, v4
	global_store_dwordx2 v[0:1], v[7:8], off
.LBB70_97:
	s_or_b64 exec, exec, s[10:11]
	v_cmp_gt_i32_e32 vcc, s30, v18
	s_and_b64 exec, exec, vcc
	s_cbranch_execz .LBB70_81
; %bb.98:
	s_and_b64 vcc, exec, s[4:5]
	v_mov_b32_e32 v1, 1.0
	s_cbranch_vccnz .LBB70_100
; %bb.99:
	v_div_scale_f32 v0, s[4:5], v13, v13, 1.0
	v_div_scale_f32 v1, vcc, 1.0, v13, 1.0
	v_rcp_f32_e32 v2, v0
	v_fma_f32 v3, -v0, v2, 1.0
	v_fmac_f32_e32 v2, v3, v2
	v_mul_f32_e32 v3, v1, v2
	v_fma_f32 v4, -v0, v3, v1
	v_fmac_f32_e32 v3, v4, v2
	v_fma_f32 v0, -v0, v3, v1
	v_div_fmas_f32 v0, v0, v2, v3
	v_div_fixup_f32 v1, v0, v13, 1.0
.LBB70_100:
	v_add_u32_e32 v0, s12, v16
	v_mul_lo_u32 v0, v0, s31
	v_cvt_f32_f16_e32 v7, v30
	v_cvt_f32_f16_sdwa v2, v31 dst_sel:DWORD dst_unused:UNUSED_PAD src0_sel:WORD_1
	v_cvt_f32_f16_e32 v3, v31
	v_add_u32_e32 v0, s34, v0
	v_mul_lo_u32 v0, s8, v0
	v_cvt_f32_f16_sdwa v4, v30 dst_sel:DWORD dst_unused:UNUSED_PAD src0_sel:WORD_1
	v_mul_f32_e32 v10, v1, v7
	v_mov_b32_e32 v7, 0
	v_add_u32_e32 v0, s9, v0
	v_lshl_add_u32 v6, v0, 8, v17
	v_mul_f32_e32 v13, v1, v2
	v_mul_f32_e32 v12, v1, v3
	v_lshlrev_b64 v[2:3], 2, v[6:7]
	v_mul_f32_e32 v11, v1, v4
	v_mov_b32_e32 v4, s25
	v_add_co_u32_e32 v2, vcc, s24, v2
	v_addc_co_u32_e32 v3, vcc, v4, v3, vcc
	global_store_dwordx4 v[2:3], v[10:13], off
	v_cvt_f32_f16_sdwa v2, v28 dst_sel:DWORD dst_unused:UNUSED_PAD src0_sel:WORD_1
	v_cvt_f32_f16_sdwa v8, v29 dst_sel:DWORD dst_unused:UNUSED_PAD src0_sel:WORD_1
	v_cvt_f32_f16_e32 v3, v28
	v_cvt_f32_f16_e32 v10, v29
	v_add_u32_e32 v6, 0x80, v6
	v_lshlrev_b64 v[6:7], 2, v[6:7]
	v_mul_f32_e32 v4, v1, v2
	v_mul_f32_e32 v2, v1, v8
	v_mov_b32_e32 v8, s25
	v_add_co_u32_e32 v6, vcc, s24, v6
	v_mul_f32_e32 v3, v1, v3
	v_mul_f32_e32 v1, v1, v10
	v_addc_co_u32_e32 v7, vcc, v8, v7, vcc
	global_store_dwordx4 v[6:7], v[1:4], off
	s_and_b64 exec, exec, s[6:7]
	s_cbranch_execz .LBB70_81
; %bb.101:
	v_ashrrev_i32_e32 v1, 31, v0
	v_lshlrev_b64 v[0:1], 3, v[0:1]
	v_mov_b32_e32 v2, s27
	v_add_co_u32_e32 v0, vcc, s26, v0
	v_addc_co_u32_e32 v1, vcc, v2, v1, vcc
	v_mov_b32_e32 v8, v5
	global_store_dwordx2 v[0:1], v[8:9], off
	s_endpgm
	.section	.rodata,"a",@progbits
	.p2align	6, 0x0
	.amdhsa_kernel _ZL15flash_attn_tileILi256ELi256ELi32ELi1ELb1EEvPKcS1_S1_S1_S1_PKiPfP15HIP_vector_typeIfLj2EEffffjfiS5_IjLj3EEiiiiiiiiiiiliiliiiiil
		.amdhsa_group_segment_fixed_size 27136
		.amdhsa_private_segment_fixed_size 32
		.amdhsa_kernarg_size 464
		.amdhsa_user_sgpr_count 8
		.amdhsa_user_sgpr_private_segment_buffer 1
		.amdhsa_user_sgpr_dispatch_ptr 0
		.amdhsa_user_sgpr_queue_ptr 0
		.amdhsa_user_sgpr_kernarg_segment_ptr 1
		.amdhsa_user_sgpr_dispatch_id 0
		.amdhsa_user_sgpr_flat_scratch_init 1
		.amdhsa_user_sgpr_private_segment_size 0
		.amdhsa_uses_dynamic_stack 0
		.amdhsa_system_sgpr_private_segment_wavefront_offset 1
		.amdhsa_system_sgpr_workgroup_id_x 1
		.amdhsa_system_sgpr_workgroup_id_y 1
		.amdhsa_system_sgpr_workgroup_id_z 1
		.amdhsa_system_sgpr_workgroup_info 0
		.amdhsa_system_vgpr_workitem_id 1
		.amdhsa_next_free_vgpr 112
		.amdhsa_next_free_sgpr 96
		.amdhsa_reserve_vcc 1
		.amdhsa_reserve_flat_scratch 1
		.amdhsa_float_round_mode_32 0
		.amdhsa_float_round_mode_16_64 0
		.amdhsa_float_denorm_mode_32 3
		.amdhsa_float_denorm_mode_16_64 3
		.amdhsa_dx10_clamp 1
		.amdhsa_ieee_mode 1
		.amdhsa_fp16_overflow 0
		.amdhsa_exception_fp_ieee_invalid_op 0
		.amdhsa_exception_fp_denorm_src 0
		.amdhsa_exception_fp_ieee_div_zero 0
		.amdhsa_exception_fp_ieee_overflow 0
		.amdhsa_exception_fp_ieee_underflow 0
		.amdhsa_exception_fp_ieee_inexact 0
		.amdhsa_exception_int_div_zero 0
	.end_amdhsa_kernel
	.section	.text._ZL15flash_attn_tileILi256ELi256ELi32ELi1ELb1EEvPKcS1_S1_S1_S1_PKiPfP15HIP_vector_typeIfLj2EEffffjfiS5_IjLj3EEiiiiiiiiiiiliiliiiiil,"axG",@progbits,_ZL15flash_attn_tileILi256ELi256ELi32ELi1ELb1EEvPKcS1_S1_S1_S1_PKiPfP15HIP_vector_typeIfLj2EEffffjfiS5_IjLj3EEiiiiiiiiiiiliiliiiiil,comdat
.Lfunc_end70:
	.size	_ZL15flash_attn_tileILi256ELi256ELi32ELi1ELb1EEvPKcS1_S1_S1_S1_PKiPfP15HIP_vector_typeIfLj2EEffffjfiS5_IjLj3EEiiiiiiiiiiiliiliiiiil, .Lfunc_end70-_ZL15flash_attn_tileILi256ELi256ELi32ELi1ELb1EEvPKcS1_S1_S1_S1_PKiPfP15HIP_vector_typeIfLj2EEffffjfiS5_IjLj3EEiiiiiiiiiiiliiliiiiil
                                        ; -- End function
	.set _ZL15flash_attn_tileILi256ELi256ELi32ELi1ELb1EEvPKcS1_S1_S1_S1_PKiPfP15HIP_vector_typeIfLj2EEffffjfiS5_IjLj3EEiiiiiiiiiiiliiliiiiil.num_vgpr, 112
	.set _ZL15flash_attn_tileILi256ELi256ELi32ELi1ELb1EEvPKcS1_S1_S1_S1_PKiPfP15HIP_vector_typeIfLj2EEffffjfiS5_IjLj3EEiiiiiiiiiiiliiliiiiil.num_agpr, 0
	.set _ZL15flash_attn_tileILi256ELi256ELi32ELi1ELb1EEvPKcS1_S1_S1_S1_PKiPfP15HIP_vector_typeIfLj2EEffffjfiS5_IjLj3EEiiiiiiiiiiiliiliiiiil.numbered_sgpr, 52
	.set _ZL15flash_attn_tileILi256ELi256ELi32ELi1ELb1EEvPKcS1_S1_S1_S1_PKiPfP15HIP_vector_typeIfLj2EEffffjfiS5_IjLj3EEiiiiiiiiiiiliiliiiiil.num_named_barrier, 0
	.set _ZL15flash_attn_tileILi256ELi256ELi32ELi1ELb1EEvPKcS1_S1_S1_S1_PKiPfP15HIP_vector_typeIfLj2EEffffjfiS5_IjLj3EEiiiiiiiiiiiliiliiiiil.private_seg_size, 32
	.set _ZL15flash_attn_tileILi256ELi256ELi32ELi1ELb1EEvPKcS1_S1_S1_S1_PKiPfP15HIP_vector_typeIfLj2EEffffjfiS5_IjLj3EEiiiiiiiiiiiliiliiiiil.uses_vcc, 1
	.set _ZL15flash_attn_tileILi256ELi256ELi32ELi1ELb1EEvPKcS1_S1_S1_S1_PKiPfP15HIP_vector_typeIfLj2EEffffjfiS5_IjLj3EEiiiiiiiiiiiliiliiiiil.uses_flat_scratch, 1
	.set _ZL15flash_attn_tileILi256ELi256ELi32ELi1ELb1EEvPKcS1_S1_S1_S1_PKiPfP15HIP_vector_typeIfLj2EEffffjfiS5_IjLj3EEiiiiiiiiiiiliiliiiiil.has_dyn_sized_stack, 0
	.set _ZL15flash_attn_tileILi256ELi256ELi32ELi1ELb1EEvPKcS1_S1_S1_S1_PKiPfP15HIP_vector_typeIfLj2EEffffjfiS5_IjLj3EEiiiiiiiiiiiliiliiiiil.has_recursion, 0
	.set _ZL15flash_attn_tileILi256ELi256ELi32ELi1ELb1EEvPKcS1_S1_S1_S1_PKiPfP15HIP_vector_typeIfLj2EEffffjfiS5_IjLj3EEiiiiiiiiiiiliiliiiiil.has_indirect_call, 0
	.section	.AMDGPU.csdata,"",@progbits
; Kernel info:
; codeLenInByte = 36356
; TotalNumSgprs: 58
; NumVgprs: 112
; ScratchSize: 32
; MemoryBound: 0
; FloatMode: 240
; IeeeMode: 1
; LDSByteSize: 27136 bytes/workgroup (compile time only)
; SGPRBlocks: 12
; VGPRBlocks: 27
; NumSGPRsForWavesPerEU: 102
; NumVGPRsForWavesPerEU: 112
; Occupancy: 2
; WaveLimiterHint : 1
; COMPUTE_PGM_RSRC2:SCRATCH_EN: 1
; COMPUTE_PGM_RSRC2:USER_SGPR: 8
; COMPUTE_PGM_RSRC2:TRAP_HANDLER: 0
; COMPUTE_PGM_RSRC2:TGID_X_EN: 1
; COMPUTE_PGM_RSRC2:TGID_Y_EN: 1
; COMPUTE_PGM_RSRC2:TGID_Z_EN: 1
; COMPUTE_PGM_RSRC2:TIDIG_COMP_CNT: 1
	.section	.text._ZL15flash_attn_tileILi256ELi256ELi16ELi1ELb1EEvPKcS1_S1_S1_S1_PKiPfP15HIP_vector_typeIfLj2EEffffjfiS5_IjLj3EEiiiiiiiiiiiliiliiiiil,"axG",@progbits,_ZL15flash_attn_tileILi256ELi256ELi16ELi1ELb1EEvPKcS1_S1_S1_S1_PKiPfP15HIP_vector_typeIfLj2EEffffjfiS5_IjLj3EEiiiiiiiiiiiliiliiiiil,comdat
	.globl	_ZL15flash_attn_tileILi256ELi256ELi16ELi1ELb1EEvPKcS1_S1_S1_S1_PKiPfP15HIP_vector_typeIfLj2EEffffjfiS5_IjLj3EEiiiiiiiiiiiliiliiiiil ; -- Begin function _ZL15flash_attn_tileILi256ELi256ELi16ELi1ELb1EEvPKcS1_S1_S1_S1_PKiPfP15HIP_vector_typeIfLj2EEffffjfiS5_IjLj3EEiiiiiiiiiiiliiliiiiil
	.p2align	8
	.type	_ZL15flash_attn_tileILi256ELi256ELi16ELi1ELb1EEvPKcS1_S1_S1_S1_PKiPfP15HIP_vector_typeIfLj2EEffffjfiS5_IjLj3EEiiiiiiiiiiiliiliiiiil,@function
_ZL15flash_attn_tileILi256ELi256ELi16ELi1ELb1EEvPKcS1_S1_S1_S1_PKiPfP15HIP_vector_typeIfLj2EEffffjfiS5_IjLj3EEiiiiiiiiiiiliiliiiiil: ; @_ZL15flash_attn_tileILi256ELi256ELi16ELi1ELb1EEvPKcS1_S1_S1_S1_PKiPfP15HIP_vector_typeIfLj2EEffffjfiS5_IjLj3EEiiiiiiiiiiiliiliiiiil
; %bb.0:
	s_load_dwordx4 s[28:31], s[4:5], 0x5c
	s_load_dwordx2 s[42:43], s[4:5], 0x80
	s_add_u32 flat_scratch_lo, s6, s11
	s_addc_u32 flat_scratch_hi, s7, 0
	s_add_u32 s0, s0, s11
	s_waitcnt lgkmcnt(0)
	v_cvt_f32_u32_e32 v2, s31
	s_addc_u32 s1, s1, 0
	s_sub_i32 s6, 0, s31
	s_load_dwordx2 s[44:45], s[4:5], 0xb8
	v_rcp_iflag_f32_e32 v2, v2
	s_mov_b64 s[40:41], 0
	v_mul_f32_e32 v2, 0x4f7ffffe, v2
	v_cvt_u32_f32_e32 v2, v2
	v_readfirstlane_b32 s7, v2
	s_mul_i32 s6, s6, s7
	s_mul_hi_u32 s6, s7, s6
	s_add_i32 s7, s7, s6
	s_mul_hi_u32 s6, s10, s7
	s_mul_i32 s7, s6, s31
	s_sub_i32 s7, s10, s7
	s_add_i32 s11, s6, 1
	s_sub_i32 s12, s7, s31
	s_cmp_ge_u32 s7, s31
	s_cselect_b32 s6, s11, s6
	s_cselect_b32 s7, s12, s7
	s_add_i32 s11, s6, 1
	s_cmp_ge_u32 s7, s31
	s_cselect_b32 s33, s11, s6
	s_abs_i32 s6, s43
	v_cvt_f32_u32_e32 v2, s6
	s_mul_i32 s12, s33, s31
	s_sub_i32 s13, 0, s6
	s_sub_i32 s34, s10, s12
	v_rcp_iflag_f32_e32 v2, v2
	s_abs_i32 s11, s31
	s_xor_b32 s7, s31, s43
	s_ashr_i32 s7, s7, 31
	v_mul_f32_e32 v2, 0x4f7ffffe, v2
	v_cvt_u32_f32_e32 v2, v2
	v_readfirstlane_b32 s10, v2
	s_mul_i32 s13, s13, s10
	s_mul_hi_u32 s12, s10, s13
	s_add_i32 s10, s10, s12
	s_mul_hi_u32 s10, s11, s10
	s_mul_i32 s12, s10, s6
	s_sub_i32 s11, s11, s12
	s_add_i32 s13, s10, 1
	s_sub_i32 s12, s11, s6
	s_cmp_ge_u32 s11, s6
	s_cselect_b32 s10, s13, s10
	s_cselect_b32 s11, s12, s11
	s_add_i32 s12, s10, 1
	s_cmp_ge_u32 s11, s6
	s_cselect_b32 s6, s12, s10
	s_xor_b32 s6, s6, s7
	s_sub_i32 s47, s6, s7
	s_abs_i32 s43, s47
	v_cvt_f32_u32_e32 v2, s43
	s_load_dwordx16 s[12:27], s[4:5], 0x0
	s_sub_i32 s6, 0, s43
	s_abs_i32 s46, s34
	v_rcp_iflag_f32_e32 v2, v2
	v_mul_f32_e32 v2, 0x4f7ffffe, v2
	v_cvt_u32_f32_e32 v2, v2
	v_readfirstlane_b32 s7, v2
	s_mul_i32 s6, s6, s7
	s_mul_hi_u32 s6, s7, s6
	s_add_i32 s6, s7, s6
	s_waitcnt lgkmcnt(0)
	s_cmp_eq_u64 s[18:19], 0
	s_cbranch_scc1 .LBB71_2
; %bb.1:
	s_abs_i32 s7, s44
	v_cvt_f32_u32_e32 v2, s7
	s_sub_i32 s37, 0, s7
	s_abs_i32 s36, s33
	s_ashr_i32 s35, s33, 31
	v_rcp_iflag_f32_e32 v2, v2
	s_load_dwordx2 s[10:11], s[4:5], 0xc8
	v_mul_f32_e32 v2, 0x4f7ffffe, v2
	v_cvt_u32_f32_e32 v2, v2
	v_readfirstlane_b32 s38, v2
	s_mul_i32 s37, s37, s38
	s_mul_hi_u32 s37, s38, s37
	s_add_i32 s38, s38, s37
	s_mul_hi_u32 s37, s36, s38
	s_mul_i32 s37, s37, s7
	s_sub_i32 s36, s36, s37
	s_sub_i32 s37, s36, s7
	s_cmp_ge_u32 s36, s7
	s_cselect_b32 s36, s37, s36
	s_sub_i32 s37, s36, s7
	s_cmp_ge_u32 s36, s7
	s_cselect_b32 s7, s37, s36
	s_xor_b32 s7, s7, s35
	s_sub_i32 s7, s7, s35
	s_ashr_i32 s35, s7, 31
	s_waitcnt lgkmcnt(0)
	s_mul_hi_u32 s36, s10, s7
	s_mul_i32 s35, s10, s35
	s_mul_i32 s11, s11, s7
	s_add_i32 s35, s36, s35
	s_add_i32 s35, s35, s11
	s_mul_i32 s7, s10, s7
	s_add_u32 s40, s18, s7
	s_addc_u32 s41, s19, s35
.LBB71_2:
	s_load_dwordx4 s[36:39], s[4:5], 0x40
	s_load_dwordx2 s[18:19], s[4:5], 0x50
	s_mul_hi_u32 s44, s46, s6
	v_mov_b32_e32 v17, 1.0
	s_waitcnt lgkmcnt(0)
	v_cmp_le_f32_e64 s[6:7], s37, 0
	s_and_b64 vcc, exec, s[6:7]
	s_cbranch_vccnz .LBB71_4
; %bb.3:
	v_mov_b32_e32 v2, s18
	v_sub_co_u32_e32 v2, vcc, s34, v2
	v_mov_b32_e32 v3, s39
	v_mov_b32_e32 v4, s38
	s_add_i32 s6, s34, 1
	v_lshlrev_b32_e32 v2, 1, v2
	v_cndmask_b32_e32 v3, v3, v4, vcc
	v_or_b32_e32 v2, 1, v2
	v_mov_b32_e32 v4, s6
	v_cndmask_b32_e32 v2, v2, v4, vcc
	v_cvt_f32_i32_e32 v2, v2
	v_cmp_neq_f32_e32 vcc, 1.0, v3
	s_mov_b32 s6, 0x3f2aaaab
	s_movk_i32 s10, 0x204
	v_cndmask_b32_e32 v4, 1.0, v2, vcc
	v_cmp_neq_f32_e32 vcc, 0, v4
	v_cndmask_b32_e32 v5, 1.0, v3, vcc
	v_frexp_mant_f32_e64 v2, |v5|
	v_cmp_gt_f32_e32 vcc, s6, v2
	v_cndmask_b32_e64 v3, 1.0, 2.0, vcc
	v_mul_f32_e32 v2, v2, v3
	v_add_f32_e32 v3, 1.0, v2
	v_rcp_f32_e32 v6, v3
	v_add_f32_e32 v7, -1.0, v2
	v_add_f32_e32 v8, -1.0, v3
	v_sub_f32_e32 v2, v2, v8
	v_mul_f32_e32 v8, v7, v6
	v_mul_f32_e32 v9, v3, v8
	v_fma_f32 v3, v8, v3, -v9
	v_fmac_f32_e32 v3, v8, v2
	v_add_f32_e32 v2, v9, v3
	v_sub_f32_e32 v10, v7, v2
	v_sub_f32_e32 v9, v2, v9
	;; [unrolled: 1-line block ×5, first 2 shown]
	v_add_f32_e32 v2, v3, v2
	v_add_f32_e32 v2, v10, v2
	v_mul_f32_e32 v2, v6, v2
	v_add_f32_e32 v6, v8, v2
	v_sub_f32_e32 v3, v6, v8
	v_sub_f32_e32 v7, v2, v3
	v_mul_f32_e32 v2, v6, v6
	v_fma_f32 v3, v6, v6, -v2
	v_add_f32_e32 v8, v7, v7
	v_fmac_f32_e32 v3, v6, v8
	v_add_f32_e32 v8, v2, v3
	v_mov_b32_e32 v9, 0x3e91f4c4
	v_sub_f32_e32 v2, v8, v2
	v_fmac_f32_e32 v9, 0x3e76c4e1, v8
	v_mov_b32_e32 v10, 0x3ecccdef
	v_sub_f32_e32 v2, v3, v2
	v_mul_f32_e32 v3, v6, v8
	v_fmac_f32_e32 v10, v8, v9
	v_fma_f32 v9, v8, v6, -v3
	v_fmac_f32_e32 v9, v8, v7
	v_fmac_f32_e32 v9, v2, v6
	v_add_f32_e32 v11, v3, v9
	v_sub_f32_e32 v3, v11, v3
	v_sub_f32_e32 v9, v9, v3
	v_mul_f32_e32 v3, v8, v10
	v_fma_f32 v8, v8, v10, -v3
	v_fmac_f32_e32 v8, v2, v10
	v_add_f32_e32 v10, v3, v8
	v_sub_f32_e32 v2, v10, v3
	v_sub_f32_e32 v8, v8, v2
	v_cvt_f64_f32_e64 v[2:3], |v5|
	v_add_f32_e32 v12, 0x3f2aaaaa, v10
	v_add_f32_e32 v13, 0xbf2aaaaa, v12
	;; [unrolled: 1-line block ×3, first 2 shown]
	v_frexp_exp_i32_f64_e32 v2, v[2:3]
	v_sub_f32_e32 v10, v10, v13
	v_add_f32_e32 v3, v8, v10
	v_add_f32_e32 v8, v12, v3
	v_sub_f32_e32 v10, v12, v8
	v_add_f32_e32 v3, v3, v10
	v_mul_f32_e32 v10, v11, v8
	v_fma_f32 v12, v11, v8, -v10
	v_subbrev_co_u32_e32 v2, vcc, 0, v2, vcc
	v_cvt_f32_i32_e32 v2, v2
	v_fmac_f32_e32 v12, v11, v3
	s_mov_b32 s6, 0x3f317218
	v_fmac_f32_e32 v12, v9, v8
	v_mul_f32_e32 v3, 0x3f317218, v2
	v_fma_f32 v8, v2, s6, -v3
	v_fmac_f32_e32 v8, 0xb102e308, v2
	v_ldexp_f32 v2, v7, 1
	v_add_f32_e32 v7, v3, v8
	v_sub_f32_e32 v3, v7, v3
	v_ldexp_f32 v6, v6, 1
	v_sub_f32_e32 v3, v8, v3
	v_add_f32_e32 v8, v10, v12
	v_sub_f32_e32 v9, v8, v10
	v_add_f32_e32 v10, v6, v8
	v_sub_f32_e32 v9, v12, v9
	v_sub_f32_e32 v6, v10, v6
	;; [unrolled: 1-line block ×3, first 2 shown]
	v_add_f32_e32 v2, v2, v9
	v_add_f32_e32 v2, v2, v6
	;; [unrolled: 1-line block ×3, first 2 shown]
	v_sub_f32_e32 v8, v6, v10
	v_sub_f32_e32 v2, v2, v8
	v_add_f32_e32 v8, v7, v6
	v_sub_f32_e32 v9, v8, v7
	v_sub_f32_e32 v10, v8, v9
	;; [unrolled: 1-line block ×4, first 2 shown]
	v_add_f32_e32 v6, v6, v7
	v_add_f32_e32 v7, v3, v2
	v_sub_f32_e32 v9, v7, v3
	v_sub_f32_e32 v10, v7, v9
	;; [unrolled: 1-line block ×4, first 2 shown]
	v_add_f32_e32 v2, v2, v3
	v_add_f32_e32 v3, v7, v6
	;; [unrolled: 1-line block ×3, first 2 shown]
	v_sub_f32_e32 v7, v6, v8
	v_sub_f32_e32 v3, v3, v7
	v_add_f32_e32 v2, v2, v3
	v_add_f32_e32 v3, v6, v2
	v_sub_f32_e32 v6, v3, v6
	v_sub_f32_e32 v2, v2, v6
	v_mul_f32_e32 v6, v4, v3
	v_fma_f32 v3, v4, v3, -v6
	v_fmac_f32_e32 v3, v4, v2
	v_add_f32_e32 v2, v6, v3
	v_cmp_class_f32_e64 vcc, v6, s10
	v_sub_f32_e32 v7, v2, v6
	v_cndmask_b32_e32 v2, v2, v6, vcc
	s_mov_b32 s7, 0x42b17218
	v_mov_b32_e32 v6, 0x37000000
	v_cmp_eq_f32_e32 vcc, s7, v2
	v_cndmask_b32_e32 v6, 0, v6, vcc
	v_sub_f32_e32 v3, v3, v7
	v_sub_f32_e32 v7, v2, v6
	s_mov_b32 s11, 0x3fb8aa3b
	v_mul_f32_e32 v8, 0x3fb8aa3b, v7
	v_fma_f32 v9, v7, s11, -v8
	v_rndne_f32_e32 v10, v8
	v_fmac_f32_e32 v9, 0x32a5705f, v7
	v_sub_f32_e32 v8, v8, v10
	v_add_f32_e32 v8, v8, v9
	v_exp_f32_e32 v8, v8
	v_cvt_i32_f32_e32 v9, v10
	s_mov_b32 s6, 0x7f800000
	v_cmp_neq_f32_e64 vcc, |v2|, s6
	s_mov_b32 s6, 0xc2ce8ed0
	v_cndmask_b32_e32 v2, 0, v3, vcc
	v_ldexp_f32 v3, v8, v9
	v_cmp_ngt_f32_e32 vcc, s6, v7
	v_add_f32_e32 v2, v6, v2
	v_cndmask_b32_e32 v3, 0, v3, vcc
	v_mov_b32_e32 v6, 0x7f800000
	v_cmp_nlt_f32_e32 vcc, s7, v7
	v_cndmask_b32_e32 v3, v6, v3, vcc
	v_fma_f32 v2, v3, v2, v3
	v_cmp_class_f32_e64 vcc, v3, s10
	v_cndmask_b32_e32 v2, v2, v3, vcc
	v_trunc_f32_e32 v3, v4
	v_cmp_eq_f32_e32 vcc, v3, v4
	v_mul_f32_e32 v3, 0.5, v4
	v_trunc_f32_e32 v8, v3
	v_cmp_neq_f32_e64 s[6:7], v8, v3
	s_and_b64 s[6:7], vcc, s[6:7]
	v_cndmask_b32_e64 v3, 1.0, v5, s[6:7]
	s_brev_b32 s18, -2
	v_mov_b32_e32 v7, 0x7fc00000
	v_bfi_b32 v2, s18, v2, v3
	v_cndmask_b32_e32 v3, v7, v2, vcc
	v_cmp_gt_f32_e32 vcc, 0, v5
	v_cndmask_b32_e32 v2, v2, v3, vcc
	v_cmp_class_f32_e64 s[38:39], v5, s10
	v_cmp_eq_f32_e32 vcc, 0, v5
	v_cmp_gt_f32_e64 s[10:11], 0, v4
	s_xor_b64 s[10:11], s[10:11], vcc
	v_cndmask_b32_e64 v3, v6, 0, s[10:11]
	v_cndmask_b32_e64 v4, 0, v5, s[6:7]
	v_bfi_b32 v3, s18, v3, v4
	s_or_b64 vcc, vcc, s[38:39]
	v_cndmask_b32_e32 v2, v2, v3, vcc
	v_cmp_o_f32_e32 vcc, v5, v5
	v_cndmask_b32_e32 v17, v7, v2, vcc
.LBB71_4:
	s_lshl_b32 s18, s8, 4
	v_lshlrev_b32_e32 v23, 1, v1
	s_load_dwordx4 s[48:51], s[4:5], 0x70
	v_add_u32_e32 v24, s18, v23
	v_mul_hi_u32 v2, v24, s28
	s_ashr_i32 s35, s34, 31
	s_ashr_i32 s6, s47, 31
	s_waitcnt lgkmcnt(0)
	s_mul_i32 s7, s33, s50
	v_add_u32_e32 v2, v24, v2
	s_ashr_i32 s10, s7, 31
	v_lshrrev_b32_e32 v2, s29, v2
	s_add_u32 s7, s12, s7
	s_mul_i32 s11, s34, s49
	v_mul_lo_u32 v2, v2, s30
	s_addc_u32 s10, s13, s10
	s_ashr_i32 s12, s11, 31
	s_add_u32 s7, s7, s11
	s_addc_u32 s37, s10, s12
	s_ashr_i32 s49, s48, 31
	s_lshr_b64 s[10:11], s[48:49], 2
	v_sub_u32_e32 v18, v24, v2
	v_mad_u64_u32 v[2:3], s[12:13], s10, v18, 0
	v_mov_b32_e32 v6, s37
	s_lshr_b32 s37, s49, 2
	v_or_b32_e32 v20, 1, v23
	v_mad_u64_u32 v[3:4], s[12:13], s37, v18, v[3:4]
	v_add_u32_e32 v22, s18, v20
	v_mul_hi_u32 v4, v22, s28
	v_lshlrev_b32_e32 v5, 4, v0
	v_add_co_u32_e32 v14, vcc, s7, v5
	v_add_u32_e32 v4, v22, v4
	v_lshrrev_b32_e32 v4, s29, v4
	v_mul_lo_u32 v4, v4, s30
	v_lshlrev_b64 v[2:3], 2, v[2:3]
	v_addc_co_u32_e32 v15, vcc, 0, v6, vcc
	v_sub_u32_e32 v16, v22, v4
	v_mad_u64_u32 v[12:13], s[10:11], s10, v16, 0
	v_add_co_u32_e32 v10, vcc, v14, v2
	v_addc_co_u32_e32 v11, vcc, v15, v3, vcc
	global_load_dwordx4 v[2:5], v[10:11], off
	global_load_dwordx4 v[6:9], v[10:11], off offset:512
	v_mov_b32_e32 v10, v13
	v_mad_u64_u32 v[10:11], s[10:11], s37, v16, v[10:11]
	v_lshlrev_b32_e32 v25, 3, v0
	v_lshlrev_b32_e32 v29, 10, v1
	v_mov_b32_e32 v13, v10
	v_lshlrev_b64 v[10:11], 2, v[12:13]
	v_lshlrev_b32_e32 v21, 2, v0
	v_add_co_u32_e32 v14, vcc, v14, v10
	v_addc_co_u32_e32 v15, vcc, v15, v11, vcc
	global_load_dwordx4 v[10:13], v[14:15], off
	global_load_dwordx4 v[30:33], v[14:15], off offset:512
	v_add_u32_e32 v14, 0x2200, v25
	v_add_u32_e32 v15, v14, v29
	v_mov_b32_e32 v36, 0
	v_lshl_add_u32 v14, v20, 9, v14
	s_cmp_eq_u64 s[22:23], 0
	s_waitcnt vmcnt(3)
	v_fma_mixlo_f16 v2, s36, v2, 0
	v_fma_mixlo_f16 v3, s36, v3, 0
	;; [unrolled: 1-line block ×4, first 2 shown]
	s_waitcnt vmcnt(2)
	v_fma_mixlo_f16 v6, s36, v6, 0
	v_fma_mixlo_f16 v7, s36, v7, 0
	;; [unrolled: 1-line block ×4, first 2 shown]
	v_lshlrev_b32_e32 v3, 16, v3
	v_and_b32_e32 v2, 0xffff, v2
	v_lshlrev_b32_e32 v5, 16, v5
	v_and_b32_e32 v4, 0xffff, v4
	;; [unrolled: 2-line block ×4, first 2 shown]
	s_waitcnt vmcnt(1)
	v_fma_mixlo_f16 v10, s36, v10, 0
	v_fma_mixlo_f16 v11, s36, v11, 0
	;; [unrolled: 1-line block ×4, first 2 shown]
	s_waitcnt vmcnt(0)
	v_fma_mixlo_f16 v16, s36, v30, 0
	v_fma_mixlo_f16 v19, s36, v31, 0
	;; [unrolled: 1-line block ×4, first 2 shown]
	v_or_b32_e32 v2, v3, v2
	v_or3_b32 v3, v5, v4, 0
	v_or_b32_e32 v4, v7, v6
	v_or3_b32 v5, v9, v8, 0
	v_lshlrev_b32_e32 v6, 16, v11
	v_and_b32_e32 v7, 0xffff, v10
	v_lshlrev_b32_e32 v8, 16, v13
	v_and_b32_e32 v9, 0xffff, v12
	v_lshlrev_b32_e32 v10, 16, v19
	v_and_b32_e32 v11, 0xffff, v16
	v_lshlrev_b32_e32 v12, 16, v27
	v_and_b32_e32 v13, 0xffff, v26
	v_or3_b32 v2, 0, 0, v2
	v_or3_b32 v4, 0, 0, v4
	v_or_b32_e32 v7, v6, v7
	v_or3_b32 v6, v8, v9, 0
	v_or_b32_e32 v8, v10, v11
	ds_write2_b64 v15, v[2:3], v[4:5] offset1:32
	v_or3_b32 v5, 0, 0, v7
	v_or3_b32 v3, v12, v13, 0
	;; [unrolled: 1-line block ×3, first 2 shown]
	ds_write2_b64 v14, v[5:6], v[2:3] offset1:32
	s_waitcnt lgkmcnt(0)
	s_barrier
	s_cbranch_scc1 .LBB71_6
; %bb.5:
	s_load_dword s7, s[4:5], 0xd0
	s_mov_b32 s11, 0
	s_waitcnt lgkmcnt(0)
	s_mul_i32 s7, s7, s33
	s_add_i32 s10, s7, s8
	s_lshl_b64 s[10:11], s[10:11], 2
	s_add_u32 s10, s22, s10
	s_addc_u32 s11, s23, s11
	s_load_dword s42, s[10:11], 0x0
.LBB71_6:
	s_nop 0
	s_load_dwordx2 s[10:11], s[4:5], 0x8c
	s_load_dwordx4 s[48:51], s[4:5], 0x98
	s_load_dwordx2 s[12:13], s[4:5], 0xa8
	s_ashr_i32 s7, s33, 31
	s_ashr_i32 s23, s45, 1
	s_waitcnt lgkmcnt(0)
	s_ashr_i32 s36, s10, 2
	s_mul_hi_u32 s10, s48, s33
	s_mul_i32 s22, s48, s7
	s_add_i32 s10, s10, s22
	s_mul_i32 s22, s49, s33
	s_ashr_i32 s8, s50, 2
	s_add_i32 s10, s10, s22
	s_mul_i32 s22, s48, s33
	s_add_u32 s14, s14, s22
	s_addc_u32 s10, s15, s10
	s_mul_i32 s15, s44, s43
	s_sub_i32 s15, s46, s15
	s_xor_b32 s6, s35, s6
	s_add_i32 s22, s44, 1
	s_sub_i32 s37, s15, s43
	s_cmp_ge_u32 s15, s43
	s_cselect_b32 s22, s22, s44
	s_cselect_b32 s15, s37, s15
	s_add_i32 s37, s22, 1
	s_cmp_ge_u32 s15, s43
	s_cselect_b32 s15, s37, s22
	s_xor_b32 s15, s15, s6
	s_sub_i32 s6, s15, s6
	s_mul_i32 s11, s6, s11
	s_ashr_i32 s15, s11, 31
	s_add_u32 s37, s14, s11
	s_addc_u32 s38, s10, s15
	s_mul_hi_u32 s10, s12, s33
	s_mul_i32 s7, s12, s7
	s_add_i32 s7, s10, s7
	s_mul_i32 s10, s13, s33
	s_add_i32 s7, s7, s10
	s_mul_i32 s10, s12, s33
	s_add_u32 s10, s16, s10
	s_mul_i32 s6, s6, s51
	s_addc_u32 s7, s17, s7
	s_ashr_i32 s11, s6, 31
	v_mul_lo_u32 v6, s8, v1
	s_add_u32 s16, s10, s6
	s_addc_u32 s17, s7, s11
	s_lshl_b32 s22, s9, 5
	s_sub_i32 s39, s42, 32
	s_cmp_ge_i32 s22, s39
	v_lshrrev_b32_e32 v39, 4, v0
	v_and_b32_e32 v38, 60, v21
	v_lshlrev_b32_e32 v26, 2, v21
	v_mbcnt_lo_u32_b32 v19, -1, 0
	s_cbranch_scc1 .LBB71_24
; %bb.7:
	v_or_b32_e32 v7, 1, v24
	v_mul_hi_u32 v8, s28, v7
	v_add_u32_e32 v3, v39, v23
	v_mul_lo_u32 v2, s36, v3
	v_lshlrev_b32_e32 v4, 2, v38
	v_add_u32_e32 v8, v7, v8
	v_lshrrev_b32_e32 v8, s29, v8
	v_mul_lo_u32 v8, v8, s30
	s_movk_i32 s6, 0x110
	v_mad_u32_u24 v40, v3, s6, v4
	v_lshl_add_u32 v4, s36, 4, v2
	v_sub_u32_e32 v7, v7, v8
	v_mul_lo_u32 v44, v18, s23
	v_mul_lo_u32 v45, v7, s23
	v_mov_b32_e32 v7, 0x4200
	v_lshl_add_u32 v15, s8, 3, v6
	v_ashrrev_i32_e32 v3, 31, v2
	v_ashrrev_i32_e32 v5, 31, v4
	s_cmp_lg_u64 s[40:41], 0
	v_lshl_add_u32 v46, v1, 7, v7
	v_ashrrev_i32_e32 v7, 31, v6
	v_ashrrev_i32_e32 v16, 31, v15
	s_cselect_b64 s[10:11], -1, 0
	v_lshl_add_u32 v47, v1, 9, v26
	s_add_u32 s12, s4, 0xd0
	v_lshlrev_b64 v[9:10], 2, v[2:3]
	v_lshlrev_b64 v[11:12], 2, v[4:5]
	;; [unrolled: 1-line block ×4, first 2 shown]
	v_mov_b32_e32 v30, 0
	v_add_u32_e32 v41, 0x1100, v40
	v_mul_u32_u24_e32 v42, 0x110, v0
	v_add_u32_e32 v43, 0x2200, v29
	v_add_u32_e32 v48, 0x1000, v47
	s_addc_u32 s13, s5, 0
	v_mov_b32_e32 v57, 0xfeffffff
	v_lshlrev_b32_e32 v49, 2, v38
	s_mov_b32 s43, 0x3f200000
	s_mov_b32 s44, 0x3fb8aa3b
	s_mov_b32 s45, 0xc2ce8ed0
	s_mov_b32 s46, 0x42b17218
	v_mov_b32_e32 v50, 0xbd5c1c4e
	v_mov_b32_e32 v51, 0x3e088382
	;; [unrolled: 1-line block ×3, first 2 shown]
	s_brev_b32 s47, -2
	s_mov_b32 s48, 0x10001
	v_mov_b32_e32 v53, 0x7f800000
	v_mbcnt_hi_u32_b32 v54, -1, v19
	v_mov_b32_e32 v31, 0
	v_mov_b32_e32 v32, 0
	;; [unrolled: 1-line block ×10, first 2 shown]
.LBB71_8:                               ; =>This Inner Loop Header: Depth=1
	s_mul_hi_i32 s7, s22, s36
	s_mul_i32 s6, s22, s36
	s_lshl_b64 s[6:7], s[6:7], 2
	s_add_u32 s6, s37, s6
	s_addc_u32 s7, s38, s7
	v_mov_b32_e32 v2, s7
	v_add_co_u32_e32 v3, vcc, s6, v9
	v_addc_co_u32_e32 v4, vcc, v2, v10, vcc
	v_add_co_u32_e32 v2, vcc, v3, v49
	v_addc_co_u32_e32 v3, vcc, 0, v4, vcc
	v_mov_b32_e32 v4, s7
	v_add_co_u32_e32 v5, vcc, s6, v11
	v_addc_co_u32_e32 v7, vcc, v4, v12, vcc
	v_add_co_u32_e32 v4, vcc, v5, v49
	v_addc_co_u32_e32 v5, vcc, 0, v7, vcc
	global_load_dwordx4 v[59:62], v[2:3], off
	global_load_dwordx4 v[63:66], v[4:5], off
	v_mov_b32_e32 v8, 0
	v_mov_b32_e32 v7, 0
	s_waitcnt vmcnt(1)
	ds_write_b128 v40, v[59:62]
	s_waitcnt vmcnt(0)
	ds_write_b128 v41, v[63:66]
	s_waitcnt lgkmcnt(0)
	s_barrier
	ds_read_b128 v[59:62], v42
	ds_read_b128 v[63:66], v43
	ds_read_b128 v[67:70], v43 offset:512
	s_waitcnt lgkmcnt(1)
	;;#ASMSTART
	v_dot2_f32_f16 v8, v59, v63, v8
	;;#ASMEND
	;;#ASMSTART
	v_dot2_f32_f16 v8, v60, v64, v8
	;;#ASMEND
	;;#ASMSTART
	v_dot2_f32_f16 v8, v61, v65, v8
	;;#ASMEND
	;;#ASMSTART
	v_dot2_f32_f16 v8, v62, v66, v8
	;;#ASMEND
	s_waitcnt lgkmcnt(0)
	;;#ASMSTART
	v_dot2_f32_f16 v7, v59, v67, v7
	;;#ASMEND
	;;#ASMSTART
	v_dot2_f32_f16 v7, v60, v68, v7
	;;#ASMEND
	;;#ASMSTART
	v_dot2_f32_f16 v7, v61, v69, v7
	;;#ASMEND
	;;#ASMSTART
	v_dot2_f32_f16 v7, v62, v70, v7
	;;#ASMEND
	ds_read_b128 v[59:62], v42 offset:16
	ds_read_b128 v[63:66], v43 offset:16
	ds_read_b128 v[67:70], v43 offset:528
	s_waitcnt lgkmcnt(1)
	;;#ASMSTART
	v_dot2_f32_f16 v8, v59, v63, v8
	;;#ASMEND
	;;#ASMSTART
	v_dot2_f32_f16 v8, v60, v64, v8
	;;#ASMEND
	;;#ASMSTART
	v_dot2_f32_f16 v8, v61, v65, v8
	;;#ASMEND
	;;#ASMSTART
	v_dot2_f32_f16 v8, v62, v66, v8
	;;#ASMEND
	s_waitcnt lgkmcnt(0)
	;;#ASMSTART
	v_dot2_f32_f16 v7, v59, v67, v7
	;;#ASMEND
	;;#ASMSTART
	v_dot2_f32_f16 v7, v60, v68, v7
	;;#ASMEND
	;;#ASMSTART
	v_dot2_f32_f16 v7, v61, v69, v7
	;;#ASMEND
	;;#ASMSTART
	v_dot2_f32_f16 v7, v62, v70, v7
	;;#ASMEND
	ds_read_b128 v[59:62], v42 offset:32
	ds_read_b128 v[63:66], v43 offset:32
	ds_read_b128 v[67:70], v43 offset:544
	s_waitcnt lgkmcnt(1)
	;;#ASMSTART
	v_dot2_f32_f16 v8, v59, v63, v8
	;;#ASMEND
	;;#ASMSTART
	v_dot2_f32_f16 v8, v60, v64, v8
	;;#ASMEND
	;;#ASMSTART
	v_dot2_f32_f16 v8, v61, v65, v8
	;;#ASMEND
	;;#ASMSTART
	v_dot2_f32_f16 v8, v62, v66, v8
	;;#ASMEND
	s_waitcnt lgkmcnt(0)
	;;#ASMSTART
	v_dot2_f32_f16 v7, v59, v67, v7
	;;#ASMEND
	;;#ASMSTART
	v_dot2_f32_f16 v7, v60, v68, v7
	;;#ASMEND
	;;#ASMSTART
	v_dot2_f32_f16 v7, v61, v69, v7
	;;#ASMEND
	;;#ASMSTART
	v_dot2_f32_f16 v7, v62, v70, v7
	;;#ASMEND
	ds_read_b128 v[59:62], v42 offset:48
	ds_read_b128 v[63:66], v43 offset:48
	ds_read_b128 v[67:70], v43 offset:560
	s_waitcnt lgkmcnt(1)
	;;#ASMSTART
	v_dot2_f32_f16 v8, v59, v63, v8
	;;#ASMEND
	;;#ASMSTART
	v_dot2_f32_f16 v8, v60, v64, v8
	;;#ASMEND
	;;#ASMSTART
	v_dot2_f32_f16 v8, v61, v65, v8
	;;#ASMEND
	;;#ASMSTART
	v_dot2_f32_f16 v8, v62, v66, v8
	;;#ASMEND
	s_waitcnt lgkmcnt(0)
	;;#ASMSTART
	v_dot2_f32_f16 v7, v59, v67, v7
	;;#ASMEND
	;;#ASMSTART
	v_dot2_f32_f16 v7, v60, v68, v7
	;;#ASMEND
	;;#ASMSTART
	v_dot2_f32_f16 v7, v61, v69, v7
	;;#ASMEND
	;;#ASMSTART
	v_dot2_f32_f16 v7, v62, v70, v7
	;;#ASMEND
	ds_read_b128 v[59:62], v42 offset:64
	ds_read_b128 v[63:66], v43 offset:64
	ds_read_b128 v[67:70], v43 offset:576
	s_waitcnt lgkmcnt(1)
	;;#ASMSTART
	v_dot2_f32_f16 v8, v59, v63, v8
	;;#ASMEND
	;;#ASMSTART
	v_dot2_f32_f16 v8, v60, v64, v8
	;;#ASMEND
	;;#ASMSTART
	v_dot2_f32_f16 v8, v61, v65, v8
	;;#ASMEND
	;;#ASMSTART
	v_dot2_f32_f16 v8, v62, v66, v8
	;;#ASMEND
	s_waitcnt lgkmcnt(0)
	;;#ASMSTART
	v_dot2_f32_f16 v7, v59, v67, v7
	;;#ASMEND
	;;#ASMSTART
	v_dot2_f32_f16 v7, v60, v68, v7
	;;#ASMEND
	;;#ASMSTART
	v_dot2_f32_f16 v7, v61, v69, v7
	;;#ASMEND
	;;#ASMSTART
	v_dot2_f32_f16 v7, v62, v70, v7
	;;#ASMEND
	ds_read_b128 v[59:62], v42 offset:80
	ds_read_b128 v[63:66], v43 offset:80
	ds_read_b128 v[67:70], v43 offset:592
	s_waitcnt lgkmcnt(1)
	;;#ASMSTART
	v_dot2_f32_f16 v8, v59, v63, v8
	;;#ASMEND
	;;#ASMSTART
	v_dot2_f32_f16 v8, v60, v64, v8
	;;#ASMEND
	;;#ASMSTART
	v_dot2_f32_f16 v8, v61, v65, v8
	;;#ASMEND
	;;#ASMSTART
	v_dot2_f32_f16 v8, v62, v66, v8
	;;#ASMEND
	s_waitcnt lgkmcnt(0)
	;;#ASMSTART
	v_dot2_f32_f16 v7, v59, v67, v7
	;;#ASMEND
	;;#ASMSTART
	v_dot2_f32_f16 v7, v60, v68, v7
	;;#ASMEND
	;;#ASMSTART
	v_dot2_f32_f16 v7, v61, v69, v7
	;;#ASMEND
	;;#ASMSTART
	v_dot2_f32_f16 v7, v62, v70, v7
	;;#ASMEND
	ds_read_b128 v[59:62], v42 offset:96
	ds_read_b128 v[63:66], v43 offset:96
	ds_read_b128 v[67:70], v43 offset:608
	s_waitcnt lgkmcnt(1)
	;;#ASMSTART
	v_dot2_f32_f16 v8, v59, v63, v8
	;;#ASMEND
	;;#ASMSTART
	v_dot2_f32_f16 v8, v60, v64, v8
	;;#ASMEND
	;;#ASMSTART
	v_dot2_f32_f16 v8, v61, v65, v8
	;;#ASMEND
	;;#ASMSTART
	v_dot2_f32_f16 v8, v62, v66, v8
	;;#ASMEND
	s_waitcnt lgkmcnt(0)
	;;#ASMSTART
	v_dot2_f32_f16 v7, v59, v67, v7
	;;#ASMEND
	;;#ASMSTART
	v_dot2_f32_f16 v7, v60, v68, v7
	;;#ASMEND
	;;#ASMSTART
	v_dot2_f32_f16 v7, v61, v69, v7
	;;#ASMEND
	;;#ASMSTART
	v_dot2_f32_f16 v7, v62, v70, v7
	;;#ASMEND
	ds_read_b128 v[59:62], v42 offset:112
	ds_read_b128 v[63:66], v43 offset:112
	ds_read_b128 v[67:70], v43 offset:624
	s_waitcnt lgkmcnt(1)
	;;#ASMSTART
	v_dot2_f32_f16 v8, v59, v63, v8
	;;#ASMEND
	;;#ASMSTART
	v_dot2_f32_f16 v8, v60, v64, v8
	;;#ASMEND
	;;#ASMSTART
	v_dot2_f32_f16 v8, v61, v65, v8
	;;#ASMEND
	;;#ASMSTART
	v_dot2_f32_f16 v8, v62, v66, v8
	;;#ASMEND
	s_waitcnt lgkmcnt(0)
	;;#ASMSTART
	v_dot2_f32_f16 v7, v59, v67, v7
	;;#ASMEND
	;;#ASMSTART
	v_dot2_f32_f16 v7, v60, v68, v7
	;;#ASMEND
	;;#ASMSTART
	v_dot2_f32_f16 v7, v61, v69, v7
	;;#ASMEND
	;;#ASMSTART
	v_dot2_f32_f16 v7, v62, v70, v7
	;;#ASMEND
	ds_read_b128 v[59:62], v42 offset:128
	ds_read_b128 v[63:66], v43 offset:128
	ds_read_b128 v[67:70], v43 offset:640
	s_waitcnt lgkmcnt(1)
	;;#ASMSTART
	v_dot2_f32_f16 v8, v59, v63, v8
	;;#ASMEND
	;;#ASMSTART
	v_dot2_f32_f16 v8, v60, v64, v8
	;;#ASMEND
	;;#ASMSTART
	v_dot2_f32_f16 v8, v61, v65, v8
	;;#ASMEND
	;;#ASMSTART
	v_dot2_f32_f16 v8, v62, v66, v8
	;;#ASMEND
	s_waitcnt lgkmcnt(0)
	;;#ASMSTART
	v_dot2_f32_f16 v7, v59, v67, v7
	;;#ASMEND
	;;#ASMSTART
	v_dot2_f32_f16 v7, v60, v68, v7
	;;#ASMEND
	;;#ASMSTART
	v_dot2_f32_f16 v7, v61, v69, v7
	;;#ASMEND
	;;#ASMSTART
	v_dot2_f32_f16 v7, v62, v70, v7
	;;#ASMEND
	ds_read_b128 v[59:62], v42 offset:144
	ds_read_b128 v[63:66], v43 offset:144
	ds_read_b128 v[67:70], v43 offset:656
	s_waitcnt lgkmcnt(1)
	;;#ASMSTART
	v_dot2_f32_f16 v8, v59, v63, v8
	;;#ASMEND
	;;#ASMSTART
	v_dot2_f32_f16 v8, v60, v64, v8
	;;#ASMEND
	;;#ASMSTART
	v_dot2_f32_f16 v8, v61, v65, v8
	;;#ASMEND
	;;#ASMSTART
	v_dot2_f32_f16 v8, v62, v66, v8
	;;#ASMEND
	s_waitcnt lgkmcnt(0)
	;;#ASMSTART
	v_dot2_f32_f16 v7, v59, v67, v7
	;;#ASMEND
	;;#ASMSTART
	v_dot2_f32_f16 v7, v60, v68, v7
	;;#ASMEND
	;;#ASMSTART
	v_dot2_f32_f16 v7, v61, v69, v7
	;;#ASMEND
	;;#ASMSTART
	v_dot2_f32_f16 v7, v62, v70, v7
	;;#ASMEND
	ds_read_b128 v[59:62], v42 offset:160
	ds_read_b128 v[63:66], v43 offset:160
	ds_read_b128 v[67:70], v43 offset:672
	s_waitcnt lgkmcnt(1)
	;;#ASMSTART
	v_dot2_f32_f16 v8, v59, v63, v8
	;;#ASMEND
	;;#ASMSTART
	v_dot2_f32_f16 v8, v60, v64, v8
	;;#ASMEND
	;;#ASMSTART
	v_dot2_f32_f16 v8, v61, v65, v8
	;;#ASMEND
	;;#ASMSTART
	v_dot2_f32_f16 v8, v62, v66, v8
	;;#ASMEND
	s_waitcnt lgkmcnt(0)
	;;#ASMSTART
	v_dot2_f32_f16 v7, v59, v67, v7
	;;#ASMEND
	;;#ASMSTART
	v_dot2_f32_f16 v7, v60, v68, v7
	;;#ASMEND
	;;#ASMSTART
	v_dot2_f32_f16 v7, v61, v69, v7
	;;#ASMEND
	;;#ASMSTART
	v_dot2_f32_f16 v7, v62, v70, v7
	;;#ASMEND
	ds_read_b128 v[59:62], v42 offset:176
	ds_read_b128 v[63:66], v43 offset:176
	ds_read_b128 v[67:70], v43 offset:688
	s_waitcnt lgkmcnt(1)
	;;#ASMSTART
	v_dot2_f32_f16 v8, v59, v63, v8
	;;#ASMEND
	;;#ASMSTART
	v_dot2_f32_f16 v8, v60, v64, v8
	;;#ASMEND
	;;#ASMSTART
	v_dot2_f32_f16 v8, v61, v65, v8
	;;#ASMEND
	;;#ASMSTART
	v_dot2_f32_f16 v8, v62, v66, v8
	;;#ASMEND
	s_waitcnt lgkmcnt(0)
	;;#ASMSTART
	v_dot2_f32_f16 v7, v59, v67, v7
	;;#ASMEND
	;;#ASMSTART
	v_dot2_f32_f16 v7, v60, v68, v7
	;;#ASMEND
	;;#ASMSTART
	v_dot2_f32_f16 v7, v61, v69, v7
	;;#ASMEND
	;;#ASMSTART
	v_dot2_f32_f16 v7, v62, v70, v7
	;;#ASMEND
	ds_read_b128 v[59:62], v42 offset:192
	ds_read_b128 v[63:66], v43 offset:192
	ds_read_b128 v[67:70], v43 offset:704
	s_waitcnt lgkmcnt(1)
	;;#ASMSTART
	v_dot2_f32_f16 v8, v59, v63, v8
	;;#ASMEND
	;;#ASMSTART
	v_dot2_f32_f16 v8, v60, v64, v8
	;;#ASMEND
	;;#ASMSTART
	v_dot2_f32_f16 v8, v61, v65, v8
	;;#ASMEND
	;;#ASMSTART
	v_dot2_f32_f16 v8, v62, v66, v8
	;;#ASMEND
	s_waitcnt lgkmcnt(0)
	;;#ASMSTART
	v_dot2_f32_f16 v7, v59, v67, v7
	;;#ASMEND
	;;#ASMSTART
	v_dot2_f32_f16 v7, v60, v68, v7
	;;#ASMEND
	;;#ASMSTART
	v_dot2_f32_f16 v7, v61, v69, v7
	;;#ASMEND
	;;#ASMSTART
	v_dot2_f32_f16 v7, v62, v70, v7
	;;#ASMEND
	ds_read_b128 v[59:62], v42 offset:208
	ds_read_b128 v[63:66], v43 offset:208
	ds_read_b128 v[67:70], v43 offset:720
	s_waitcnt lgkmcnt(1)
	;;#ASMSTART
	v_dot2_f32_f16 v8, v59, v63, v8
	;;#ASMEND
	;;#ASMSTART
	v_dot2_f32_f16 v8, v60, v64, v8
	;;#ASMEND
	;;#ASMSTART
	v_dot2_f32_f16 v8, v61, v65, v8
	;;#ASMEND
	;;#ASMSTART
	v_dot2_f32_f16 v8, v62, v66, v8
	;;#ASMEND
	s_waitcnt lgkmcnt(0)
	;;#ASMSTART
	v_dot2_f32_f16 v7, v59, v67, v7
	;;#ASMEND
	;;#ASMSTART
	v_dot2_f32_f16 v7, v60, v68, v7
	;;#ASMEND
	;;#ASMSTART
	v_dot2_f32_f16 v7, v61, v69, v7
	;;#ASMEND
	;;#ASMSTART
	v_dot2_f32_f16 v7, v62, v70, v7
	;;#ASMEND
	ds_read_b128 v[59:62], v42 offset:224
	ds_read_b128 v[63:66], v43 offset:224
	ds_read_b128 v[67:70], v43 offset:736
	s_waitcnt lgkmcnt(1)
	;;#ASMSTART
	v_dot2_f32_f16 v8, v59, v63, v8
	;;#ASMEND
	;;#ASMSTART
	v_dot2_f32_f16 v8, v60, v64, v8
	;;#ASMEND
	;;#ASMSTART
	v_dot2_f32_f16 v8, v61, v65, v8
	;;#ASMEND
	;;#ASMSTART
	v_dot2_f32_f16 v8, v62, v66, v8
	;;#ASMEND
	s_waitcnt lgkmcnt(0)
	;;#ASMSTART
	v_dot2_f32_f16 v7, v59, v67, v7
	;;#ASMEND
	;;#ASMSTART
	v_dot2_f32_f16 v7, v60, v68, v7
	;;#ASMEND
	;;#ASMSTART
	v_dot2_f32_f16 v7, v61, v69, v7
	;;#ASMEND
	;;#ASMSTART
	v_dot2_f32_f16 v7, v62, v70, v7
	;;#ASMEND
	ds_read_b128 v[59:62], v42 offset:240
	ds_read_b128 v[63:66], v43 offset:240
	ds_read_b128 v[67:70], v43 offset:752
	s_waitcnt lgkmcnt(1)
	;;#ASMSTART
	v_dot2_f32_f16 v8, v59, v63, v8
	;;#ASMEND
	;;#ASMSTART
	v_dot2_f32_f16 v8, v60, v64, v8
	;;#ASMEND
	;; [unrolled: 3-line block ×4, first 2 shown]
	s_waitcnt lgkmcnt(0)
	;;#ASMSTART
	v_dot2_f32_f16 v7, v59, v67, v7
	;;#ASMEND
	;;#ASMSTART
	v_dot2_f32_f16 v7, v60, v68, v7
	;;#ASMEND
	;; [unrolled: 3-line block ×4, first 2 shown]
	s_barrier
	global_load_dwordx4 v[59:62], v[2:3], off offset:256
	s_nop 0
	global_load_dwordx4 v[2:5], v[4:5], off offset:256
	s_waitcnt vmcnt(1)
	ds_write_b128 v40, v[59:62]
	s_waitcnt vmcnt(0)
	ds_write_b128 v41, v[2:5]
	s_waitcnt lgkmcnt(0)
	s_barrier
	ds_read_b128 v[2:5], v42
	ds_read_b128 v[59:62], v43 offset:256
	ds_read_b128 v[63:66], v43 offset:768
	s_waitcnt lgkmcnt(1)
	;;#ASMSTART
	v_dot2_f32_f16 v8, v2, v59, v8
	;;#ASMEND
	;;#ASMSTART
	v_dot2_f32_f16 v8, v3, v60, v8
	;;#ASMEND
	;;#ASMSTART
	v_dot2_f32_f16 v8, v4, v61, v8
	;;#ASMEND
	;;#ASMSTART
	v_dot2_f32_f16 v8, v5, v62, v8
	;;#ASMEND
	s_waitcnt lgkmcnt(0)
	;;#ASMSTART
	v_dot2_f32_f16 v7, v2, v63, v7
	;;#ASMEND
	;;#ASMSTART
	v_dot2_f32_f16 v7, v3, v64, v7
	;;#ASMEND
	;;#ASMSTART
	v_dot2_f32_f16 v7, v4, v65, v7
	;;#ASMEND
	;;#ASMSTART
	v_dot2_f32_f16 v7, v5, v66, v7
	;;#ASMEND
	ds_read_b128 v[2:5], v42 offset:16
	ds_read_b128 v[59:62], v43 offset:272
	ds_read_b128 v[63:66], v43 offset:784
	s_waitcnt lgkmcnt(1)
	;;#ASMSTART
	v_dot2_f32_f16 v8, v2, v59, v8
	;;#ASMEND
	;;#ASMSTART
	v_dot2_f32_f16 v8, v3, v60, v8
	;;#ASMEND
	;;#ASMSTART
	v_dot2_f32_f16 v8, v4, v61, v8
	;;#ASMEND
	;;#ASMSTART
	v_dot2_f32_f16 v8, v5, v62, v8
	;;#ASMEND
	s_waitcnt lgkmcnt(0)
	;;#ASMSTART
	v_dot2_f32_f16 v7, v2, v63, v7
	;;#ASMEND
	;;#ASMSTART
	v_dot2_f32_f16 v7, v3, v64, v7
	;;#ASMEND
	;;#ASMSTART
	v_dot2_f32_f16 v7, v4, v65, v7
	;;#ASMEND
	;;#ASMSTART
	v_dot2_f32_f16 v7, v5, v66, v7
	;;#ASMEND
	ds_read_b128 v[2:5], v42 offset:32
	;; [unrolled: 29-line block ×15, first 2 shown]
	ds_read_b128 v[59:62], v43 offset:496
	ds_read_b128 v[63:66], v43 offset:1008
	s_waitcnt lgkmcnt(1)
	;;#ASMSTART
	v_dot2_f32_f16 v8, v2, v59, v8
	;;#ASMEND
	;;#ASMSTART
	v_dot2_f32_f16 v8, v3, v60, v8
	;;#ASMEND
	;; [unrolled: 3-line block ×4, first 2 shown]
	s_waitcnt lgkmcnt(0)
	;;#ASMSTART
	v_dot2_f32_f16 v7, v2, v63, v7
	;;#ASMEND
	;;#ASMSTART
	v_dot2_f32_f16 v7, v3, v64, v7
	;;#ASMEND
	;; [unrolled: 3-line block ×3, first 2 shown]
	v_cmp_nlt_f32_e64 s[6:7], |v8|, s43
	;;#ASMSTART
	v_dot2_f32_f16 v7, v5, v66, v7
	;;#ASMEND
                                        ; implicit-def: $vgpr3
	s_and_saveexec_b64 s[14:15], s[6:7]
	s_xor_b64 s[6:7], exec, s[14:15]
	s_cbranch_execz .LBB71_10
; %bb.9:                                ;   in Loop: Header=BB71_8 Depth=1
	v_add_f32_e64 v2, |v8|, |v8|
	v_mul_f32_e32 v3, 0x3fb8aa3b, v2
	v_rndne_f32_e32 v4, v3
	v_sub_f32_e32 v5, v3, v4
	v_fma_f32 v3, v2, s44, -v3
	v_fmac_f32_e32 v3, 0x32a5705f, v2
	v_add_f32_e32 v3, v5, v3
	v_cvt_i32_f32_e32 v4, v4
	v_exp_f32_e32 v3, v3
	v_cmp_ngt_f32_e32 vcc, s45, v2
	v_ldexp_f32 v3, v3, v4
	v_cndmask_b32_e32 v3, 0, v3, vcc
	v_cmp_nlt_f32_e32 vcc, s46, v2
	v_cndmask_b32_e32 v2, v53, v3, vcc
	v_add_f32_e32 v2, 1.0, v2
	v_rcp_f32_e32 v2, v2
	v_fma_f32 v3, v2, -2.0, 1.0
.LBB71_10:                              ;   in Loop: Header=BB71_8 Depth=1
	s_andn2_saveexec_b64 s[6:7], s[6:7]
; %bb.11:                               ;   in Loop: Header=BB71_8 Depth=1
	v_mul_f32_e32 v2, v8, v8
	v_mov_b32_e32 v3, 0x3ca908c9
	v_fmac_f32_e32 v3, 0xbbbac73d, v2
	v_fma_f32 v3, v2, v3, v50
	v_fma_f32 v3, v2, v3, v51
	;; [unrolled: 1-line block ×3, first 2 shown]
	v_mul_f32_e64 v3, |v8|, v3
	v_fma_f32 v3, v2, v3, |v8|
; %bb.12:                               ;   in Loop: Header=BB71_8 Depth=1
	s_or_b64 exec, exec, s[6:7]
	v_cndmask_b32_e64 v2, 0, 1, s[10:11]
	v_cmp_ne_u32_e64 s[6:7], 1, v2
	s_andn2_b64 vcc, exec, s[10:11]
	v_add_u32_e32 v4, s22, v0
	s_cbranch_vccnz .LBB71_14
; %bb.13:                               ;   in Loop: Header=BB71_8 Depth=1
	v_add_u32_e32 v36, v4, v44
	v_ashrrev_i32_e32 v37, 31, v36
	v_lshlrev_b64 v[36:37], 1, v[36:37]
	v_mov_b32_e32 v2, s41
	v_add_co_u32_e32 v36, vcc, s40, v36
	v_addc_co_u32_e32 v37, vcc, v2, v37, vcc
	global_load_ushort v2, v[36:37], off
	s_waitcnt vmcnt(0)
	v_cvt_f32_f16_e32 v2, v2
	v_mul_f32_e32 v2, v17, v2
	s_branch .LBB71_15
.LBB71_14:                              ;   in Loop: Header=BB71_8 Depth=1
	v_mov_b32_e32 v2, 0
.LBB71_15:                              ;   in Loop: Header=BB71_8 Depth=1
	v_bfi_b32 v5, s47, v3, v8
	v_and_b32_e32 v3, 0x60, v54
	v_add_u32_e32 v37, 32, v3
	v_xor_b32_e32 v3, 16, v54
	v_cmp_lt_i32_e32 vcc, v3, v37
	v_fmac_f32_e32 v2, s19, v5
	v_cndmask_b32_e32 v3, v54, v3, vcc
	v_add_f32_e32 v5, 0x40051340, v2
	v_max_f32_e32 v8, v57, v57
	v_lshlrev_b32_e32 v3, 2, v3
	v_max_f32_e32 v8, v8, v5
	ds_bpermute_b32 v36, v3, v8
	v_xor_b32_e32 v5, 8, v54
	v_cmp_lt_i32_e32 vcc, v5, v37
	v_cndmask_b32_e32 v5, v54, v5, vcc
	v_lshlrev_b32_e32 v5, 2, v5
	s_waitcnt lgkmcnt(0)
	v_max_f32_e32 v36, v36, v36
	v_max_f32_e32 v36, v8, v36
	ds_bpermute_b32 v59, v5, v36
	v_xor_b32_e32 v8, 4, v54
	v_cmp_lt_i32_e32 vcc, v8, v37
	v_cndmask_b32_e32 v8, v54, v8, vcc
	v_lshlrev_b32_e32 v8, 2, v8
	s_waitcnt lgkmcnt(0)
	v_max_f32_e32 v59, v59, v59
	;; [unrolled: 8-line block ×4, first 2 shown]
	v_max_f32_e32 v59, v59, v60
	ds_bpermute_b32 v60, v37, v59
	v_cmp_nlt_f32_e64 s[14:15], |v7|, s43
                                        ; implicit-def: $vgpr61
	s_and_saveexec_b64 s[50:51], s[14:15]
	s_xor_b64 s[14:15], exec, s[50:51]
	s_cbranch_execnz .LBB71_19
; %bb.16:                               ;   in Loop: Header=BB71_8 Depth=1
	s_andn2_saveexec_b64 s[14:15], s[14:15]
	s_cbranch_execnz .LBB71_20
.LBB71_17:                              ;   in Loop: Header=BB71_8 Depth=1
	s_or_b64 exec, exec, s[14:15]
	s_and_b64 vcc, exec, s[6:7]
	s_cbranch_vccnz .LBB71_21
.LBB71_18:                              ;   in Loop: Header=BB71_8 Depth=1
	v_add_u32_e32 v62, v4, v45
	v_ashrrev_i32_e32 v63, 31, v62
	v_lshlrev_b64 v[62:63], 1, v[62:63]
	v_mov_b32_e32 v4, s41
	v_add_co_u32_e32 v62, vcc, s40, v62
	v_addc_co_u32_e32 v63, vcc, v4, v63, vcc
	global_load_ushort v4, v[62:63], off
	s_waitcnt vmcnt(0)
	v_cvt_f32_f16_e32 v4, v4
	v_mul_f32_e32 v4, v17, v4
	s_branch .LBB71_22
.LBB71_19:                              ;   in Loop: Header=BB71_8 Depth=1
	v_add_f32_e64 v61, |v7|, |v7|
	v_mul_f32_e32 v62, 0x3fb8aa3b, v61
	v_rndne_f32_e32 v63, v62
	v_sub_f32_e32 v64, v62, v63
	v_fma_f32 v62, v61, s44, -v62
	v_fmac_f32_e32 v62, 0x32a5705f, v61
	v_add_f32_e32 v62, v64, v62
	v_cvt_i32_f32_e32 v63, v63
	v_exp_f32_e32 v62, v62
	v_cmp_ngt_f32_e32 vcc, s45, v61
	v_ldexp_f32 v62, v62, v63
	v_cndmask_b32_e32 v62, 0, v62, vcc
	v_cmp_nlt_f32_e32 vcc, s46, v61
	v_cndmask_b32_e32 v61, v53, v62, vcc
	v_add_f32_e32 v61, 1.0, v61
	v_rcp_f32_e32 v61, v61
	v_fma_f32 v61, v61, -2.0, 1.0
	s_andn2_saveexec_b64 s[14:15], s[14:15]
	s_cbranch_execz .LBB71_17
.LBB71_20:                              ;   in Loop: Header=BB71_8 Depth=1
	v_mul_f32_e32 v61, v7, v7
	v_mov_b32_e32 v62, 0x3ca908c9
	v_fmac_f32_e32 v62, 0xbbbac73d, v61
	v_fma_f32 v62, v61, v62, v50
	v_fma_f32 v62, v61, v62, v51
	;; [unrolled: 1-line block ×3, first 2 shown]
	v_mul_f32_e64 v62, |v7|, v62
	v_fma_f32 v61, v61, v62, |v7|
	s_or_b64 exec, exec, s[14:15]
	s_and_b64 vcc, exec, s[6:7]
	s_cbranch_vccz .LBB71_18
.LBB71_21:                              ;   in Loop: Header=BB71_8 Depth=1
	v_mov_b32_e32 v4, 0
.LBB71_22:                              ;   in Loop: Header=BB71_8 Depth=1
	v_bfi_b32 v61, s47, v61, v7
	s_waitcnt lgkmcnt(0)
	v_max_f32_e32 v7, v60, v60
	v_max_f32_e32 v59, v59, v59
	v_fmac_f32_e32 v4, s19, v61
	v_max_f32_e32 v7, v59, v7
	v_add_f32_e32 v59, 0x40051340, v4
	v_max_f32_e32 v60, v56, v56
	v_max_f32_e32 v59, v60, v59
	ds_bpermute_b32 v3, v3, v59
	v_sub_f32_e32 v2, v2, v7
	s_mul_hi_i32 s7, s22, s8
	s_mul_i32 s6, s22, s8
	s_lshl_b64 s[6:7], s[6:7], 2
	s_waitcnt lgkmcnt(0)
	v_max_f32_e32 v3, v3, v3
	v_max_f32_e32 v3, v59, v3
	ds_bpermute_b32 v5, v5, v3
	s_add_u32 s6, s16, s6
	s_addc_u32 s7, s17, s7
	s_waitcnt lgkmcnt(0)
	s_barrier
	v_max_f32_e32 v5, v5, v5
	v_max_f32_e32 v3, v3, v5
	ds_bpermute_b32 v5, v8, v3
	s_waitcnt lgkmcnt(0)
	v_max_f32_e32 v5, v5, v5
	v_max_f32_e32 v3, v3, v5
	ds_bpermute_b32 v5, v36, v3
	s_waitcnt lgkmcnt(0)
	v_max_f32_e32 v5, v5, v5
	v_max_f32_e32 v3, v3, v5
	ds_bpermute_b32 v5, v37, v3
	s_waitcnt lgkmcnt(0)
	v_max_f32_e32 v5, v5, v5
	v_max_f32_e32 v8, v3, v5
	v_sub_f32_e32 v3, v57, v7
	v_mul_f32_e32 v5, 0x3fb8aa3b, v3
	v_fma_f32 v36, v3, s44, -v5
	v_rndne_f32_e32 v37, v5
	v_fmac_f32_e32 v36, 0x32a5705f, v3
	v_sub_f32_e32 v5, v5, v37
	v_add_f32_e32 v5, v5, v36
	v_exp_f32_e32 v5, v5
	v_cvt_i32_f32_e32 v36, v37
	v_cmp_ngt_f32_e32 vcc, s45, v3
	v_sub_f32_e32 v4, v4, v8
	v_ldexp_f32 v5, v5, v36
	v_cndmask_b32_e32 v5, 0, v5, vcc
	v_cmp_nlt_f32_e32 vcc, s46, v3
	v_cndmask_b32_e32 v3, v53, v5, vcc
	v_mul_f32_e32 v5, 0x3fb8aa3b, v2
	v_fma_f32 v36, v2, s44, -v5
	v_rndne_f32_e32 v37, v5
	v_fmac_f32_e32 v36, 0x32a5705f, v2
	v_sub_f32_e32 v5, v5, v37
	v_add_f32_e32 v5, v5, v36
	v_exp_f32_e32 v5, v5
	v_cvt_i32_f32_e32 v36, v37
	v_cmp_ngt_f32_e32 vcc, s45, v2
	v_ldexp_f32 v5, v5, v36
	v_cndmask_b32_e32 v5, 0, v5, vcc
	v_cmp_nlt_f32_e32 vcc, s46, v2
	v_cndmask_b32_e32 v37, v53, v5, vcc
	v_cvt_f16_f32_e32 v2, v37
	v_fmac_f32_e32 v37, v58, v3
	v_cvt_f16_f32_e32 v3, v3
	v_mul_u32_u24_e32 v67, 0x10001, v3
	v_sub_f32_e32 v3, v56, v8
	v_mul_f32_e32 v5, 0x3fb8aa3b, v3
	v_pk_mul_f16 v68, v33, v67
	v_fma_f32 v33, v3, s44, -v5
	v_rndne_f32_e32 v36, v5
	v_fmac_f32_e32 v33, 0x32a5705f, v3
	v_sub_f32_e32 v5, v5, v36
	v_add_f32_e32 v5, v5, v33
	v_exp_f32_e32 v5, v5
	v_cvt_i32_f32_e32 v33, v36
	v_cmp_ngt_f32_e32 vcc, s45, v3
	v_pk_mul_f16 v35, v35, v67
	v_pk_mul_f16 v34, v34, v67
	v_ldexp_f32 v5, v5, v33
	v_cndmask_b32_e32 v5, 0, v5, vcc
	v_cmp_nlt_f32_e32 vcc, s46, v3
	v_cndmask_b32_e32 v3, v53, v5, vcc
	v_mul_f32_e32 v5, 0x3fb8aa3b, v4
	v_fma_f32 v33, v4, s44, -v5
	v_rndne_f32_e32 v36, v5
	v_fmac_f32_e32 v33, 0x32a5705f, v4
	v_sub_f32_e32 v5, v5, v36
	v_add_f32_e32 v5, v5, v33
	v_exp_f32_e32 v5, v5
	v_cvt_i32_f32_e32 v33, v36
	v_cmp_ngt_f32_e32 vcc, s45, v4
	v_ldexp_f32 v5, v5, v33
	v_cndmask_b32_e32 v5, 0, v5, vcc
	v_cmp_nlt_f32_e32 vcc, s46, v4
	v_cndmask_b32_e32 v36, v53, v5, vcc
	v_cvt_f16_f32_e32 v4, v36
	v_fmac_f32_e32 v36, v55, v3
	v_cvt_f16_f32_e32 v3, v3
	v_pack_b32_f16 v2, v2, v4
	v_mul_u32_u24_e32 v69, 0x10001, v3
	v_add_u32_e32 v3, v46, v21
	ds_write_b32 v3, v2
	v_add_co_u32_e32 v2, vcc, s6, v13
	v_mov_b32_e32 v3, s7
	v_addc_co_u32_e32 v3, vcc, v3, v14, vcc
	v_add_co_u32_e32 v2, vcc, v2, v26
	v_addc_co_u32_e32 v3, vcc, 0, v3, vcc
	global_load_dwordx4 v[2:5], v[2:3], off
	v_pk_mul_f16 v70, v32, v69
	v_pk_mul_f16 v71, v31, v69
	v_pk_mul_f16 v72, v30, v69
	s_waitcnt vmcnt(0)
	ds_write_b128 v47, v[2:5]
	v_add_co_u32_e32 v2, vcc, s6, v15
	v_mov_b32_e32 v3, s7
	v_addc_co_u32_e32 v3, vcc, v3, v16, vcc
	v_add_co_u32_e32 v2, vcc, v2, v26
	v_addc_co_u32_e32 v3, vcc, 0, v3, vcc
	global_load_dwordx4 v[2:5], v[2:3], off
	s_or_b32 s6, s22, 16
	s_mul_hi_i32 s7, s6, s8
	s_mul_i32 s6, s6, s8
	s_lshl_b64 s[6:7], s[6:7], 2
	s_add_u32 s6, s16, s6
	s_addc_u32 s7, s17, s7
	s_waitcnt vmcnt(0)
	ds_write_b128 v48, v[2:5]
	s_waitcnt lgkmcnt(0)
	s_barrier
	ds_read2_b64 v[30:33], v25 offset1:32
	ds_read_b128 v[55:58], v46
	ds_read_b128 v[59:62], v46 offset:16
	ds_read_b128 v[63:66], v46 offset:32
	;; [unrolled: 1-line block ×3, first 2 shown]
	s_waitcnt lgkmcnt(3)
	v_mul_u32_u24_sdwa v73, v55, s48 dst_sel:DWORD dst_unused:UNUSED_PAD src0_sel:WORD_0 src1_sel:DWORD
	v_mul_u32_u24_sdwa v55, v55, s48 dst_sel:DWORD dst_unused:UNUSED_PAD src0_sel:WORD_1 src1_sel:DWORD
	v_pk_mul_f16 v74, v30, v73
	v_pk_mul_f16 v30, v30, v55
	v_pk_fma_f16 v28, v28, v67, v74
	v_pk_fma_f16 v27, v27, v69, v30
	v_pk_fma_f16 v35, v31, v73, v35
	v_pk_fma_f16 v67, v31, v55, v70
	v_pk_fma_f16 v68, v32, v73, v68
	v_pk_fma_f16 v69, v32, v55, v71
	v_pk_fma_f16 v34, v33, v73, v34
	v_pk_fma_f16 v55, v33, v55, v72
	ds_read2_b64 v[30:33], v25 offset0:64 offset1:96
	v_mul_u32_u24_sdwa v70, v56, s48 dst_sel:DWORD dst_unused:UNUSED_PAD src0_sel:WORD_0 src1_sel:DWORD
	v_mul_u32_u24_sdwa v56, v56, s48 dst_sel:DWORD dst_unused:UNUSED_PAD src0_sel:WORD_1 src1_sel:DWORD
	s_waitcnt lgkmcnt(0)
	v_pk_fma_f16 v28, v30, v70, v28
	v_pk_fma_f16 v27, v30, v56, v27
	v_pk_fma_f16 v35, v31, v70, v35
	v_pk_fma_f16 v67, v31, v56, v67
	v_pk_fma_f16 v68, v32, v70, v68
	v_pk_fma_f16 v69, v32, v56, v69
	v_pk_fma_f16 v34, v33, v70, v34
	v_pk_fma_f16 v55, v33, v56, v55
	ds_read2_b64 v[30:33], v25 offset0:128 offset1:160
	v_mul_u32_u24_sdwa v56, v57, s48 dst_sel:DWORD dst_unused:UNUSED_PAD src0_sel:WORD_0 src1_sel:DWORD
	v_mul_u32_u24_sdwa v57, v57, s48 dst_sel:DWORD dst_unused:UNUSED_PAD src0_sel:WORD_1 src1_sel:DWORD
	s_waitcnt lgkmcnt(0)
	;; [unrolled: 12-line block ×3, first 2 shown]
	v_pk_fma_f16 v58, v30, v56, v28
	v_add_u32_e32 v28, 0x800, v25
	v_pk_fma_f16 v27, v30, v57, v27
	v_pk_fma_f16 v35, v31, v56, v35
	;; [unrolled: 1-line block ×7, first 2 shown]
	ds_read2_b64 v[30:33], v28 offset1:32
	v_mul_u32_u24_sdwa v56, v59, s48 dst_sel:DWORD dst_unused:UNUSED_PAD src0_sel:WORD_0 src1_sel:DWORD
	v_mul_u32_u24_sdwa v57, v59, s48 dst_sel:DWORD dst_unused:UNUSED_PAD src0_sel:WORD_1 src1_sel:DWORD
	s_waitcnt lgkmcnt(0)
	v_pk_fma_f16 v58, v30, v56, v58
	v_pk_fma_f16 v27, v30, v57, v27
	v_pk_fma_f16 v35, v31, v56, v35
	v_pk_fma_f16 v59, v31, v57, v67
	v_pk_fma_f16 v67, v32, v56, v68
	v_pk_fma_f16 v68, v32, v57, v69
	v_pk_fma_f16 v34, v33, v56, v34
	v_pk_fma_f16 v55, v33, v57, v55
	ds_read2_b64 v[30:33], v28 offset0:64 offset1:96
	v_mul_u32_u24_sdwa v56, v60, s48 dst_sel:DWORD dst_unused:UNUSED_PAD src0_sel:WORD_0 src1_sel:DWORD
	v_mul_u32_u24_sdwa v57, v60, s48 dst_sel:DWORD dst_unused:UNUSED_PAD src0_sel:WORD_1 src1_sel:DWORD
	s_waitcnt lgkmcnt(0)
	v_pk_fma_f16 v58, v30, v56, v58
	v_pk_fma_f16 v27, v30, v57, v27
	v_pk_fma_f16 v35, v31, v56, v35
	v_pk_fma_f16 v59, v31, v57, v59
	v_pk_fma_f16 v60, v32, v56, v67
	v_pk_fma_f16 v67, v32, v57, v68
	v_pk_fma_f16 v34, v33, v56, v34
	v_pk_fma_f16 v55, v33, v57, v55
	ds_read2_b64 v[30:33], v28 offset0:128 offset1:160
	;; [unrolled: 12-line block ×3, first 2 shown]
	v_mul_u32_u24_sdwa v57, v62, s48 dst_sel:DWORD dst_unused:UNUSED_PAD src0_sel:WORD_1 src1_sel:DWORD
	v_mul_u32_u24_sdwa v56, v62, s48 dst_sel:DWORD dst_unused:UNUSED_PAD src0_sel:WORD_0 src1_sel:DWORD
	s_waitcnt lgkmcnt(0)
	v_pk_fma_f16 v62, v30, v57, v27
	v_add_u32_e32 v27, 0x1000, v25
	v_pk_fma_f16 v58, v30, v56, v58
	v_pk_fma_f16 v35, v31, v56, v35
	;; [unrolled: 1-line block ×7, first 2 shown]
	ds_read2_b64 v[30:33], v27 offset1:32
	v_mul_u32_u24_sdwa v56, v63, s48 dst_sel:DWORD dst_unused:UNUSED_PAD src0_sel:WORD_0 src1_sel:DWORD
	v_mul_u32_u24_sdwa v57, v63, s48 dst_sel:DWORD dst_unused:UNUSED_PAD src0_sel:WORD_1 src1_sel:DWORD
	s_waitcnt lgkmcnt(0)
	v_pk_fma_f16 v58, v30, v56, v58
	v_pk_fma_f16 v62, v30, v57, v62
	v_pk_fma_f16 v35, v31, v56, v35
	v_pk_fma_f16 v59, v31, v57, v59
	v_pk_fma_f16 v60, v32, v56, v60
	v_pk_fma_f16 v61, v32, v57, v61
	v_pk_fma_f16 v34, v33, v56, v34
	v_pk_fma_f16 v55, v33, v57, v55
	ds_read2_b64 v[30:33], v27 offset0:64 offset1:96
	v_mul_u32_u24_sdwa v56, v64, s48 dst_sel:DWORD dst_unused:UNUSED_PAD src0_sel:WORD_0 src1_sel:DWORD
	v_mul_u32_u24_sdwa v57, v64, s48 dst_sel:DWORD dst_unused:UNUSED_PAD src0_sel:WORD_1 src1_sel:DWORD
	s_waitcnt lgkmcnt(0)
	v_pk_fma_f16 v58, v30, v56, v58
	v_pk_fma_f16 v62, v30, v57, v62
	v_pk_fma_f16 v35, v31, v56, v35
	v_pk_fma_f16 v59, v31, v57, v59
	v_pk_fma_f16 v60, v32, v56, v60
	v_pk_fma_f16 v61, v32, v57, v61
	v_pk_fma_f16 v34, v33, v56, v34
	v_pk_fma_f16 v55, v33, v57, v55
	ds_read2_b64 v[30:33], v27 offset0:128 offset1:160
	;; [unrolled: 12-line block ×3, first 2 shown]
	v_mul_u32_u24_sdwa v56, v66, s48 dst_sel:DWORD dst_unused:UNUSED_PAD src0_sel:WORD_0 src1_sel:DWORD
	v_mul_u32_u24_sdwa v57, v66, s48 dst_sel:DWORD dst_unused:UNUSED_PAD src0_sel:WORD_1 src1_sel:DWORD
	s_waitcnt lgkmcnt(0)
	v_pk_fma_f16 v58, v30, v56, v58
	v_pk_fma_f16 v62, v30, v57, v62
	v_add_u32_e32 v30, 0x1800, v25
	v_pk_fma_f16 v35, v31, v56, v35
	v_pk_fma_f16 v59, v31, v57, v59
	;; [unrolled: 1-line block ×6, first 2 shown]
	ds_read2_b64 v[31:34], v30 offset1:32
	v_mul_u32_u24_sdwa v57, v2, s48 dst_sel:DWORD dst_unused:UNUSED_PAD src0_sel:WORD_0 src1_sel:DWORD
	v_mul_u32_u24_sdwa v2, v2, s48 dst_sel:DWORD dst_unused:UNUSED_PAD src0_sel:WORD_1 src1_sel:DWORD
	s_waitcnt lgkmcnt(0)
	v_pk_fma_f16 v58, v31, v57, v58
	v_pk_fma_f16 v62, v31, v2, v62
	v_pk_fma_f16 v35, v32, v57, v35
	v_pk_fma_f16 v59, v32, v2, v59
	v_pk_fma_f16 v60, v33, v57, v60
	v_pk_fma_f16 v61, v33, v2, v61
	v_pk_fma_f16 v56, v34, v57, v56
	v_pk_fma_f16 v2, v34, v2, v55
	ds_read2_b64 v[31:34], v30 offset0:64 offset1:96
	v_mul_u32_u24_sdwa v55, v3, s48 dst_sel:DWORD dst_unused:UNUSED_PAD src0_sel:WORD_0 src1_sel:DWORD
	v_mul_u32_u24_sdwa v3, v3, s48 dst_sel:DWORD dst_unused:UNUSED_PAD src0_sel:WORD_1 src1_sel:DWORD
	s_waitcnt lgkmcnt(0)
	v_pk_fma_f16 v57, v31, v55, v58
	v_pk_fma_f16 v58, v31, v3, v62
	v_pk_fma_f16 v35, v32, v55, v35
	v_pk_fma_f16 v59, v32, v3, v59
	v_pk_fma_f16 v60, v33, v55, v60
	v_pk_fma_f16 v61, v33, v3, v61
	v_pk_fma_f16 v55, v34, v55, v56
	v_pk_fma_f16 v2, v34, v3, v2
	ds_read2_b64 v[31:34], v30 offset0:128 offset1:160
	;; [unrolled: 12-line block ×3, first 2 shown]
	v_mul_u32_u24_sdwa v4, v5, s48 dst_sel:DWORD dst_unused:UNUSED_PAD src0_sel:WORD_0 src1_sel:DWORD
	v_mul_u32_u24_sdwa v5, v5, s48 dst_sel:DWORD dst_unused:UNUSED_PAD src0_sel:WORD_1 src1_sel:DWORD
	s_waitcnt lgkmcnt(0)
	s_barrier
	v_pk_fma_f16 v72, v34, v4, v3
	v_pk_fma_f16 v73, v34, v5, v2
	v_add_co_u32_e32 v2, vcc, s6, v13
	v_mov_b32_e32 v3, s7
	v_addc_co_u32_e32 v3, vcc, v3, v14, vcc
	v_add_co_u32_e32 v2, vcc, v2, v26
	v_addc_co_u32_e32 v3, vcc, 0, v3, vcc
	v_pk_fma_f16 v67, v31, v4, v56
	v_pk_fma_f16 v68, v31, v5, v57
	;; [unrolled: 1-line block ×6, first 2 shown]
	global_load_dwordx4 v[2:5], v[2:3], off
	s_waitcnt vmcnt(0)
	ds_write_b128 v47, v[2:5]
	v_add_co_u32_e32 v2, vcc, s6, v15
	v_mov_b32_e32 v3, s7
	v_addc_co_u32_e32 v3, vcc, v3, v16, vcc
	v_add_co_u32_e32 v2, vcc, v2, v26
	v_addc_co_u32_e32 v3, vcc, 0, v3, vcc
	global_load_dwordx4 v[2:5], v[2:3], off
	s_waitcnt vmcnt(0)
	ds_write_b128 v48, v[2:5]
	s_waitcnt lgkmcnt(0)
	s_barrier
	ds_read2_b64 v[31:34], v25 offset1:32
	ds_read_b128 v[55:58], v46 offset:64
	ds_read_b128 v[59:62], v46 offset:80
	ds_read_b128 v[63:66], v46 offset:96
	ds_read_b128 v[2:5], v46 offset:112
	s_waitcnt lgkmcnt(3)
	v_mul_u32_u24_sdwa v74, v55, s48 dst_sel:DWORD dst_unused:UNUSED_PAD src0_sel:WORD_0 src1_sel:DWORD
	v_mul_u32_u24_sdwa v55, v55, s48 dst_sel:DWORD dst_unused:UNUSED_PAD src0_sel:WORD_1 src1_sel:DWORD
	v_pk_fma_f16 v67, v31, v74, v67
	v_pk_fma_f16 v68, v31, v55, v68
	v_pk_fma_f16 v35, v32, v74, v35
	v_pk_fma_f16 v69, v32, v55, v69
	v_pk_fma_f16 v70, v33, v74, v70
	v_pk_fma_f16 v71, v33, v55, v71
	v_pk_fma_f16 v72, v34, v74, v72
	v_pk_fma_f16 v55, v34, v55, v73
	ds_read2_b64 v[31:34], v25 offset0:64 offset1:96
	v_mul_u32_u24_sdwa v73, v56, s48 dst_sel:DWORD dst_unused:UNUSED_PAD src0_sel:WORD_0 src1_sel:DWORD
	v_mul_u32_u24_sdwa v56, v56, s48 dst_sel:DWORD dst_unused:UNUSED_PAD src0_sel:WORD_1 src1_sel:DWORD
	s_waitcnt lgkmcnt(0)
	v_pk_fma_f16 v67, v31, v73, v67
	v_pk_fma_f16 v68, v31, v56, v68
	v_pk_fma_f16 v35, v32, v73, v35
	v_pk_fma_f16 v69, v32, v56, v69
	v_pk_fma_f16 v70, v33, v73, v70
	v_pk_fma_f16 v71, v33, v56, v71
	v_pk_fma_f16 v72, v34, v73, v72
	v_pk_fma_f16 v55, v34, v56, v55
	ds_read2_b64 v[31:34], v25 offset0:128 offset1:160
	v_mul_u32_u24_sdwa v56, v57, s48 dst_sel:DWORD dst_unused:UNUSED_PAD src0_sel:WORD_0 src1_sel:DWORD
	v_mul_u32_u24_sdwa v57, v57, s48 dst_sel:DWORD dst_unused:UNUSED_PAD src0_sel:WORD_1 src1_sel:DWORD
	s_waitcnt lgkmcnt(0)
	v_pk_fma_f16 v67, v31, v56, v67
	v_pk_fma_f16 v68, v31, v57, v68
	v_pk_fma_f16 v35, v32, v56, v35
	v_pk_fma_f16 v69, v32, v57, v69
	v_pk_fma_f16 v70, v33, v56, v70
	v_pk_fma_f16 v71, v33, v57, v71
	v_pk_fma_f16 v56, v34, v56, v72
	v_pk_fma_f16 v55, v34, v57, v55
	ds_read2_b64 v[31:34], v25 offset0:192 offset1:224
	v_mul_u32_u24_sdwa v57, v58, s48 dst_sel:DWORD dst_unused:UNUSED_PAD src0_sel:WORD_0 src1_sel:DWORD
	v_mul_u32_u24_sdwa v58, v58, s48 dst_sel:DWORD dst_unused:UNUSED_PAD src0_sel:WORD_1 src1_sel:DWORD
	s_waitcnt lgkmcnt(0)
	v_pk_fma_f16 v67, v31, v57, v67
	v_pk_fma_f16 v68, v31, v58, v68
	v_pk_fma_f16 v35, v32, v57, v35
	v_pk_fma_f16 v69, v32, v58, v69
	v_pk_fma_f16 v70, v33, v57, v70
	v_pk_fma_f16 v71, v33, v58, v71
	v_pk_fma_f16 v56, v34, v57, v56
	v_pk_fma_f16 v55, v34, v58, v55
	ds_read2_b64 v[31:34], v28 offset1:32
	v_mul_u32_u24_sdwa v57, v59, s48 dst_sel:DWORD dst_unused:UNUSED_PAD src0_sel:WORD_0 src1_sel:DWORD
	v_mul_u32_u24_sdwa v58, v59, s48 dst_sel:DWORD dst_unused:UNUSED_PAD src0_sel:WORD_1 src1_sel:DWORD
	s_waitcnt lgkmcnt(0)
	v_pk_fma_f16 v59, v31, v57, v67
	v_pk_fma_f16 v67, v31, v58, v68
	v_pk_fma_f16 v35, v32, v57, v35
	v_pk_fma_f16 v68, v32, v58, v69
	v_pk_fma_f16 v69, v33, v57, v70
	v_pk_fma_f16 v70, v33, v58, v71
	v_pk_fma_f16 v56, v34, v57, v56
	v_pk_fma_f16 v55, v34, v58, v55
	ds_read2_b64 v[31:34], v28 offset0:64 offset1:96
	v_mul_u32_u24_sdwa v57, v60, s48 dst_sel:DWORD dst_unused:UNUSED_PAD src0_sel:WORD_0 src1_sel:DWORD
	v_mul_u32_u24_sdwa v58, v60, s48 dst_sel:DWORD dst_unused:UNUSED_PAD src0_sel:WORD_1 src1_sel:DWORD
	s_waitcnt lgkmcnt(0)
	v_pk_fma_f16 v59, v31, v57, v59
	v_pk_fma_f16 v60, v31, v58, v67
	v_pk_fma_f16 v35, v32, v57, v35
	v_pk_fma_f16 v67, v32, v58, v68
	v_pk_fma_f16 v68, v33, v57, v69
	v_pk_fma_f16 v69, v33, v58, v70
	v_pk_fma_f16 v56, v34, v57, v56
	v_pk_fma_f16 v55, v34, v58, v55
	ds_read2_b64 v[31:34], v28 offset0:128 offset1:160
	v_mul_u32_u24_sdwa v57, v61, s48 dst_sel:DWORD dst_unused:UNUSED_PAD src0_sel:WORD_0 src1_sel:DWORD
	v_mul_u32_u24_sdwa v58, v61, s48 dst_sel:DWORD dst_unused:UNUSED_PAD src0_sel:WORD_1 src1_sel:DWORD
	s_waitcnt lgkmcnt(0)
	v_pk_fma_f16 v59, v31, v57, v59
	v_pk_fma_f16 v60, v31, v58, v60
	v_pk_fma_f16 v35, v32, v57, v35
	v_pk_fma_f16 v61, v32, v58, v67
	v_pk_fma_f16 v67, v33, v57, v68
	v_pk_fma_f16 v68, v33, v58, v69
	v_pk_fma_f16 v56, v34, v57, v56
	v_pk_fma_f16 v55, v34, v58, v55
	ds_read2_b64 v[31:34], v28 offset0:192 offset1:224
	v_mul_u32_u24_sdwa v28, v62, s48 dst_sel:DWORD dst_unused:UNUSED_PAD src0_sel:WORD_0 src1_sel:DWORD
	v_mul_u32_u24_sdwa v57, v62, s48 dst_sel:DWORD dst_unused:UNUSED_PAD src0_sel:WORD_1 src1_sel:DWORD
	s_waitcnt lgkmcnt(0)
	v_pk_fma_f16 v58, v31, v28, v59
	v_pk_fma_f16 v59, v31, v57, v60
	v_pk_fma_f16 v35, v32, v28, v35
	v_pk_fma_f16 v60, v32, v57, v61
	v_pk_fma_f16 v61, v33, v28, v67
	v_pk_fma_f16 v62, v33, v57, v68
	v_pk_fma_f16 v28, v34, v28, v56
	v_pk_fma_f16 v55, v34, v57, v55
	ds_read2_b64 v[31:34], v27 offset1:32
	v_mul_u32_u24_sdwa v56, v63, s48 dst_sel:DWORD dst_unused:UNUSED_PAD src0_sel:WORD_0 src1_sel:DWORD
	v_mul_u32_u24_sdwa v57, v63, s48 dst_sel:DWORD dst_unused:UNUSED_PAD src0_sel:WORD_1 src1_sel:DWORD
	s_waitcnt lgkmcnt(0)
	;; [unrolled: 48-line block ×3, first 2 shown]
	v_pk_fma_f16 v56, v31, v55, v57
	v_pk_fma_f16 v57, v31, v2, v58
	;; [unrolled: 1-line block ×8, first 2 shown]
	ds_read2_b64 v[31:34], v30 offset0:64 offset1:96
	v_mul_u32_u24_sdwa v28, v3, s48 dst_sel:DWORD dst_unused:UNUSED_PAD src0_sel:WORD_0 src1_sel:DWORD
	v_mul_u32_u24_sdwa v3, v3, s48 dst_sel:DWORD dst_unused:UNUSED_PAD src0_sel:WORD_1 src1_sel:DWORD
	s_waitcnt lgkmcnt(0)
	v_pk_fma_f16 v55, v31, v28, v56
	v_pk_fma_f16 v56, v31, v3, v57
	;; [unrolled: 1-line block ×8, first 2 shown]
	ds_read2_b64 v[31:34], v30 offset0:128 offset1:160
	v_mul_u32_u24_sdwa v3, v4, s48 dst_sel:DWORD dst_unused:UNUSED_PAD src0_sel:WORD_0 src1_sel:DWORD
	v_mul_u32_u24_sdwa v4, v4, s48 dst_sel:DWORD dst_unused:UNUSED_PAD src0_sel:WORD_1 src1_sel:DWORD
	s_waitcnt lgkmcnt(0)
	v_pk_fma_f16 v28, v31, v3, v55
	v_pk_fma_f16 v31, v31, v4, v56
	;; [unrolled: 1-line block ×5, first 2 shown]
	ds_read2_b64 v[55:58], v30 offset0:192 offset1:224
	s_waitcnt lgkmcnt(0)
	s_barrier
	s_load_dword s6, s[12:13], 0x4
	v_pk_fma_f16 v59, v33, v4, v59
	v_pk_fma_f16 v3, v34, v3, v27
	;; [unrolled: 1-line block ×3, first 2 shown]
	v_mul_u32_u24_sdwa v4, v5, s48 dst_sel:DWORD dst_unused:UNUSED_PAD src0_sel:WORD_0 src1_sel:DWORD
	s_waitcnt lgkmcnt(0)
	s_lshl_b32 s6, s6, 5
	v_mul_u32_u24_sdwa v5, v5, s48 dst_sel:DWORD dst_unused:UNUSED_PAD src0_sel:WORD_1 src1_sel:DWORD
	s_add_i32 s22, s6, s22
	v_pk_fma_f16 v28, v55, v4, v28
	v_pk_fma_f16 v27, v55, v5, v31
	;; [unrolled: 1-line block ×8, first 2 shown]
	s_cmp_lt_i32 s22, s39
	s_cbranch_scc0 .LBB71_25
; %bb.23:                               ;   in Loop: Header=BB71_8 Depth=1
	v_mov_b32_e32 v57, v7
	v_mov_b32_e32 v56, v8
	;; [unrolled: 1-line block ×4, first 2 shown]
	s_branch .LBB71_8
.LBB71_24:
	v_mov_b32_e32 v7, 0xfeffffff
	v_mov_b32_e32 v8, v7
	;; [unrolled: 1-line block ×11, first 2 shown]
.LBB71_25:
	s_cmp_gt_i32 s42, s22
	s_cbranch_scc1 .LBB71_27
; %bb.26:
	v_mbcnt_hi_u32_b32 v40, -1, v19
	v_and_b32_e32 v2, 0x60, v40
	v_add_u32_e32 v41, 32, v2
	v_xor_b32_e32 v43, 16, v40
	v_xor_b32_e32 v42, 8, v40
	;; [unrolled: 1-line block ×5, first 2 shown]
	s_cbranch_execz .LBB71_28
	s_branch .LBB71_47
.LBB71_27:
                                        ; implicit-def: $vgpr40
                                        ; implicit-def: $vgpr41
                                        ; implicit-def: $vgpr43
                                        ; implicit-def: $vgpr42
                                        ; implicit-def: $vgpr44
                                        ; implicit-def: $vgpr45
                                        ; implicit-def: $vgpr46
.LBB71_28:
	v_add_u32_e32 v5, v39, v23
	v_mul_lo_u32 v2, s36, v5
	s_mul_hi_i32 s11, s22, s36
	s_mul_i32 s10, s22, s36
	s_mov_b64 s[6:7], src_private_base
	s_sub_i32 s14, s42, s22
	s_lshl_b64 s[10:11], s[10:11], 2
	v_ashrrev_i32_e32 v3, 31, v2
	s_add_u32 s6, s37, s10
	v_lshlrev_b64 v[9:10], 2, v[2:3]
	s_addc_u32 s10, s38, s11
	v_mov_b32_e32 v3, s10
	v_add_co_u32_e32 v9, vcc, s6, v9
	v_lshlrev_b32_e32 v16, 2, v38
	v_addc_co_u32_e32 v3, vcc, v3, v10, vcc
	v_add_co_u32_e32 v14, vcc, v9, v16
	v_addc_co_u32_e32 v15, vcc, 0, v3, vcc
	v_mov_b32_e32 v4, 0
	v_mov_b32_e32 v10, s7
	v_cmp_gt_i32_e32 vcc, s14, v5
	v_mov_b32_e32 v11, 0
	buffer_store_dword v4, off, s[0:3], 0
	buffer_store_dword v4, off, s[0:3], 0 offset:4
	buffer_store_dword v4, off, s[0:3], 0 offset:8
	;; [unrolled: 1-line block ×3, first 2 shown]
	v_cndmask_b32_e32 v13, v10, v15, vcc
	v_cndmask_b32_e32 v12, v11, v14, vcc
	flat_load_dwordx4 v[38:41], v[12:13]
	v_lshl_add_u32 v2, s36, 4, v2
	v_ashrrev_i32_e32 v3, 31, v2
	v_lshlrev_b64 v[2:3], 2, v[2:3]
	s_movk_i32 s7, 0x110
	v_mad_u32_u24 v9, v5, s7, v16
	v_mov_b32_e32 v12, s10
	v_add_co_u32_e64 v2, s[6:7], s6, v2
	v_addc_co_u32_e64 v3, s[6:7], v12, v3, s[6:7]
	v_add_co_u32_e64 v12, s[6:7], v2, v16
	v_add_u32_e32 v5, 16, v5
	v_addc_co_u32_e64 v13, s[6:7], 0, v3, s[6:7]
	v_cmp_gt_i32_e64 s[6:7], s14, v5
	buffer_store_dword v4, off, s[0:3], 0
	buffer_store_dword v4, off, s[0:3], 0 offset:4
	buffer_store_dword v4, off, s[0:3], 0 offset:8
	;; [unrolled: 1-line block ×3, first 2 shown]
	v_cndmask_b32_e64 v3, v10, v13, s[6:7]
	v_cndmask_b32_e64 v2, v11, v12, s[6:7]
	v_mov_b32_e32 v5, 0
	s_movk_i32 s12, 0x100
	v_add_co_u32_e64 v14, s[10:11], s12, v14
	v_addc_co_u32_e64 v15, s[10:11], 0, v15, s[10:11]
	v_cndmask_b32_e32 v15, v10, v15, vcc
	v_cndmask_b32_e32 v14, v11, v14, vcc
	s_waitcnt vmcnt(0) lgkmcnt(0)
	ds_write_b128 v9, v[38:41]
	flat_load_dwordx4 v[38:41], v[2:3]
	v_mul_u32_u24_e32 v2, 0x110, v0
	v_mov_b32_e32 v3, 0
	s_waitcnt vmcnt(0) lgkmcnt(0)
	ds_write_b128 v9, v[38:41] offset:4352
	s_waitcnt lgkmcnt(0)
	s_barrier
	ds_read_b128 v[38:41], v2
	ds_read_b128 v[42:45], v29 offset:8704
	ds_read_b128 v[46:49], v29 offset:9216
	s_waitcnt lgkmcnt(1)
	;;#ASMSTART
	v_dot2_f32_f16 v3, v38, v42, v3
	;;#ASMEND
	;;#ASMSTART
	v_dot2_f32_f16 v3, v39, v43, v3
	;;#ASMEND
	;;#ASMSTART
	v_dot2_f32_f16 v3, v40, v44, v3
	;;#ASMEND
	;;#ASMSTART
	v_dot2_f32_f16 v3, v41, v45, v3
	;;#ASMEND
	s_waitcnt lgkmcnt(0)
	;;#ASMSTART
	v_dot2_f32_f16 v5, v38, v46, v5
	;;#ASMEND
	;;#ASMSTART
	v_dot2_f32_f16 v5, v39, v47, v5
	;;#ASMEND
	;;#ASMSTART
	v_dot2_f32_f16 v5, v40, v48, v5
	;;#ASMEND
	;;#ASMSTART
	v_dot2_f32_f16 v5, v41, v49, v5
	;;#ASMEND
	ds_read_b128 v[38:41], v2 offset:16
	ds_read_b128 v[42:45], v29 offset:8720
	ds_read_b128 v[46:49], v29 offset:9232
	s_waitcnt lgkmcnt(1)
	;;#ASMSTART
	v_dot2_f32_f16 v3, v38, v42, v3
	;;#ASMEND
	;;#ASMSTART
	v_dot2_f32_f16 v3, v39, v43, v3
	;;#ASMEND
	;;#ASMSTART
	v_dot2_f32_f16 v3, v40, v44, v3
	;;#ASMEND
	;;#ASMSTART
	v_dot2_f32_f16 v3, v41, v45, v3
	;;#ASMEND
	s_waitcnt lgkmcnt(0)
	;;#ASMSTART
	v_dot2_f32_f16 v5, v38, v46, v5
	;;#ASMEND
	;;#ASMSTART
	v_dot2_f32_f16 v5, v39, v47, v5
	;;#ASMEND
	;;#ASMSTART
	v_dot2_f32_f16 v5, v40, v48, v5
	;;#ASMEND
	;;#ASMSTART
	v_dot2_f32_f16 v5, v41, v49, v5
	;;#ASMEND
	ds_read_b128 v[38:41], v2 offset:32
	;; [unrolled: 29-line block ×15, first 2 shown]
	ds_read_b128 v[42:45], v29 offset:8944
	ds_read_b128 v[46:49], v29 offset:9456
	s_waitcnt lgkmcnt(1)
	;;#ASMSTART
	v_dot2_f32_f16 v3, v38, v42, v3
	;;#ASMEND
	;;#ASMSTART
	v_dot2_f32_f16 v3, v39, v43, v3
	;;#ASMEND
	;; [unrolled: 3-line block ×4, first 2 shown]
	s_waitcnt lgkmcnt(0)
	;;#ASMSTART
	v_dot2_f32_f16 v5, v38, v46, v5
	;;#ASMEND
	;;#ASMSTART
	v_dot2_f32_f16 v5, v39, v47, v5
	;;#ASMEND
	;;#ASMSTART
	v_dot2_f32_f16 v5, v40, v48, v5
	;;#ASMEND
	;;#ASMSTART
	v_dot2_f32_f16 v5, v41, v49, v5
	;;#ASMEND
	s_barrier
	buffer_store_dword v4, off, s[0:3], 0
	buffer_store_dword v4, off, s[0:3], 0 offset:4
	buffer_store_dword v4, off, s[0:3], 0 offset:8
	;; [unrolled: 1-line block ×3, first 2 shown]
	flat_load_dwordx4 v[38:41], v[14:15]
	v_add_co_u32_e32 v14, vcc, s12, v12
	v_addc_co_u32_e32 v12, vcc, 0, v13, vcc
	v_cndmask_b32_e64 v12, v10, v12, s[6:7]
	v_cndmask_b32_e64 v11, v11, v14, s[6:7]
	buffer_store_dword v4, off, s[0:3], 0
	buffer_store_dword v4, off, s[0:3], 0 offset:4
	buffer_store_dword v4, off, s[0:3], 0 offset:8
	;; [unrolled: 1-line block ×3, first 2 shown]
	s_mov_b32 s6, 0x3f200000
                                        ; implicit-def: $vgpr4
	s_waitcnt vmcnt(0) lgkmcnt(0)
	ds_write_b128 v9, v[38:41]
	flat_load_dwordx4 v[10:13], v[11:12]
	s_waitcnt vmcnt(0) lgkmcnt(0)
	ds_write_b128 v9, v[10:13] offset:4352
	s_waitcnt lgkmcnt(0)
	s_barrier
	ds_read_b128 v[9:12], v2
	ds_read_b128 v[13:16], v29 offset:8960
	ds_read_b128 v[38:41], v29 offset:9472
	s_waitcnt lgkmcnt(1)
	;;#ASMSTART
	v_dot2_f32_f16 v3, v9, v13, v3
	;;#ASMEND
	;;#ASMSTART
	v_dot2_f32_f16 v3, v10, v14, v3
	;;#ASMEND
	;;#ASMSTART
	v_dot2_f32_f16 v3, v11, v15, v3
	;;#ASMEND
	;;#ASMSTART
	v_dot2_f32_f16 v3, v12, v16, v3
	;;#ASMEND
	s_waitcnt lgkmcnt(0)
	;;#ASMSTART
	v_dot2_f32_f16 v5, v9, v38, v5
	;;#ASMEND
	;;#ASMSTART
	v_dot2_f32_f16 v5, v10, v39, v5
	;;#ASMEND
	;;#ASMSTART
	v_dot2_f32_f16 v5, v11, v40, v5
	;;#ASMEND
	;;#ASMSTART
	v_dot2_f32_f16 v5, v12, v41, v5
	;;#ASMEND
	ds_read_b128 v[9:12], v2 offset:16
	ds_read_b128 v[13:16], v29 offset:8976
	ds_read_b128 v[38:41], v29 offset:9488
	s_waitcnt lgkmcnt(1)
	;;#ASMSTART
	v_dot2_f32_f16 v3, v9, v13, v3
	;;#ASMEND
	;;#ASMSTART
	v_dot2_f32_f16 v3, v10, v14, v3
	;;#ASMEND
	;;#ASMSTART
	v_dot2_f32_f16 v3, v11, v15, v3
	;;#ASMEND
	;;#ASMSTART
	v_dot2_f32_f16 v3, v12, v16, v3
	;;#ASMEND
	s_waitcnt lgkmcnt(0)
	;;#ASMSTART
	v_dot2_f32_f16 v5, v9, v38, v5
	;;#ASMEND
	;;#ASMSTART
	v_dot2_f32_f16 v5, v10, v39, v5
	;;#ASMEND
	;;#ASMSTART
	v_dot2_f32_f16 v5, v11, v40, v5
	;;#ASMEND
	;;#ASMSTART
	v_dot2_f32_f16 v5, v12, v41, v5
	;;#ASMEND
	ds_read_b128 v[9:12], v2 offset:32
	;; [unrolled: 29-line block ×15, first 2 shown]
	ds_read_b128 v[13:16], v29 offset:9200
	ds_read_b128 v[38:41], v29 offset:9712
	s_waitcnt lgkmcnt(1)
	;;#ASMSTART
	v_dot2_f32_f16 v3, v9, v13, v3
	;;#ASMEND
	;;#ASMSTART
	v_dot2_f32_f16 v3, v10, v14, v3
	;;#ASMEND
	;; [unrolled: 3-line block ×4, first 2 shown]
	s_waitcnt lgkmcnt(0)
	;;#ASMSTART
	v_dot2_f32_f16 v5, v9, v38, v5
	;;#ASMEND
	;;#ASMSTART
	v_dot2_f32_f16 v5, v10, v39, v5
	;;#ASMEND
	;; [unrolled: 3-line block ×3, first 2 shown]
	v_cmp_nlt_f32_e64 s[6:7], |v3|, s6
	;;#ASMSTART
	v_dot2_f32_f16 v5, v12, v41, v5
	;;#ASMEND
	s_and_saveexec_b64 s[10:11], s[6:7]
	s_xor_b64 s[6:7], exec, s[10:11]
	s_cbranch_execz .LBB71_30
; %bb.29:
	v_add_f32_e64 v2, |v3|, |v3|
	v_mul_f32_e32 v4, 0x3fb8aa3b, v2
	s_mov_b32 s10, 0x3fb8aa3b
	v_rndne_f32_e32 v9, v4
	v_sub_f32_e32 v10, v4, v9
	v_fma_f32 v4, v2, s10, -v4
	v_fmac_f32_e32 v4, 0x32a5705f, v2
	v_add_f32_e32 v4, v10, v4
	v_exp_f32_e32 v4, v4
	v_cvt_i32_f32_e32 v9, v9
	s_mov_b32 s10, 0xc2ce8ed0
	v_cmp_ngt_f32_e32 vcc, s10, v2
	s_mov_b32 s10, 0x42b17218
	v_ldexp_f32 v4, v4, v9
	v_cndmask_b32_e32 v4, 0, v4, vcc
	v_mov_b32_e32 v9, 0x7f800000
	v_cmp_nlt_f32_e32 vcc, s10, v2
	v_cndmask_b32_e32 v2, v9, v4, vcc
	v_add_f32_e32 v2, 1.0, v2
	v_rcp_f32_e32 v2, v2
	v_fma_f32 v4, v2, -2.0, 1.0
.LBB71_30:
	s_andn2_saveexec_b64 s[6:7], s[6:7]
	s_cbranch_execz .LBB71_32
; %bb.31:
	v_mul_f32_e32 v2, v3, v3
	v_mov_b32_e32 v4, 0x3ca908c9
	v_fmac_f32_e32 v4, 0xbbbac73d, v2
	v_mov_b32_e32 v9, 0xbd5c1c4e
	v_fmac_f32_e32 v9, v2, v4
	;; [unrolled: 2-line block ×4, first 2 shown]
	v_mul_f32_e64 v4, |v3|, v9
	v_fma_f32 v4, v2, v4, |v3|
.LBB71_32:
	s_or_b64 exec, exec, s[6:7]
	s_cmp_lg_u64 s[40:41], 0
	s_brev_b32 s10, -2
	v_bfi_b32 v3, s10, v4, v3
	s_cselect_b64 s[10:11], -1, 0
	v_mul_f32_e32 v9, s19, v3
	v_cndmask_b32_e64 v3, 0, 1, s[10:11]
	v_cmp_ne_u32_e64 s[10:11], 1, v3
	v_mov_b32_e32 v3, v7
	v_cmp_gt_i32_e64 s[6:7], s14, v0
	v_add_u32_e32 v2, s22, v0
	v_mov_b32_e32 v4, v8
	v_mov_b32_e32 v11, v7
	s_and_saveexec_b64 s[12:13], s[6:7]
	s_cbranch_execz .LBB71_37
; %bb.33:
	s_and_b64 vcc, exec, s[10:11]
	s_cbranch_vccnz .LBB71_35
; %bb.34:
	v_mad_u64_u32 v[3:4], s[36:37], v18, s23, v[2:3]
	v_mov_b32_e32 v10, s41
	v_ashrrev_i32_e32 v4, 31, v3
	v_lshlrev_b64 v[3:4], 1, v[3:4]
	v_add_co_u32_e32 v3, vcc, s40, v3
	v_addc_co_u32_e32 v4, vcc, v10, v4, vcc
	global_load_ushort v3, v[3:4], off
	s_waitcnt vmcnt(0)
	v_cvt_f32_f16_e32 v3, v3
	v_mul_f32_e32 v3, v17, v3
	s_branch .LBB71_36
.LBB71_35:
	v_mov_b32_e32 v3, 0
.LBB71_36:
	v_add_f32_e32 v9, v9, v3
	v_add_f32_e32 v3, 0x40051340, v9
	v_max_f32_e32 v4, v7, v7
	v_max_f32_e32 v11, v4, v3
	v_mov_b32_e32 v3, v7
	v_mov_b32_e32 v4, v8
.LBB71_37:
	s_or_b64 exec, exec, s[12:13]
	v_mbcnt_hi_u32_b32 v40, -1, v19
	v_and_b32_e32 v3, 0x60, v40
	v_add_u32_e32 v41, 32, v3
	v_xor_b32_e32 v43, 16, v40
	v_cmp_lt_i32_e32 vcc, v43, v41
	v_cndmask_b32_e32 v3, v40, v43, vcc
	v_lshlrev_b32_e32 v3, 2, v3
	ds_bpermute_b32 v12, v3, v11
	v_xor_b32_e32 v42, 8, v40
	v_cmp_lt_i32_e32 vcc, v42, v41
	v_cndmask_b32_e32 v10, v40, v42, vcc
	v_max_f32_e32 v11, v11, v11
	s_waitcnt lgkmcnt(0)
	v_max_f32_e32 v12, v12, v12
	v_lshlrev_b32_e32 v10, 2, v10
	v_max_f32_e32 v12, v11, v12
	ds_bpermute_b32 v13, v10, v12
	v_xor_b32_e32 v44, 4, v40
	v_cmp_lt_i32_e32 vcc, v44, v41
	v_cndmask_b32_e32 v11, v40, v44, vcc
	v_lshlrev_b32_e32 v11, 2, v11
	s_waitcnt lgkmcnt(0)
	v_max_f32_e32 v13, v13, v13
	v_max_f32_e32 v13, v12, v13
	ds_bpermute_b32 v14, v11, v13
	v_xor_b32_e32 v45, 2, v40
	v_cmp_lt_i32_e32 vcc, v45, v41
	v_cndmask_b32_e32 v12, v40, v45, vcc
	v_lshlrev_b32_e32 v12, 2, v12
	s_waitcnt lgkmcnt(0)
	v_max_f32_e32 v14, v14, v14
	;; [unrolled: 8-line block ×3, first 2 shown]
	v_max_f32_e32 v14, v14, v15
	ds_bpermute_b32 v15, v13, v14
	s_mov_b32 s12, 0x3f200000
	v_cmp_nlt_f32_e64 s[12:13], |v5|, s12
                                        ; implicit-def: $vgpr16
	s_and_saveexec_b64 s[36:37], s[12:13]
	s_xor_b64 s[12:13], exec, s[36:37]
	s_cbranch_execz .LBB71_39
; %bb.38:
	v_add_f32_e64 v16, |v5|, |v5|
	v_mul_f32_e32 v18, 0x3fb8aa3b, v16
	s_mov_b32 s15, 0x3fb8aa3b
	v_rndne_f32_e32 v19, v18
	v_sub_f32_e32 v29, v18, v19
	v_fma_f32 v18, v16, s15, -v18
	v_fmac_f32_e32 v18, 0x32a5705f, v16
	v_add_f32_e32 v18, v29, v18
	v_exp_f32_e32 v18, v18
	v_cvt_i32_f32_e32 v19, v19
	s_mov_b32 s15, 0xc2ce8ed0
	v_cmp_ngt_f32_e32 vcc, s15, v16
	s_mov_b32 s15, 0x42b17218
	v_ldexp_f32 v18, v18, v19
	v_cndmask_b32_e32 v18, 0, v18, vcc
	v_mov_b32_e32 v19, 0x7f800000
	v_cmp_nlt_f32_e32 vcc, s15, v16
	v_cndmask_b32_e32 v16, v19, v18, vcc
	v_add_f32_e32 v16, 1.0, v16
	v_rcp_f32_e32 v16, v16
	v_fma_f32 v16, v16, -2.0, 1.0
.LBB71_39:
	s_andn2_saveexec_b64 s[12:13], s[12:13]
	s_cbranch_execz .LBB71_41
; %bb.40:
	v_mul_f32_e32 v16, v5, v5
	v_mov_b32_e32 v18, 0x3ca908c9
	v_fmac_f32_e32 v18, 0xbbbac73d, v16
	v_mov_b32_e32 v19, 0xbd5c1c4e
	v_fmac_f32_e32 v19, v16, v18
	;; [unrolled: 2-line block ×4, first 2 shown]
	v_mul_f32_e64 v18, |v5|, v19
	v_fma_f32 v16, v16, v18, |v5|
.LBB71_41:
	s_or_b64 exec, exec, s[12:13]
	s_brev_b32 s12, -2
	s_waitcnt lgkmcnt(0)
	v_max_f32_e32 v15, v15, v15
	v_max_f32_e32 v14, v14, v14
	v_bfi_b32 v5, s12, v16, v5
	v_max_f32_e32 v14, v14, v15
	v_mul_f32_e32 v5, s19, v5
	s_and_saveexec_b64 s[12:13], s[6:7]
	s_cbranch_execz .LBB71_46
; %bb.42:
	s_and_b64 vcc, exec, s[10:11]
	s_cbranch_vccnz .LBB71_44
; %bb.43:
	v_or_b32_e32 v15, 1, v24
	v_mul_hi_u32 v16, s28, v15
	v_add_u32_e32 v16, v15, v16
	v_lshrrev_b32_e32 v16, s29, v16
	v_mul_lo_u32 v16, v16, s30
	v_sub_u32_e32 v15, v15, v16
	v_mad_u64_u32 v[15:16], s[6:7], v15, s23, v[2:3]
	v_mov_b32_e32 v2, s41
	v_ashrrev_i32_e32 v16, 31, v15
	v_lshlrev_b64 v[15:16], 1, v[15:16]
	v_add_co_u32_e32 v15, vcc, s40, v15
	v_addc_co_u32_e32 v16, vcc, v2, v16, vcc
	global_load_ushort v2, v[15:16], off
	s_waitcnt vmcnt(0)
	v_cvt_f32_f16_e32 v2, v2
	v_mul_f32_e32 v2, v17, v2
	s_branch .LBB71_45
.LBB71_44:
	v_mov_b32_e32 v2, 0
.LBB71_45:
	v_add_f32_e32 v5, v5, v2
	v_add_f32_e32 v2, 0x40051340, v5
	v_max_f32_e32 v4, v4, v4
	v_max_f32_e32 v4, v4, v2
.LBB71_46:
	s_or_b64 exec, exec, s[12:13]
	ds_bpermute_b32 v2, v3, v4
	v_max_f32_e32 v3, v4, v4
	s_mov_b32 s10, 0x3fb8aa3b
	s_mov_b32 s11, 0xc2ce8ed0
	;; [unrolled: 1-line block ×3, first 2 shown]
	s_waitcnt lgkmcnt(0)
	v_max_f32_e32 v2, v2, v2
	v_max_f32_e32 v2, v3, v2
	ds_bpermute_b32 v3, v10, v2
	v_cmp_gt_u32_e32 vcc, s14, v0
	v_lshlrev_b32_e32 v38, 7, v1
	s_waitcnt lgkmcnt(0)
	s_barrier
	v_max_f32_e32 v3, v3, v3
	v_max_f32_e32 v2, v2, v3
	ds_bpermute_b32 v3, v11, v2
	s_waitcnt lgkmcnt(0)
	s_mov_b32 s12, 0x10001
	v_max_f32_e32 v3, v3, v3
	v_max_f32_e32 v2, v2, v3
	ds_bpermute_b32 v3, v12, v2
	s_waitcnt lgkmcnt(0)
	v_max_f32_e32 v3, v3, v3
	v_max_f32_e32 v2, v2, v3
	ds_bpermute_b32 v3, v13, v2
	s_waitcnt lgkmcnt(0)
	v_max_f32_e32 v3, v3, v3
	v_max_f32_e32 v15, v2, v3
	v_sub_f32_e32 v2, v7, v14
	v_mul_f32_e32 v3, 0x3fb8aa3b, v2
	v_fma_f32 v4, v2, s10, -v3
	v_rndne_f32_e32 v7, v3
	v_fmac_f32_e32 v4, 0x32a5705f, v2
	v_sub_f32_e32 v3, v3, v7
	v_add_f32_e32 v3, v3, v4
	v_exp_f32_e32 v3, v3
	v_cvt_i32_f32_e32 v4, v7
	v_cmp_ngt_f32_e64 s[6:7], s11, v2
	v_sub_f32_e32 v5, v5, v15
	v_ldexp_f32 v3, v3, v4
	v_sub_f32_e32 v4, v9, v14
	v_mul_f32_e32 v7, 0x3fb8aa3b, v4
	v_fma_f32 v9, v4, s10, -v7
	v_rndne_f32_e32 v10, v7
	v_fmac_f32_e32 v9, 0x32a5705f, v4
	v_sub_f32_e32 v7, v7, v10
	v_add_f32_e32 v7, v7, v9
	v_exp_f32_e32 v7, v7
	v_cvt_i32_f32_e32 v9, v10
	v_cndmask_b32_e64 v3, 0, v3, s[6:7]
	v_cmp_nlt_f32_e64 s[6:7], s13, v2
	v_mov_b32_e32 v2, 0x7f800000
	v_cndmask_b32_e64 v3, v2, v3, s[6:7]
	v_ldexp_f32 v7, v7, v9
	v_cmp_ngt_f32_e64 s[6:7], s11, v4
	v_cndmask_b32_e64 v7, 0, v7, s[6:7]
	v_cmp_nlt_f32_e64 s[6:7], s13, v4
	v_cndmask_b32_e64 v4, v2, v7, s[6:7]
	v_cndmask_b32_e32 v29, 0, v4, vcc
	v_cvt_f16_f32_e32 v4, v29
	v_fmac_f32_e32 v29, v37, v3
	v_cvt_f16_f32_e32 v3, v3
	v_mul_u32_u24_e32 v49, 0x10001, v3
	v_sub_f32_e32 v3, v8, v15
	v_mul_f32_e32 v7, 0x3fb8aa3b, v3
	v_fma_f32 v8, v3, s10, -v7
	v_rndne_f32_e32 v9, v7
	v_fmac_f32_e32 v8, 0x32a5705f, v3
	v_sub_f32_e32 v7, v7, v9
	v_add_f32_e32 v7, v7, v8
	v_exp_f32_e32 v7, v7
	v_cvt_i32_f32_e32 v8, v9
	v_cmp_ngt_f32_e64 s[6:7], s11, v3
	v_pk_mul_f16 v48, v35, v49
	v_pk_mul_f16 v47, v33, v49
	v_ldexp_f32 v7, v7, v8
	v_cndmask_b32_e64 v7, 0, v7, s[6:7]
	v_cmp_nlt_f32_e64 s[6:7], s13, v3
	v_cndmask_b32_e64 v3, v2, v7, s[6:7]
	v_mul_f32_e32 v7, 0x3fb8aa3b, v5
	v_fma_f32 v8, v5, s10, -v7
	v_rndne_f32_e32 v9, v7
	v_fmac_f32_e32 v8, 0x32a5705f, v5
	v_sub_f32_e32 v7, v7, v9
	v_add_f32_e32 v7, v7, v8
	v_exp_f32_e32 v7, v7
	v_cvt_i32_f32_e32 v8, v9
	v_cmp_ngt_f32_e64 s[6:7], s11, v5
	s_mov_b64 s[10:11], src_private_base
	v_pk_mul_f16 v39, v34, v49
	v_ldexp_f32 v7, v7, v8
	v_cndmask_b32_e64 v7, 0, v7, s[6:7]
	v_cmp_nlt_f32_e64 s[6:7], s13, v5
	v_cndmask_b32_e64 v2, v2, v7, s[6:7]
	v_cndmask_b32_e32 v37, 0, v2, vcc
	v_cvt_f16_f32_e32 v2, v37
	v_fmac_f32_e32 v37, v36, v3
	v_cvt_f16_f32_e32 v3, v3
	s_movk_i32 s6, 0x4200
	s_mul_hi_i32 s7, s22, s8
	v_ashrrev_i32_e32 v7, 31, v6
	v_mul_u32_u24_e32 v36, 0x10001, v3
	v_add3_u32 v3, v38, s6, v21
	s_mul_i32 s6, s22, s8
	s_lshl_b64 s[6:7], s[6:7], 2
	s_add_u32 s10, s16, s6
	v_lshlrev_b64 v[18:19], 2, v[6:7]
	v_pack_b32_f16 v2, v4, v2
	s_addc_u32 s13, s17, s7
	ds_write_b32 v3, v2
	v_add_co_u32_e64 v2, s[6:7], s10, v18
	v_mov_b32_e32 v3, s13
	v_addc_co_u32_e64 v3, s[6:7], v3, v19, s[6:7]
	v_add_co_u32_e64 v2, s[6:7], v2, v26
	v_mov_b32_e32 v35, 0
	v_cmp_gt_i32_e32 vcc, s14, v1
	v_addc_co_u32_e64 v3, s[6:7], 0, v3, s[6:7]
	v_mov_b32_e32 v33, s11
	v_mov_b32_e32 v34, 0
	buffer_store_dword v35, off, s[0:3], 0
	buffer_store_dword v35, off, s[0:3], 0 offset:4
	buffer_store_dword v35, off, s[0:3], 0 offset:8
	;; [unrolled: 1-line block ×3, first 2 shown]
	v_cndmask_b32_e32 v3, v33, v3, vcc
	v_cndmask_b32_e32 v2, v34, v2, vcc
	flat_load_dwordx4 v[2:5], v[2:3]
	v_lshl_add_u32 v8, s8, 3, v6
	v_ashrrev_i32_e32 v9, 31, v8
	v_lshlrev_b64 v[16:17], 2, v[8:9]
	v_pk_mul_f16 v60, v30, v36
	v_lshl_add_u32 v30, v1, 9, v26
	v_pk_mul_f16 v58, v32, v36
	v_add_u32_e32 v32, 8, v1
	v_cmp_gt_i32_e32 vcc, s14, v32
	v_pk_mul_f16 v59, v31, v36
	v_lshl_add_u32 v31, v32, 9, v26
	s_waitcnt vmcnt(0) lgkmcnt(0)
	ds_write_b128 v30, v[2:5]
	v_add_co_u32_e64 v2, s[6:7], s10, v16
	v_mov_b32_e32 v3, s13
	v_addc_co_u32_e64 v3, s[6:7], v3, v17, s[6:7]
	v_add_co_u32_e64 v2, s[6:7], v2, v26
	v_addc_co_u32_e64 v3, s[6:7], 0, v3, s[6:7]
	buffer_store_dword v35, off, s[0:3], 0
	buffer_store_dword v35, off, s[0:3], 0 offset:4
	buffer_store_dword v35, off, s[0:3], 0 offset:8
	;; [unrolled: 1-line block ×3, first 2 shown]
	v_cndmask_b32_e32 v3, v33, v3, vcc
	v_cndmask_b32_e32 v2, v34, v2, vcc
	flat_load_dwordx4 v[2:5], v[2:3]
	s_or_b32 s6, s22, 16
	s_mul_hi_i32 s7, s6, s8
	s_mul_i32 s6, s6, s8
	s_lshl_b64 s[6:7], s[6:7], 2
	s_add_u32 s8, s16, s6
	s_addc_u32 s10, s17, s7
	s_add_i32 s14, s14, -16
	v_cmp_gt_i32_e32 vcc, s14, v1
	v_add_co_u32_e64 v1, s[6:7], s8, v18
	s_waitcnt vmcnt(0) lgkmcnt(0)
	ds_write_b128 v31, v[2:5]
	s_waitcnt lgkmcnt(0)
	s_barrier
	ds_read2_b64 v[50:53], v25 offset1:32
	ds_read_b128 v[54:57], v38 offset:16896
	ds_read_b128 v[10:13], v38 offset:16912
	;; [unrolled: 1-line block ×4, first 2 shown]
	s_waitcnt lgkmcnt(3)
	v_mul_u32_u24_sdwa v61, v54, s12 dst_sel:DWORD dst_unused:UNUSED_PAD src0_sel:WORD_0 src1_sel:DWORD
	v_mul_u32_u24_sdwa v54, v54, s12 dst_sel:DWORD dst_unused:UNUSED_PAD src0_sel:WORD_1 src1_sel:DWORD
	v_pk_mul_f16 v62, v50, v61
	v_pk_fma_f16 v28, v28, v49, v62
	v_pk_mul_f16 v49, v50, v54
	v_pk_fma_f16 v27, v27, v36, v49
	v_pk_fma_f16 v36, v51, v61, v48
	;; [unrolled: 1-line block ×4, first 2 shown]
	ds_read2_b64 v[47:50], v25 offset0:64 offset1:96
	v_pk_fma_f16 v52, v52, v54, v59
	v_pk_fma_f16 v39, v53, v61, v39
	;; [unrolled: 1-line block ×3, first 2 shown]
	v_mul_u32_u24_sdwa v54, v55, s12 dst_sel:DWORD dst_unused:UNUSED_PAD src0_sel:WORD_0 src1_sel:DWORD
	v_mul_u32_u24_sdwa v55, v55, s12 dst_sel:DWORD dst_unused:UNUSED_PAD src0_sel:WORD_1 src1_sel:DWORD
	s_waitcnt lgkmcnt(0)
	v_pk_fma_f16 v28, v47, v54, v28
	v_pk_fma_f16 v27, v47, v55, v27
	;; [unrolled: 1-line block ×8, first 2 shown]
	ds_read2_b64 v[47:50], v25 offset0:128 offset1:160
	v_mul_u32_u24_sdwa v54, v56, s12 dst_sel:DWORD dst_unused:UNUSED_PAD src0_sel:WORD_0 src1_sel:DWORD
	v_mul_u32_u24_sdwa v55, v56, s12 dst_sel:DWORD dst_unused:UNUSED_PAD src0_sel:WORD_1 src1_sel:DWORD
	s_waitcnt lgkmcnt(0)
	v_pk_fma_f16 v28, v47, v54, v28
	v_pk_fma_f16 v27, v47, v55, v27
	;; [unrolled: 1-line block ×8, first 2 shown]
	ds_read2_b64 v[47:50], v25 offset0:192 offset1:224
	v_mul_u32_u24_sdwa v55, v57, s12 dst_sel:DWORD dst_unused:UNUSED_PAD src0_sel:WORD_1 src1_sel:DWORD
	v_mul_u32_u24_sdwa v54, v57, s12 dst_sel:DWORD dst_unused:UNUSED_PAD src0_sel:WORD_0 src1_sel:DWORD
	s_waitcnt lgkmcnt(0)
	v_pk_fma_f16 v57, v47, v55, v27
	v_add_u32_e32 v27, 0x800, v25
	v_pk_fma_f16 v28, v47, v54, v28
	v_pk_fma_f16 v36, v48, v54, v36
	;; [unrolled: 1-line block ×7, first 2 shown]
	ds_read2_b64 v[47:50], v27 offset1:32
	v_mul_u32_u24_sdwa v54, v10, s12 dst_sel:DWORD dst_unused:UNUSED_PAD src0_sel:WORD_0 src1_sel:DWORD
	v_mul_u32_u24_sdwa v10, v10, s12 dst_sel:DWORD dst_unused:UNUSED_PAD src0_sel:WORD_1 src1_sel:DWORD
	s_waitcnt lgkmcnt(0)
	v_pk_fma_f16 v28, v47, v54, v28
	v_pk_fma_f16 v55, v47, v10, v57
	v_pk_fma_f16 v36, v48, v54, v36
	v_pk_fma_f16 v51, v48, v10, v51
	v_pk_fma_f16 v56, v49, v54, v56
	v_pk_fma_f16 v52, v49, v10, v52
	v_pk_fma_f16 v39, v50, v54, v39
	v_pk_fma_f16 v10, v50, v10, v53
	ds_read2_b64 v[47:50], v27 offset0:64 offset1:96
	v_mul_u32_u24_sdwa v53, v11, s12 dst_sel:DWORD dst_unused:UNUSED_PAD src0_sel:WORD_0 src1_sel:DWORD
	v_mul_u32_u24_sdwa v11, v11, s12 dst_sel:DWORD dst_unused:UNUSED_PAD src0_sel:WORD_1 src1_sel:DWORD
	s_waitcnt lgkmcnt(0)
	v_pk_fma_f16 v28, v47, v53, v28
	v_pk_fma_f16 v54, v47, v11, v55
	v_pk_fma_f16 v36, v48, v53, v36
	v_pk_fma_f16 v51, v48, v11, v51
	v_pk_fma_f16 v55, v49, v53, v56
	v_pk_fma_f16 v52, v49, v11, v52
	v_pk_fma_f16 v39, v50, v53, v39
	v_pk_fma_f16 v10, v50, v11, v10
	ds_read2_b64 v[47:50], v27 offset0:128 offset1:160
	;; [unrolled: 12-line block ×3, first 2 shown]
	v_mul_u32_u24_sdwa v12, v13, s12 dst_sel:DWORD dst_unused:UNUSED_PAD src0_sel:WORD_0 src1_sel:DWORD
	v_mul_u32_u24_sdwa v13, v13, s12 dst_sel:DWORD dst_unused:UNUSED_PAD src0_sel:WORD_1 src1_sel:DWORD
	s_waitcnt lgkmcnt(0)
	v_pk_fma_f16 v28, v47, v12, v28
	v_pk_fma_f16 v39, v47, v13, v53
	;; [unrolled: 1-line block ×6, first 2 shown]
	v_add_u32_e32 v10, 0x1000, v25
	v_pk_fma_f16 v51, v48, v13, v51
	v_pk_fma_f16 v52, v49, v13, v52
	ds_read2_b64 v[47:50], v10 offset1:32
	v_mul_u32_u24_sdwa v13, v6, s12 dst_sel:DWORD dst_unused:UNUSED_PAD src0_sel:WORD_0 src1_sel:DWORD
	v_mul_u32_u24_sdwa v6, v6, s12 dst_sel:DWORD dst_unused:UNUSED_PAD src0_sel:WORD_1 src1_sel:DWORD
	s_waitcnt lgkmcnt(0)
	v_pk_fma_f16 v28, v47, v13, v28
	v_pk_fma_f16 v39, v47, v6, v39
	v_pk_fma_f16 v36, v48, v13, v36
	v_pk_fma_f16 v51, v48, v6, v51
	v_pk_fma_f16 v53, v49, v13, v53
	v_pk_fma_f16 v52, v49, v6, v52
	v_pk_fma_f16 v11, v50, v13, v11
	v_pk_fma_f16 v6, v50, v6, v12
	ds_read2_b64 v[47:50], v10 offset0:64 offset1:96
	v_mul_u32_u24_sdwa v12, v7, s12 dst_sel:DWORD dst_unused:UNUSED_PAD src0_sel:WORD_0 src1_sel:DWORD
	v_mul_u32_u24_sdwa v7, v7, s12 dst_sel:DWORD dst_unused:UNUSED_PAD src0_sel:WORD_1 src1_sel:DWORD
	s_waitcnt lgkmcnt(0)
	v_pk_fma_f16 v13, v47, v12, v28
	v_pk_fma_f16 v28, v47, v7, v39
	v_pk_fma_f16 v36, v48, v12, v36
	v_pk_fma_f16 v39, v48, v7, v51
	v_pk_fma_f16 v51, v49, v12, v53
	v_pk_fma_f16 v52, v49, v7, v52
	v_pk_fma_f16 v11, v50, v12, v11
	v_pk_fma_f16 v6, v50, v7, v6
	ds_read2_b64 v[47:50], v10 offset0:128 offset1:160
	;; [unrolled: 12-line block ×3, first 2 shown]
	v_mul_u32_u24_sdwa v8, v9, s12 dst_sel:DWORD dst_unused:UNUSED_PAD src0_sel:WORD_0 src1_sel:DWORD
	v_mul_u32_u24_sdwa v9, v9, s12 dst_sel:DWORD dst_unused:UNUSED_PAD src0_sel:WORD_1 src1_sel:DWORD
	s_waitcnt lgkmcnt(0)
	v_pk_fma_f16 v11, v47, v8, v12
	v_pk_fma_f16 v12, v47, v9, v13
	;; [unrolled: 1-line block ×7, first 2 shown]
	v_add_u32_e32 v6, 0x1800, v25
	v_pk_fma_f16 v39, v49, v9, v51
	ds_read2_b64 v[47:50], v6 offset1:32
	v_mul_u32_u24_sdwa v9, v2, s12 dst_sel:DWORD dst_unused:UNUSED_PAD src0_sel:WORD_0 src1_sel:DWORD
	v_mul_u32_u24_sdwa v2, v2, s12 dst_sel:DWORD dst_unused:UNUSED_PAD src0_sel:WORD_1 src1_sel:DWORD
	s_waitcnt lgkmcnt(0)
	v_pk_fma_f16 v11, v47, v9, v11
	v_pk_fma_f16 v12, v47, v2, v12
	v_pk_fma_f16 v13, v48, v9, v13
	v_pk_fma_f16 v28, v48, v2, v28
	v_pk_fma_f16 v36, v49, v9, v36
	v_pk_fma_f16 v39, v49, v2, v39
	v_pk_fma_f16 v7, v50, v9, v7
	v_pk_fma_f16 v2, v50, v2, v8
	ds_read2_b64 v[47:50], v6 offset0:64 offset1:96
	v_mul_u32_u24_sdwa v8, v3, s12 dst_sel:DWORD dst_unused:UNUSED_PAD src0_sel:WORD_0 src1_sel:DWORD
	v_mul_u32_u24_sdwa v3, v3, s12 dst_sel:DWORD dst_unused:UNUSED_PAD src0_sel:WORD_1 src1_sel:DWORD
	s_waitcnt lgkmcnt(0)
	v_pk_fma_f16 v9, v47, v8, v11
	v_pk_fma_f16 v11, v47, v3, v12
	v_pk_fma_f16 v12, v48, v8, v13
	v_pk_fma_f16 v13, v48, v3, v28
	v_pk_fma_f16 v28, v49, v8, v36
	v_pk_fma_f16 v36, v49, v3, v39
	v_pk_fma_f16 v7, v50, v8, v7
	v_pk_fma_f16 v2, v50, v3, v2
	ds_read2_b64 v[47:50], v6 offset0:128 offset1:160
	;; [unrolled: 12-line block ×3, first 2 shown]
	v_mul_u32_u24_sdwa v4, v5, s12 dst_sel:DWORD dst_unused:UNUSED_PAD src0_sel:WORD_0 src1_sel:DWORD
	v_mul_u32_u24_sdwa v5, v5, s12 dst_sel:DWORD dst_unused:UNUSED_PAD src0_sel:WORD_1 src1_sel:DWORD
	s_waitcnt lgkmcnt(0)
	s_barrier
	v_pk_fma_f16 v7, v47, v4, v8
	v_pk_fma_f16 v8, v47, v5, v9
	;; [unrolled: 1-line block ×7, first 2 shown]
	v_mov_b32_e32 v2, s10
	v_addc_co_u32_e64 v2, s[6:7], v2, v19, s[6:7]
	v_add_co_u32_e64 v1, s[6:7], v1, v26
	v_addc_co_u32_e64 v2, s[6:7], 0, v2, s[6:7]
	buffer_store_dword v35, off, s[0:3], 0
	buffer_store_dword v35, off, s[0:3], 0 offset:4
	buffer_store_dword v35, off, s[0:3], 0 offset:8
	;; [unrolled: 1-line block ×3, first 2 shown]
	v_cndmask_b32_e32 v2, v33, v2, vcc
	v_cndmask_b32_e32 v1, v34, v1, vcc
	v_pk_fma_f16 v28, v50, v4, v3
	flat_load_dwordx4 v[1:4], v[1:2]
	v_cmp_gt_i32_e32 vcc, s14, v32
	v_mov_b32_e32 v36, v37
	v_mov_b32_e32 v37, v29
	s_waitcnt vmcnt(0) lgkmcnt(0)
	ds_write_b128 v30, v[1:4]
	v_add_co_u32_e64 v1, s[6:7], s8, v16
	v_mov_b32_e32 v2, s10
	v_addc_co_u32_e64 v2, s[6:7], v2, v17, s[6:7]
	v_add_co_u32_e64 v1, s[6:7], v1, v26
	v_addc_co_u32_e64 v2, s[6:7], 0, v2, s[6:7]
	buffer_store_dword v35, off, s[0:3], 0
	buffer_store_dword v35, off, s[0:3], 0 offset:4
	buffer_store_dword v35, off, s[0:3], 0 offset:8
	;; [unrolled: 1-line block ×3, first 2 shown]
	v_cndmask_b32_e32 v2, v33, v2, vcc
	v_cndmask_b32_e32 v1, v34, v1, vcc
	flat_load_dwordx4 v[1:4], v[1:2]
	s_waitcnt vmcnt(0) lgkmcnt(0)
	ds_write_b128 v31, v[1:4]
	s_waitcnt lgkmcnt(0)
	s_barrier
	ds_read2_b64 v[16:19], v25 offset1:32
	ds_read_b128 v[30:33], v38 offset:16960
	ds_read_b128 v[47:50], v38 offset:16976
	;; [unrolled: 1-line block ×4, first 2 shown]
	s_waitcnt lgkmcnt(3)
	v_mul_u32_u24_sdwa v26, v30, s12 dst_sel:DWORD dst_unused:UNUSED_PAD src0_sel:WORD_0 src1_sel:DWORD
	v_mul_u32_u24_sdwa v30, v30, s12 dst_sel:DWORD dst_unused:UNUSED_PAD src0_sel:WORD_1 src1_sel:DWORD
	v_pk_fma_f16 v7, v16, v26, v7
	v_pk_fma_f16 v8, v16, v30, v8
	v_pk_fma_f16 v9, v17, v26, v9
	v_pk_fma_f16 v11, v17, v30, v11
	v_pk_fma_f16 v12, v18, v26, v12
	v_pk_fma_f16 v13, v18, v30, v13
	v_pk_fma_f16 v26, v19, v26, v28
	v_pk_fma_f16 v5, v19, v30, v5
	ds_read2_b64 v[16:19], v25 offset0:64 offset1:96
	v_mul_u32_u24_sdwa v28, v31, s12 dst_sel:DWORD dst_unused:UNUSED_PAD src0_sel:WORD_0 src1_sel:DWORD
	v_mul_u32_u24_sdwa v30, v31, s12 dst_sel:DWORD dst_unused:UNUSED_PAD src0_sel:WORD_1 src1_sel:DWORD
	s_waitcnt lgkmcnt(0)
	v_pk_fma_f16 v7, v16, v28, v7
	v_pk_fma_f16 v8, v16, v30, v8
	v_pk_fma_f16 v9, v17, v28, v9
	v_pk_fma_f16 v11, v17, v30, v11
	v_pk_fma_f16 v12, v18, v28, v12
	v_pk_fma_f16 v13, v18, v30, v13
	v_pk_fma_f16 v26, v19, v28, v26
	v_pk_fma_f16 v5, v19, v30, v5
	ds_read2_b64 v[16:19], v25 offset0:128 offset1:160
	v_mul_u32_u24_sdwa v28, v32, s12 dst_sel:DWORD dst_unused:UNUSED_PAD src0_sel:WORD_0 src1_sel:DWORD
	v_mul_u32_u24_sdwa v30, v32, s12 dst_sel:DWORD dst_unused:UNUSED_PAD src0_sel:WORD_1 src1_sel:DWORD
	s_waitcnt lgkmcnt(0)
	;; [unrolled: 12-line block ×3, first 2 shown]
	v_pk_fma_f16 v7, v16, v25, v7
	v_pk_fma_f16 v8, v16, v28, v8
	;; [unrolled: 1-line block ×8, first 2 shown]
	ds_read2_b64 v[16:19], v27 offset1:32
	v_mul_u32_u24_sdwa v26, v47, s12 dst_sel:DWORD dst_unused:UNUSED_PAD src0_sel:WORD_0 src1_sel:DWORD
	v_mul_u32_u24_sdwa v28, v47, s12 dst_sel:DWORD dst_unused:UNUSED_PAD src0_sel:WORD_1 src1_sel:DWORD
	s_waitcnt lgkmcnt(0)
	v_pk_fma_f16 v7, v16, v26, v7
	v_pk_fma_f16 v8, v16, v28, v8
	v_pk_fma_f16 v9, v17, v26, v9
	v_pk_fma_f16 v11, v17, v28, v11
	v_pk_fma_f16 v12, v18, v26, v12
	v_pk_fma_f16 v13, v18, v28, v13
	v_pk_fma_f16 v25, v19, v26, v25
	v_pk_fma_f16 v5, v19, v28, v5
	ds_read2_b64 v[16:19], v27 offset0:64 offset1:96
	v_mul_u32_u24_sdwa v26, v48, s12 dst_sel:DWORD dst_unused:UNUSED_PAD src0_sel:WORD_0 src1_sel:DWORD
	v_mul_u32_u24_sdwa v28, v48, s12 dst_sel:DWORD dst_unused:UNUSED_PAD src0_sel:WORD_1 src1_sel:DWORD
	s_waitcnt lgkmcnt(0)
	v_pk_fma_f16 v7, v16, v26, v7
	v_pk_fma_f16 v8, v16, v28, v8
	v_pk_fma_f16 v9, v17, v26, v9
	v_pk_fma_f16 v11, v17, v28, v11
	v_pk_fma_f16 v12, v18, v26, v12
	v_pk_fma_f16 v13, v18, v28, v13
	v_pk_fma_f16 v25, v19, v26, v25
	v_pk_fma_f16 v5, v19, v28, v5
	ds_read2_b64 v[16:19], v27 offset0:128 offset1:160
	;; [unrolled: 12-line block ×3, first 2 shown]
	v_mul_u32_u24_sdwa v26, v50, s12 dst_sel:DWORD dst_unused:UNUSED_PAD src0_sel:WORD_0 src1_sel:DWORD
	v_mul_u32_u24_sdwa v27, v50, s12 dst_sel:DWORD dst_unused:UNUSED_PAD src0_sel:WORD_1 src1_sel:DWORD
	s_waitcnt lgkmcnt(0)
	v_pk_fma_f16 v7, v16, v26, v7
	v_pk_fma_f16 v8, v16, v27, v8
	v_pk_fma_f16 v9, v17, v26, v9
	v_pk_fma_f16 v11, v17, v27, v11
	v_pk_fma_f16 v12, v18, v26, v12
	v_pk_fma_f16 v13, v18, v27, v13
	v_pk_fma_f16 v25, v19, v26, v25
	v_pk_fma_f16 v5, v19, v27, v5
	ds_read2_b64 v[16:19], v10 offset1:32
	v_mul_u32_u24_sdwa v26, v51, s12 dst_sel:DWORD dst_unused:UNUSED_PAD src0_sel:WORD_0 src1_sel:DWORD
	v_mul_u32_u24_sdwa v27, v51, s12 dst_sel:DWORD dst_unused:UNUSED_PAD src0_sel:WORD_1 src1_sel:DWORD
	s_waitcnt lgkmcnt(0)
	v_pk_fma_f16 v7, v16, v26, v7
	v_pk_fma_f16 v8, v16, v27, v8
	;; [unrolled: 1-line block ×8, first 2 shown]
	ds_read2_b64 v[16:19], v10 offset0:64 offset1:96
	v_mul_u32_u24_sdwa v26, v52, s12 dst_sel:DWORD dst_unused:UNUSED_PAD src0_sel:WORD_0 src1_sel:DWORD
	v_mul_u32_u24_sdwa v27, v52, s12 dst_sel:DWORD dst_unused:UNUSED_PAD src0_sel:WORD_1 src1_sel:DWORD
	s_waitcnt lgkmcnt(0)
	v_pk_fma_f16 v7, v16, v26, v7
	v_pk_fma_f16 v8, v16, v27, v8
	;; [unrolled: 1-line block ×8, first 2 shown]
	ds_read2_b64 v[16:19], v10 offset0:128 offset1:160
	v_mul_u32_u24_sdwa v26, v53, s12 dst_sel:DWORD dst_unused:UNUSED_PAD src0_sel:WORD_0 src1_sel:DWORD
	v_mul_u32_u24_sdwa v27, v53, s12 dst_sel:DWORD dst_unused:UNUSED_PAD src0_sel:WORD_1 src1_sel:DWORD
	s_waitcnt lgkmcnt(0)
	v_pk_fma_f16 v28, v16, v26, v7
	v_pk_fma_f16 v16, v16, v27, v8
	;; [unrolled: 1-line block ×3, first 2 shown]
	ds_read2_b64 v[7:10], v10 offset0:192 offset1:224
	v_pk_fma_f16 v11, v17, v27, v11
	v_pk_fma_f16 v12, v18, v26, v12
	;; [unrolled: 1-line block ×5, first 2 shown]
	v_mul_u32_u24_sdwa v18, v54, s12 dst_sel:DWORD dst_unused:UNUSED_PAD src0_sel:WORD_0 src1_sel:DWORD
	v_mul_u32_u24_sdwa v19, v54, s12 dst_sel:DWORD dst_unused:UNUSED_PAD src0_sel:WORD_1 src1_sel:DWORD
	s_waitcnt lgkmcnt(0)
	v_pk_fma_f16 v25, v7, v18, v28
	v_pk_fma_f16 v16, v7, v19, v16
	;; [unrolled: 1-line block ×8, first 2 shown]
	ds_read2_b64 v[7:10], v6 offset1:32
	v_mul_u32_u24_sdwa v18, v1, s12 dst_sel:DWORD dst_unused:UNUSED_PAD src0_sel:WORD_0 src1_sel:DWORD
	v_mul_u32_u24_sdwa v1, v1, s12 dst_sel:DWORD dst_unused:UNUSED_PAD src0_sel:WORD_1 src1_sel:DWORD
	s_waitcnt lgkmcnt(0)
	v_pk_fma_f16 v19, v7, v18, v25
	v_pk_fma_f16 v16, v7, v1, v16
	;; [unrolled: 1-line block ×8, first 2 shown]
	ds_read2_b64 v[7:10], v6 offset0:64 offset1:96
	v_mul_u32_u24_sdwa v5, v2, s12 dst_sel:DWORD dst_unused:UNUSED_PAD src0_sel:WORD_0 src1_sel:DWORD
	v_mul_u32_u24_sdwa v2, v2, s12 dst_sel:DWORD dst_unused:UNUSED_PAD src0_sel:WORD_1 src1_sel:DWORD
	s_waitcnt lgkmcnt(0)
	v_pk_fma_f16 v18, v7, v5, v19
	v_pk_fma_f16 v16, v7, v2, v16
	;; [unrolled: 1-line block ×8, first 2 shown]
	ds_read2_b64 v[7:10], v6 offset0:128 offset1:160
	v_mul_u32_u24_sdwa v2, v3, s12 dst_sel:DWORD dst_unused:UNUSED_PAD src0_sel:WORD_0 src1_sel:DWORD
	v_mul_u32_u24_sdwa v3, v3, s12 dst_sel:DWORD dst_unused:UNUSED_PAD src0_sel:WORD_1 src1_sel:DWORD
	s_waitcnt lgkmcnt(0)
	v_pk_fma_f16 v17, v7, v2, v18
	v_pk_fma_f16 v16, v7, v3, v16
	;; [unrolled: 1-line block ×6, first 2 shown]
	ds_read2_b64 v[5:8], v6 offset0:192 offset1:224
	v_pk_fma_f16 v9, v9, v3, v13
	v_pk_fma_f16 v1, v10, v3, v1
	v_mul_u32_u24_sdwa v3, v4, s12 dst_sel:DWORD dst_unused:UNUSED_PAD src0_sel:WORD_0 src1_sel:DWORD
	v_mul_u32_u24_sdwa v4, v4, s12 dst_sel:DWORD dst_unused:UNUSED_PAD src0_sel:WORD_1 src1_sel:DWORD
	s_waitcnt lgkmcnt(0)
	v_pk_fma_f16 v33, v7, v3, v12
	v_pk_fma_f16 v31, v7, v4, v9
	;; [unrolled: 1-line block ×4, first 2 shown]
	v_mov_b32_e32 v7, v14
	v_pk_fma_f16 v28, v5, v3, v17
	v_pk_fma_f16 v27, v5, v4, v16
	;; [unrolled: 1-line block ×4, first 2 shown]
	v_mov_b32_e32 v8, v15
	s_barrier
.LBB71_47:
	v_cmp_lt_i32_e32 vcc, v43, v41
	v_cndmask_b32_e32 v1, v40, v43, vcc
	v_lshlrev_b32_e32 v1, 2, v1
	ds_bpermute_b32 v2, v1, v37
	ds_bpermute_b32 v1, v1, v36
	v_cmp_lt_i32_e32 vcc, v42, v41
	v_cndmask_b32_e32 v3, v40, v42, vcc
	v_lshlrev_b32_e32 v3, 2, v3
	s_waitcnt lgkmcnt(1)
	v_add_f32_e32 v2, v37, v2
	s_waitcnt lgkmcnt(0)
	v_add_f32_e32 v1, v36, v1
	ds_bpermute_b32 v4, v3, v2
	ds_bpermute_b32 v3, v3, v1
	v_cmp_lt_i32_e32 vcc, v44, v41
	v_cndmask_b32_e32 v5, v40, v44, vcc
	v_lshlrev_b32_e32 v5, 2, v5
	s_waitcnt lgkmcnt(1)
	v_add_f32_e32 v2, v2, v4
	s_waitcnt lgkmcnt(0)
	v_add_f32_e32 v1, v1, v3
	;; [unrolled: 9-line block ×4, first 2 shown]
	ds_bpermute_b32 v4, v5, v2
	ds_bpermute_b32 v5, v5, v3
	s_cmp_eq_u64 s[20:21], 0
	s_cselect_b64 s[6:7], -1, 0
	s_cmp_lg_u32 s9, 0
	s_cselect_b64 s[10:11], -1, 0
	s_or_b64 s[6:7], s[10:11], s[6:7]
	s_waitcnt lgkmcnt(1)
	v_add_f32_e32 v1, v2, v4
	s_waitcnt lgkmcnt(0)
	v_add_f32_e32 v2, v3, v5
	s_and_b64 vcc, exec, s[6:7]
	s_cbranch_vccnz .LBB71_50
; %bb.48:
	s_lshl_b64 s[6:7], s[34:35], 2
	s_add_u32 s6, s20, s6
	s_addc_u32 s7, s21, s7
	v_mov_b32_e32 v3, 0
	global_load_dword v3, v3, s[6:7]
	v_max_f32_e32 v4, v7, v7
	v_max_f32_e32 v6, v8, v8
	s_mov_b32 s6, 0x3fb8aa3b
	s_mov_b32 s7, 0xc2ce8ed0
	s_mov_b32 s8, 0x42b17218
	v_mov_b32_e32 v9, 0x7f800000
	s_waitcnt vmcnt(0)
	v_max_f32_e32 v10, v3, v3
	v_max_f32_e32 v5, v4, v10
	;; [unrolled: 1-line block ×3, first 2 shown]
	v_sub_f32_e32 v4, v7, v5
	v_sub_f32_e32 v7, v3, v5
	;; [unrolled: 1-line block ×3, first 2 shown]
	v_mul_f32_e32 v3, 0x3fb8aa3b, v4
	v_sub_f32_e32 v8, v8, v6
	v_mul_f32_e32 v11, 0x3fb8aa3b, v7
	v_fma_f32 v14, v4, s6, -v3
	v_rndne_f32_e32 v15, v3
	v_mul_f32_e32 v12, 0x3fb8aa3b, v8
	v_fma_f32 v16, v7, s6, -v11
	v_rndne_f32_e32 v17, v11
	v_fmac_f32_e32 v14, 0x32a5705f, v4
	v_sub_f32_e32 v3, v3, v15
	v_mul_f32_e32 v13, 0x3fb8aa3b, v10
	v_fma_f32 v18, v8, s6, -v12
	v_rndne_f32_e32 v19, v12
	v_fmac_f32_e32 v16, 0x32a5705f, v7
	v_sub_f32_e32 v11, v11, v17
	v_add_f32_e32 v3, v3, v14
	v_fma_f32 v25, v10, s6, -v13
	v_rndne_f32_e32 v26, v13
	v_cvt_i32_f32_e32 v15, v15
	v_fmac_f32_e32 v18, 0x32a5705f, v8
	v_sub_f32_e32 v12, v12, v19
	v_add_f32_e32 v11, v11, v16
	v_exp_f32_e32 v3, v3
	v_cvt_i32_f32_e32 v17, v17
	v_fmac_f32_e32 v25, 0x32a5705f, v10
	v_sub_f32_e32 v13, v13, v26
	v_add_f32_e32 v12, v12, v18
	v_exp_f32_e32 v11, v11
	v_cvt_i32_f32_e32 v19, v19
	v_add_f32_e32 v13, v13, v25
	v_exp_f32_e32 v12, v12
	v_cvt_i32_f32_e32 v26, v26
	v_exp_f32_e32 v13, v13
	v_ldexp_f32 v3, v3, v15
	v_cmp_ngt_f32_e32 vcc, s7, v4
	v_ldexp_f32 v11, v11, v17
	v_cndmask_b32_e32 v3, 0, v3, vcc
	v_cmp_ngt_f32_e32 vcc, s7, v7
	v_ldexp_f32 v12, v12, v19
	v_cndmask_b32_e32 v11, 0, v11, vcc
	;; [unrolled: 3-line block ×3, first 2 shown]
	v_cmp_ngt_f32_e32 vcc, s7, v10
	v_cndmask_b32_e32 v13, 0, v13, vcc
	v_cmp_nlt_f32_e32 vcc, s8, v4
	v_cndmask_b32_e32 v14, v9, v3, vcc
	v_cmp_nlt_f32_e32 vcc, s8, v7
	;; [unrolled: 2-line block ×4, first 2 shown]
	v_cndmask_b32_e32 v4, v9, v13, vcc
	v_cvt_f16_f32_e32 v8, v14
	v_cvt_f16_f32_e32 v9, v7
	v_fmac_f32_e32 v3, v1, v14
	v_fmac_f32_e32 v4, v2, v7
	v_mul_u32_u24_e32 v7, 0x10001, v8
	v_mul_u32_u24_e32 v8, 0x10001, v9
	v_mov_b32_e32 v1, v3
	v_pk_mul_f16 v28, v28, v7
	v_pk_mul_f16 v35, v35, v7
	;; [unrolled: 1-line block ×8, first 2 shown]
	v_mov_b32_e32 v8, v6
	v_mov_b32_e32 v2, v4
	;; [unrolled: 1-line block ×3, first 2 shown]
	v_cmp_gt_i32_e32 vcc, s30, v24
	s_and_saveexec_b64 s[6:7], vcc
	s_cbranch_execnz .LBB71_51
.LBB71_49:
	s_endpgm
.LBB71_50:
	v_mov_b32_e32 v3, v1
	v_mov_b32_e32 v4, v2
	v_cmp_gt_i32_e32 vcc, s30, v24
	s_and_saveexec_b64 s[6:7], vcc
	s_cbranch_execz .LBB71_49
.LBB71_51:
	s_load_dword s8, s[4:5], 0xd4
	v_mov_b32_e32 v6, 1.0
	s_waitcnt lgkmcnt(0)
	s_cmp_lg_u32 s8, 1
	s_cselect_b64 s[10:11], -1, 0
	s_cmp_eq_u32 s8, 1
	s_cselect_b64 s[6:7], -1, 0
	s_and_b64 vcc, exec, s[10:11]
	s_cbranch_vccnz .LBB71_53
; %bb.52:
	v_div_scale_f32 v5, s[4:5], v3, v3, 1.0
	v_div_scale_f32 v6, vcc, 1.0, v3, 1.0
	v_rcp_f32_e32 v9, v5
	v_fma_f32 v10, -v5, v9, 1.0
	v_fmac_f32_e32 v9, v10, v9
	v_mul_f32_e32 v10, v6, v9
	v_fma_f32 v11, -v5, v10, v6
	v_fmac_f32_e32 v10, v11, v9
	v_fma_f32 v5, -v5, v10, v6
	v_div_fmas_f32 v5, v5, v9, v10
	v_div_fixup_f32 v6, v5, v3, 1.0
.LBB71_53:
	s_mul_i32 s12, s33, s30
	s_add_i32 s12, s12, s18
	v_add_u32_e32 v3, s12, v23
	v_mul_lo_u32 v3, v3, s31
	v_cvt_f32_f16_e32 v9, v35
	v_cvt_f32_f16_e32 v14, v28
	v_cmp_eq_u32_e32 vcc, 0, v0
	v_add_u32_e32 v3, s34, v3
	v_mul_lo_u32 v3, s8, v3
	v_cvt_f32_f16_sdwa v0, v35 dst_sel:DWORD dst_unused:UNUSED_PAD src0_sel:WORD_1
	v_mul_f32_e32 v11, v6, v9
	v_mul_f32_e32 v9, v6, v14
	v_add_u32_e32 v5, s9, v3
	v_lshl_add_u32 v13, v5, 8, v21
	v_mov_b32_e32 v14, 0
	v_cvt_f32_f16_sdwa v10, v28 dst_sel:DWORD dst_unused:UNUSED_PAD src0_sel:WORD_1
	v_lshlrev_b64 v[15:16], 2, v[13:14]
	v_mul_f32_e32 v12, v6, v0
	v_mov_b32_e32 v0, s25
	v_add_co_u32_e64 v15, s[4:5], s24, v15
	v_addc_co_u32_e64 v16, s[4:5], v0, v16, s[4:5]
	v_cvt_f32_f16_sdwa v0, v34 dst_sel:DWORD dst_unused:UNUSED_PAD src0_sel:WORD_1
	v_mul_f32_e32 v10, v6, v10
	v_add_u32_e32 v13, 0x80, v13
	global_store_dwordx4 v[15:16], v[9:12], off
	v_cvt_f32_f16_e32 v3, v34
	v_cvt_f32_f16_sdwa v9, v33 dst_sel:DWORD dst_unused:UNUSED_PAD src0_sel:WORD_1
	v_cvt_f32_f16_e32 v15, v33
	v_lshlrev_b64 v[13:14], 2, v[13:14]
	v_mul_f32_e32 v12, v6, v0
	v_mov_b32_e32 v0, s25
	v_add_co_u32_e64 v13, s[4:5], s24, v13
	v_addc_co_u32_e64 v14, s[4:5], v0, v14, s[4:5]
	v_mul_f32_e32 v11, v6, v3
	v_mul_f32_e32 v10, v6, v9
	;; [unrolled: 1-line block ×3, first 2 shown]
	s_and_b64 s[4:5], vcc, s[10:11]
	global_store_dwordx4 v[13:14], v[9:12], off
	s_and_saveexec_b64 s[10:11], s[4:5]
	s_cbranch_execz .LBB71_55
; %bb.54:
	v_ashrrev_i32_e32 v6, 31, v5
	v_lshlrev_b64 v[5:6], 3, v[5:6]
	v_mov_b32_e32 v0, s27
	v_add_co_u32_e32 v5, vcc, s26, v5
	v_addc_co_u32_e32 v6, vcc, v0, v6, vcc
	v_mov_b32_e32 v0, v7
	global_store_dwordx2 v[5:6], v[0:1], off
.LBB71_55:
	s_or_b64 exec, exec, s[10:11]
	v_cmp_gt_i32_e32 vcc, s30, v22
	s_and_b64 exec, exec, vcc
	s_cbranch_execz .LBB71_49
; %bb.56:
	s_andn2_b64 vcc, exec, s[6:7]
	v_mov_b32_e32 v1, 1.0
	s_cbranch_vccnz .LBB71_58
; %bb.57:
	v_div_scale_f32 v0, s[6:7], v4, v4, 1.0
	v_div_scale_f32 v1, vcc, 1.0, v4, 1.0
	v_rcp_f32_e32 v3, v0
	v_fma_f32 v5, -v0, v3, 1.0
	v_fmac_f32_e32 v3, v5, v3
	v_mul_f32_e32 v5, v1, v3
	v_fma_f32 v6, -v0, v5, v1
	v_fmac_f32_e32 v5, v6, v3
	v_fma_f32 v0, -v0, v5, v1
	v_div_fmas_f32 v0, v0, v3, v5
	v_div_fixup_f32 v1, v0, v4, 1.0
.LBB71_58:
	v_add_u32_e32 v0, s12, v20
	v_mul_lo_u32 v0, v0, s31
	v_cvt_f32_f16_sdwa v3, v32 dst_sel:DWORD dst_unused:UNUSED_PAD src0_sel:WORD_1
	v_cvt_f32_f16_e32 v10, v27
	v_cvt_f32_f16_e32 v4, v32
	v_add_u32_e32 v0, s34, v0
	v_mul_lo_u32 v0, s8, v0
	v_cvt_f32_f16_sdwa v7, v27 dst_sel:DWORD dst_unused:UNUSED_PAD src0_sel:WORD_1
	v_mul_f32_e32 v6, v1, v3
	v_mul_f32_e32 v3, v1, v10
	v_add_u32_e32 v0, s9, v0
	v_lshl_add_u32 v9, v0, 8, v21
	v_mov_b32_e32 v10, 0
	v_lshlrev_b64 v[11:12], 2, v[9:10]
	v_mul_f32_e32 v5, v1, v4
	v_mul_f32_e32 v4, v1, v7
	v_mov_b32_e32 v7, s25
	v_add_co_u32_e32 v11, vcc, s24, v11
	v_addc_co_u32_e32 v12, vcc, v7, v12, vcc
	global_store_dwordx4 v[11:12], v[3:6], off
	v_cvt_f32_f16_sdwa v7, v31 dst_sel:DWORD dst_unused:UNUSED_PAD src0_sel:WORD_1
	v_cvt_f32_f16_sdwa v3, v30 dst_sel:DWORD dst_unused:UNUSED_PAD src0_sel:WORD_1
	v_cvt_f32_f16_e32 v4, v30
	v_cvt_f32_f16_e32 v11, v31
	v_add_u32_e32 v9, 0x80, v9
	v_lshlrev_b64 v[9:10], 2, v[9:10]
	v_mul_f32_e32 v6, v1, v3
	v_mul_f32_e32 v5, v1, v4
	;; [unrolled: 1-line block ×4, first 2 shown]
	v_mov_b32_e32 v1, s25
	v_add_co_u32_e32 v9, vcc, s24, v9
	v_addc_co_u32_e32 v10, vcc, v1, v10, vcc
	global_store_dwordx4 v[9:10], v[3:6], off
	s_and_b64 exec, exec, s[4:5]
	s_cbranch_execz .LBB71_49
; %bb.59:
	v_ashrrev_i32_e32 v1, 31, v0
	v_lshlrev_b64 v[0:1], 3, v[0:1]
	v_mov_b32_e32 v4, s27
	v_add_co_u32_e32 v3, vcc, s26, v0
	v_addc_co_u32_e32 v4, vcc, v4, v1, vcc
	v_mov_b32_e32 v1, v8
	global_store_dwordx2 v[3:4], v[1:2], off
	s_endpgm
	.section	.rodata,"a",@progbits
	.p2align	6, 0x0
	.amdhsa_kernel _ZL15flash_attn_tileILi256ELi256ELi16ELi1ELb1EEvPKcS1_S1_S1_S1_PKiPfP15HIP_vector_typeIfLj2EEffffjfiS5_IjLj3EEiiiiiiiiiiiliiliiiiil
		.amdhsa_group_segment_fixed_size 17920
		.amdhsa_private_segment_fixed_size 32
		.amdhsa_kernarg_size 464
		.amdhsa_user_sgpr_count 8
		.amdhsa_user_sgpr_private_segment_buffer 1
		.amdhsa_user_sgpr_dispatch_ptr 0
		.amdhsa_user_sgpr_queue_ptr 0
		.amdhsa_user_sgpr_kernarg_segment_ptr 1
		.amdhsa_user_sgpr_dispatch_id 0
		.amdhsa_user_sgpr_flat_scratch_init 1
		.amdhsa_user_sgpr_private_segment_size 0
		.amdhsa_uses_dynamic_stack 0
		.amdhsa_system_sgpr_private_segment_wavefront_offset 1
		.amdhsa_system_sgpr_workgroup_id_x 1
		.amdhsa_system_sgpr_workgroup_id_y 1
		.amdhsa_system_sgpr_workgroup_id_z 1
		.amdhsa_system_sgpr_workgroup_info 0
		.amdhsa_system_vgpr_workitem_id 1
		.amdhsa_next_free_vgpr 75
		.amdhsa_next_free_sgpr 96
		.amdhsa_reserve_vcc 1
		.amdhsa_reserve_flat_scratch 1
		.amdhsa_float_round_mode_32 0
		.amdhsa_float_round_mode_16_64 0
		.amdhsa_float_denorm_mode_32 3
		.amdhsa_float_denorm_mode_16_64 3
		.amdhsa_dx10_clamp 1
		.amdhsa_ieee_mode 1
		.amdhsa_fp16_overflow 0
		.amdhsa_exception_fp_ieee_invalid_op 0
		.amdhsa_exception_fp_denorm_src 0
		.amdhsa_exception_fp_ieee_div_zero 0
		.amdhsa_exception_fp_ieee_overflow 0
		.amdhsa_exception_fp_ieee_underflow 0
		.amdhsa_exception_fp_ieee_inexact 0
		.amdhsa_exception_int_div_zero 0
	.end_amdhsa_kernel
	.section	.text._ZL15flash_attn_tileILi256ELi256ELi16ELi1ELb1EEvPKcS1_S1_S1_S1_PKiPfP15HIP_vector_typeIfLj2EEffffjfiS5_IjLj3EEiiiiiiiiiiiliiliiiiil,"axG",@progbits,_ZL15flash_attn_tileILi256ELi256ELi16ELi1ELb1EEvPKcS1_S1_S1_S1_PKiPfP15HIP_vector_typeIfLj2EEffffjfiS5_IjLj3EEiiiiiiiiiiiliiliiiiil,comdat
.Lfunc_end71:
	.size	_ZL15flash_attn_tileILi256ELi256ELi16ELi1ELb1EEvPKcS1_S1_S1_S1_PKiPfP15HIP_vector_typeIfLj2EEffffjfiS5_IjLj3EEiiiiiiiiiiiliiliiiiil, .Lfunc_end71-_ZL15flash_attn_tileILi256ELi256ELi16ELi1ELb1EEvPKcS1_S1_S1_S1_PKiPfP15HIP_vector_typeIfLj2EEffffjfiS5_IjLj3EEiiiiiiiiiiiliiliiiiil
                                        ; -- End function
	.set _ZL15flash_attn_tileILi256ELi256ELi16ELi1ELb1EEvPKcS1_S1_S1_S1_PKiPfP15HIP_vector_typeIfLj2EEffffjfiS5_IjLj3EEiiiiiiiiiiiliiliiiiil.num_vgpr, 75
	.set _ZL15flash_attn_tileILi256ELi256ELi16ELi1ELb1EEvPKcS1_S1_S1_S1_PKiPfP15HIP_vector_typeIfLj2EEffffjfiS5_IjLj3EEiiiiiiiiiiiliiliiiiil.num_agpr, 0
	.set _ZL15flash_attn_tileILi256ELi256ELi16ELi1ELb1EEvPKcS1_S1_S1_S1_PKiPfP15HIP_vector_typeIfLj2EEffffjfiS5_IjLj3EEiiiiiiiiiiiliiliiiiil.numbered_sgpr, 52
	.set _ZL15flash_attn_tileILi256ELi256ELi16ELi1ELb1EEvPKcS1_S1_S1_S1_PKiPfP15HIP_vector_typeIfLj2EEffffjfiS5_IjLj3EEiiiiiiiiiiiliiliiiiil.num_named_barrier, 0
	.set _ZL15flash_attn_tileILi256ELi256ELi16ELi1ELb1EEvPKcS1_S1_S1_S1_PKiPfP15HIP_vector_typeIfLj2EEffffjfiS5_IjLj3EEiiiiiiiiiiiliiliiiiil.private_seg_size, 32
	.set _ZL15flash_attn_tileILi256ELi256ELi16ELi1ELb1EEvPKcS1_S1_S1_S1_PKiPfP15HIP_vector_typeIfLj2EEffffjfiS5_IjLj3EEiiiiiiiiiiiliiliiiiil.uses_vcc, 1
	.set _ZL15flash_attn_tileILi256ELi256ELi16ELi1ELb1EEvPKcS1_S1_S1_S1_PKiPfP15HIP_vector_typeIfLj2EEffffjfiS5_IjLj3EEiiiiiiiiiiiliiliiiiil.uses_flat_scratch, 1
	.set _ZL15flash_attn_tileILi256ELi256ELi16ELi1ELb1EEvPKcS1_S1_S1_S1_PKiPfP15HIP_vector_typeIfLj2EEffffjfiS5_IjLj3EEiiiiiiiiiiiliiliiiiil.has_dyn_sized_stack, 0
	.set _ZL15flash_attn_tileILi256ELi256ELi16ELi1ELb1EEvPKcS1_S1_S1_S1_PKiPfP15HIP_vector_typeIfLj2EEffffjfiS5_IjLj3EEiiiiiiiiiiiliiliiiiil.has_recursion, 0
	.set _ZL15flash_attn_tileILi256ELi256ELi16ELi1ELb1EEvPKcS1_S1_S1_S1_PKiPfP15HIP_vector_typeIfLj2EEffffjfiS5_IjLj3EEiiiiiiiiiiiliiliiiiil.has_indirect_call, 0
	.section	.AMDGPU.csdata,"",@progbits
; Kernel info:
; codeLenInByte = 20928
; TotalNumSgprs: 58
; NumVgprs: 75
; ScratchSize: 32
; MemoryBound: 0
; FloatMode: 240
; IeeeMode: 1
; LDSByteSize: 17920 bytes/workgroup (compile time only)
; SGPRBlocks: 12
; VGPRBlocks: 18
; NumSGPRsForWavesPerEU: 102
; NumVGPRsForWavesPerEU: 75
; Occupancy: 3
; WaveLimiterHint : 1
; COMPUTE_PGM_RSRC2:SCRATCH_EN: 1
; COMPUTE_PGM_RSRC2:USER_SGPR: 8
; COMPUTE_PGM_RSRC2:TRAP_HANDLER: 0
; COMPUTE_PGM_RSRC2:TGID_X_EN: 1
; COMPUTE_PGM_RSRC2:TGID_Y_EN: 1
; COMPUTE_PGM_RSRC2:TGID_Z_EN: 1
; COMPUTE_PGM_RSRC2:TIDIG_COMP_CNT: 1
	.section	.text._ZL15flash_attn_tileILi256ELi256ELi8ELi1ELb1EEvPKcS1_S1_S1_S1_PKiPfP15HIP_vector_typeIfLj2EEffffjfiS5_IjLj3EEiiiiiiiiiiiliiliiiiil,"axG",@progbits,_ZL15flash_attn_tileILi256ELi256ELi8ELi1ELb1EEvPKcS1_S1_S1_S1_PKiPfP15HIP_vector_typeIfLj2EEffffjfiS5_IjLj3EEiiiiiiiiiiiliiliiiiil,comdat
	.globl	_ZL15flash_attn_tileILi256ELi256ELi8ELi1ELb1EEvPKcS1_S1_S1_S1_PKiPfP15HIP_vector_typeIfLj2EEffffjfiS5_IjLj3EEiiiiiiiiiiiliiliiiiil ; -- Begin function _ZL15flash_attn_tileILi256ELi256ELi8ELi1ELb1EEvPKcS1_S1_S1_S1_PKiPfP15HIP_vector_typeIfLj2EEffffjfiS5_IjLj3EEiiiiiiiiiiiliiliiiiil
	.p2align	8
	.type	_ZL15flash_attn_tileILi256ELi256ELi8ELi1ELb1EEvPKcS1_S1_S1_S1_PKiPfP15HIP_vector_typeIfLj2EEffffjfiS5_IjLj3EEiiiiiiiiiiiliiliiiiil,@function
_ZL15flash_attn_tileILi256ELi256ELi8ELi1ELb1EEvPKcS1_S1_S1_S1_PKiPfP15HIP_vector_typeIfLj2EEffffjfiS5_IjLj3EEiiiiiiiiiiiliiliiiiil: ; @_ZL15flash_attn_tileILi256ELi256ELi8ELi1ELb1EEvPKcS1_S1_S1_S1_PKiPfP15HIP_vector_typeIfLj2EEffffjfiS5_IjLj3EEiiiiiiiiiiiliiliiiiil
; %bb.0:
	s_load_dwordx4 s[28:31], s[4:5], 0x5c
	s_load_dwordx2 s[42:43], s[4:5], 0x80
	s_add_u32 flat_scratch_lo, s6, s11
	s_addc_u32 flat_scratch_hi, s7, 0
	s_add_u32 s0, s0, s11
	s_waitcnt lgkmcnt(0)
	v_cvt_f32_u32_e32 v2, s31
	s_addc_u32 s1, s1, 0
	s_sub_i32 s6, 0, s31
	s_load_dwordx2 s[44:45], s[4:5], 0xb8
	v_rcp_iflag_f32_e32 v2, v2
	s_mov_b64 s[40:41], 0
	v_mul_f32_e32 v2, 0x4f7ffffe, v2
	v_cvt_u32_f32_e32 v2, v2
	v_readfirstlane_b32 s7, v2
	s_mul_i32 s6, s6, s7
	s_mul_hi_u32 s6, s7, s6
	s_add_i32 s7, s7, s6
	s_mul_hi_u32 s6, s10, s7
	s_mul_i32 s7, s6, s31
	s_sub_i32 s7, s10, s7
	s_add_i32 s11, s6, 1
	s_sub_i32 s12, s7, s31
	s_cmp_ge_u32 s7, s31
	s_cselect_b32 s6, s11, s6
	s_cselect_b32 s7, s12, s7
	s_add_i32 s11, s6, 1
	s_cmp_ge_u32 s7, s31
	s_cselect_b32 s33, s11, s6
	s_abs_i32 s6, s43
	v_cvt_f32_u32_e32 v2, s6
	s_mul_i32 s12, s33, s31
	s_sub_i32 s13, 0, s6
	s_sub_i32 s34, s10, s12
	v_rcp_iflag_f32_e32 v2, v2
	s_abs_i32 s11, s31
	s_xor_b32 s7, s31, s43
	s_ashr_i32 s7, s7, 31
	v_mul_f32_e32 v2, 0x4f7ffffe, v2
	v_cvt_u32_f32_e32 v2, v2
	v_readfirstlane_b32 s10, v2
	s_mul_i32 s13, s13, s10
	s_mul_hi_u32 s12, s10, s13
	s_add_i32 s10, s10, s12
	s_mul_hi_u32 s10, s11, s10
	s_mul_i32 s12, s10, s6
	s_sub_i32 s11, s11, s12
	s_add_i32 s13, s10, 1
	s_sub_i32 s12, s11, s6
	s_cmp_ge_u32 s11, s6
	s_cselect_b32 s10, s13, s10
	s_cselect_b32 s11, s12, s11
	s_add_i32 s12, s10, 1
	s_cmp_ge_u32 s11, s6
	s_cselect_b32 s6, s12, s10
	s_xor_b32 s6, s6, s7
	s_sub_i32 s47, s6, s7
	s_abs_i32 s43, s47
	v_cvt_f32_u32_e32 v2, s43
	s_load_dwordx16 s[12:27], s[4:5], 0x0
	s_sub_i32 s6, 0, s43
	s_abs_i32 s46, s34
	v_rcp_iflag_f32_e32 v2, v2
	v_mul_f32_e32 v2, 0x4f7ffffe, v2
	v_cvt_u32_f32_e32 v2, v2
	v_readfirstlane_b32 s7, v2
	s_mul_i32 s6, s6, s7
	s_mul_hi_u32 s6, s7, s6
	s_add_i32 s6, s7, s6
	s_waitcnt lgkmcnt(0)
	s_cmp_eq_u64 s[18:19], 0
	s_cbranch_scc1 .LBB72_2
; %bb.1:
	s_abs_i32 s7, s44
	v_cvt_f32_u32_e32 v2, s7
	s_sub_i32 s37, 0, s7
	s_abs_i32 s36, s33
	s_ashr_i32 s35, s33, 31
	v_rcp_iflag_f32_e32 v2, v2
	s_load_dwordx2 s[10:11], s[4:5], 0xc8
	v_mul_f32_e32 v2, 0x4f7ffffe, v2
	v_cvt_u32_f32_e32 v2, v2
	v_readfirstlane_b32 s38, v2
	s_mul_i32 s37, s37, s38
	s_mul_hi_u32 s37, s38, s37
	s_add_i32 s38, s38, s37
	s_mul_hi_u32 s37, s36, s38
	s_mul_i32 s37, s37, s7
	s_sub_i32 s36, s36, s37
	s_sub_i32 s37, s36, s7
	s_cmp_ge_u32 s36, s7
	s_cselect_b32 s36, s37, s36
	s_sub_i32 s37, s36, s7
	s_cmp_ge_u32 s36, s7
	s_cselect_b32 s7, s37, s36
	s_xor_b32 s7, s7, s35
	s_sub_i32 s7, s7, s35
	s_ashr_i32 s35, s7, 31
	s_waitcnt lgkmcnt(0)
	s_mul_hi_u32 s36, s10, s7
	s_mul_i32 s35, s10, s35
	s_mul_i32 s11, s11, s7
	s_add_i32 s35, s36, s35
	s_add_i32 s35, s35, s11
	s_mul_i32 s7, s10, s7
	s_add_u32 s40, s18, s7
	s_addc_u32 s41, s19, s35
.LBB72_2:
	s_load_dwordx4 s[36:39], s[4:5], 0x40
	s_load_dwordx2 s[18:19], s[4:5], 0x50
	s_mul_hi_u32 s44, s46, s6
	v_mov_b32_e32 v40, 1.0
	s_waitcnt lgkmcnt(0)
	v_cmp_le_f32_e64 s[6:7], s37, 0
	s_and_b64 vcc, exec, s[6:7]
	s_cbranch_vccnz .LBB72_4
; %bb.3:
	v_mov_b32_e32 v2, s18
	v_sub_co_u32_e32 v2, vcc, s34, v2
	v_mov_b32_e32 v3, s39
	v_mov_b32_e32 v4, s38
	s_add_i32 s6, s34, 1
	v_lshlrev_b32_e32 v2, 1, v2
	v_cndmask_b32_e32 v3, v3, v4, vcc
	v_or_b32_e32 v2, 1, v2
	v_mov_b32_e32 v4, s6
	v_cndmask_b32_e32 v2, v2, v4, vcc
	v_cvt_f32_i32_e32 v2, v2
	v_cmp_neq_f32_e32 vcc, 1.0, v3
	s_mov_b32 s6, 0x3f2aaaab
	s_movk_i32 s10, 0x204
	v_cndmask_b32_e32 v4, 1.0, v2, vcc
	v_cmp_neq_f32_e32 vcc, 0, v4
	v_cndmask_b32_e32 v5, 1.0, v3, vcc
	v_frexp_mant_f32_e64 v2, |v5|
	v_cmp_gt_f32_e32 vcc, s6, v2
	v_cndmask_b32_e64 v3, 1.0, 2.0, vcc
	v_mul_f32_e32 v2, v2, v3
	v_add_f32_e32 v3, 1.0, v2
	v_rcp_f32_e32 v6, v3
	v_add_f32_e32 v7, -1.0, v2
	v_add_f32_e32 v8, -1.0, v3
	v_sub_f32_e32 v2, v2, v8
	v_mul_f32_e32 v8, v7, v6
	v_mul_f32_e32 v9, v3, v8
	v_fma_f32 v3, v8, v3, -v9
	v_fmac_f32_e32 v3, v8, v2
	v_add_f32_e32 v2, v9, v3
	v_sub_f32_e32 v10, v7, v2
	v_sub_f32_e32 v9, v2, v9
	;; [unrolled: 1-line block ×5, first 2 shown]
	v_add_f32_e32 v2, v3, v2
	v_add_f32_e32 v2, v10, v2
	v_mul_f32_e32 v2, v6, v2
	v_add_f32_e32 v6, v8, v2
	v_sub_f32_e32 v3, v6, v8
	v_sub_f32_e32 v7, v2, v3
	v_mul_f32_e32 v2, v6, v6
	v_fma_f32 v3, v6, v6, -v2
	v_add_f32_e32 v8, v7, v7
	v_fmac_f32_e32 v3, v6, v8
	v_add_f32_e32 v8, v2, v3
	v_mov_b32_e32 v9, 0x3e91f4c4
	v_sub_f32_e32 v2, v8, v2
	v_fmac_f32_e32 v9, 0x3e76c4e1, v8
	v_mov_b32_e32 v10, 0x3ecccdef
	v_sub_f32_e32 v2, v3, v2
	v_mul_f32_e32 v3, v6, v8
	v_fmac_f32_e32 v10, v8, v9
	v_fma_f32 v9, v8, v6, -v3
	v_fmac_f32_e32 v9, v8, v7
	v_fmac_f32_e32 v9, v2, v6
	v_add_f32_e32 v11, v3, v9
	v_sub_f32_e32 v3, v11, v3
	v_sub_f32_e32 v9, v9, v3
	v_mul_f32_e32 v3, v8, v10
	v_fma_f32 v8, v8, v10, -v3
	v_fmac_f32_e32 v8, v2, v10
	v_add_f32_e32 v10, v3, v8
	v_sub_f32_e32 v2, v10, v3
	v_sub_f32_e32 v8, v8, v2
	v_cvt_f64_f32_e64 v[2:3], |v5|
	v_add_f32_e32 v12, 0x3f2aaaaa, v10
	v_add_f32_e32 v13, 0xbf2aaaaa, v12
	;; [unrolled: 1-line block ×3, first 2 shown]
	v_frexp_exp_i32_f64_e32 v2, v[2:3]
	v_sub_f32_e32 v10, v10, v13
	v_add_f32_e32 v3, v8, v10
	v_add_f32_e32 v8, v12, v3
	v_sub_f32_e32 v10, v12, v8
	v_add_f32_e32 v3, v3, v10
	v_mul_f32_e32 v10, v11, v8
	v_fma_f32 v12, v11, v8, -v10
	v_subbrev_co_u32_e32 v2, vcc, 0, v2, vcc
	v_cvt_f32_i32_e32 v2, v2
	v_fmac_f32_e32 v12, v11, v3
	s_mov_b32 s6, 0x3f317218
	v_fmac_f32_e32 v12, v9, v8
	v_mul_f32_e32 v3, 0x3f317218, v2
	v_fma_f32 v8, v2, s6, -v3
	v_fmac_f32_e32 v8, 0xb102e308, v2
	v_ldexp_f32 v2, v7, 1
	v_add_f32_e32 v7, v3, v8
	v_sub_f32_e32 v3, v7, v3
	v_ldexp_f32 v6, v6, 1
	v_sub_f32_e32 v3, v8, v3
	v_add_f32_e32 v8, v10, v12
	v_sub_f32_e32 v9, v8, v10
	v_add_f32_e32 v10, v6, v8
	v_sub_f32_e32 v9, v12, v9
	v_sub_f32_e32 v6, v10, v6
	;; [unrolled: 1-line block ×3, first 2 shown]
	v_add_f32_e32 v2, v2, v9
	v_add_f32_e32 v2, v2, v6
	;; [unrolled: 1-line block ×3, first 2 shown]
	v_sub_f32_e32 v8, v6, v10
	v_sub_f32_e32 v2, v2, v8
	v_add_f32_e32 v8, v7, v6
	v_sub_f32_e32 v9, v8, v7
	v_sub_f32_e32 v10, v8, v9
	;; [unrolled: 1-line block ×4, first 2 shown]
	v_add_f32_e32 v6, v6, v7
	v_add_f32_e32 v7, v3, v2
	v_sub_f32_e32 v9, v7, v3
	v_sub_f32_e32 v10, v7, v9
	;; [unrolled: 1-line block ×4, first 2 shown]
	v_add_f32_e32 v2, v2, v3
	v_add_f32_e32 v3, v7, v6
	;; [unrolled: 1-line block ×3, first 2 shown]
	v_sub_f32_e32 v7, v6, v8
	v_sub_f32_e32 v3, v3, v7
	v_add_f32_e32 v2, v2, v3
	v_add_f32_e32 v3, v6, v2
	v_sub_f32_e32 v6, v3, v6
	v_sub_f32_e32 v2, v2, v6
	v_mul_f32_e32 v6, v4, v3
	v_fma_f32 v3, v4, v3, -v6
	v_fmac_f32_e32 v3, v4, v2
	v_add_f32_e32 v2, v6, v3
	v_cmp_class_f32_e64 vcc, v6, s10
	v_sub_f32_e32 v7, v2, v6
	v_cndmask_b32_e32 v2, v2, v6, vcc
	s_mov_b32 s7, 0x42b17218
	v_mov_b32_e32 v6, 0x37000000
	v_cmp_eq_f32_e32 vcc, s7, v2
	v_cndmask_b32_e32 v6, 0, v6, vcc
	v_sub_f32_e32 v3, v3, v7
	v_sub_f32_e32 v7, v2, v6
	s_mov_b32 s11, 0x3fb8aa3b
	v_mul_f32_e32 v8, 0x3fb8aa3b, v7
	v_fma_f32 v9, v7, s11, -v8
	v_rndne_f32_e32 v10, v8
	v_fmac_f32_e32 v9, 0x32a5705f, v7
	v_sub_f32_e32 v8, v8, v10
	v_add_f32_e32 v8, v8, v9
	v_exp_f32_e32 v8, v8
	v_cvt_i32_f32_e32 v9, v10
	s_mov_b32 s6, 0x7f800000
	v_cmp_neq_f32_e64 vcc, |v2|, s6
	s_mov_b32 s6, 0xc2ce8ed0
	v_cndmask_b32_e32 v2, 0, v3, vcc
	v_ldexp_f32 v3, v8, v9
	v_cmp_ngt_f32_e32 vcc, s6, v7
	v_add_f32_e32 v2, v6, v2
	v_cndmask_b32_e32 v3, 0, v3, vcc
	v_mov_b32_e32 v6, 0x7f800000
	v_cmp_nlt_f32_e32 vcc, s7, v7
	v_cndmask_b32_e32 v3, v6, v3, vcc
	v_fma_f32 v2, v3, v2, v3
	v_cmp_class_f32_e64 vcc, v3, s10
	v_cndmask_b32_e32 v2, v2, v3, vcc
	v_trunc_f32_e32 v3, v4
	v_cmp_eq_f32_e32 vcc, v3, v4
	v_mul_f32_e32 v3, 0.5, v4
	v_trunc_f32_e32 v8, v3
	v_cmp_neq_f32_e64 s[6:7], v8, v3
	s_and_b64 s[6:7], vcc, s[6:7]
	v_cndmask_b32_e64 v3, 1.0, v5, s[6:7]
	s_brev_b32 s18, -2
	v_mov_b32_e32 v7, 0x7fc00000
	v_bfi_b32 v2, s18, v2, v3
	v_cndmask_b32_e32 v3, v7, v2, vcc
	v_cmp_gt_f32_e32 vcc, 0, v5
	v_cndmask_b32_e32 v2, v2, v3, vcc
	v_cmp_class_f32_e64 s[38:39], v5, s10
	v_cmp_eq_f32_e32 vcc, 0, v5
	v_cmp_gt_f32_e64 s[10:11], 0, v4
	s_xor_b64 s[10:11], s[10:11], vcc
	v_cndmask_b32_e64 v3, v6, 0, s[10:11]
	v_cndmask_b32_e64 v4, 0, v5, s[6:7]
	v_bfi_b32 v3, s18, v3, v4
	s_or_b64 vcc, vcc, s[38:39]
	v_cndmask_b32_e32 v2, v2, v3, vcc
	v_cmp_o_f32_e32 vcc, v5, v5
	v_cndmask_b32_e32 v40, v7, v2, vcc
.LBB72_4:
	s_load_dwordx4 s[48:51], s[4:5], 0x70
	v_lshl_add_u32 v33, s8, 3, v1
	v_mul_hi_u32 v2, s28, v33
	s_ashr_i32 s35, s34, 31
	s_ashr_i32 s6, s47, 31
	s_waitcnt lgkmcnt(0)
	s_mul_i32 s7, s33, s50
	v_add_u32_e32 v2, v33, v2
	s_ashr_i32 s10, s7, 31
	v_lshrrev_b32_e32 v2, s29, v2
	s_add_u32 s7, s12, s7
	s_mul_i32 s11, s34, s49
	v_mul_lo_u32 v2, v2, s30
	s_addc_u32 s10, s13, s10
	s_ashr_i32 s12, s11, 31
	s_add_u32 s7, s7, s11
	s_addc_u32 s12, s10, s12
	s_ashr_i32 s49, s48, 31
	v_sub_u32_e32 v42, v33, v2
	s_lshr_b64 s[10:11], s[48:49], 2
	v_mad_u64_u32 v[2:3], s[10:11], s10, v42, 0
	s_lshr_b32 s10, s49, 2
	v_lshlrev_b32_e32 v39, 9, v1
	v_mad_u64_u32 v[3:4], s[10:11], s10, v42, v[3:4]
	v_mov_b32_e32 v4, s12
	v_lshlrev_b32_e32 v35, 3, v0
	v_lshlrev_b64 v[2:3], 2, v[2:3]
	v_add_u32_e32 v43, 0x4400, v39
	v_add_co_u32_e32 v2, vcc, s7, v2
	v_addc_co_u32_e32 v3, vcc, v4, v3, vcc
	v_lshlrev_b32_e32 v4, 4, v0
	v_add_co_u32_e32 v10, vcc, v2, v4
	v_addc_co_u32_e32 v11, vcc, 0, v3, vcc
	global_load_dwordx4 v[2:5], v[10:11], off
	global_load_dwordx4 v[6:9], v[10:11], off offset:512
	v_lshlrev_b32_e32 v34, 2, v0
	v_mov_b32_e32 v44, 0
	v_add_u32_e32 v10, v43, v35
	s_cmp_eq_u64 s[22:23], 0
	s_waitcnt vmcnt(1)
	v_fma_mixlo_f16 v2, s36, v2, 0
	v_fma_mixlo_f16 v3, s36, v3, 0
	;; [unrolled: 1-line block ×4, first 2 shown]
	s_waitcnt vmcnt(0)
	v_fma_mixlo_f16 v6, s36, v6, 0
	v_fma_mixlo_f16 v7, s36, v7, 0
	;; [unrolled: 1-line block ×4, first 2 shown]
	v_lshlrev_b32_e32 v3, 16, v3
	v_and_b32_e32 v2, 0xffff, v2
	v_lshlrev_b32_e32 v5, 16, v5
	v_and_b32_e32 v4, 0xffff, v4
	;; [unrolled: 2-line block ×4, first 2 shown]
	v_or_b32_e32 v2, v3, v2
	v_or3_b32 v3, v5, v4, 0
	v_or_b32_e32 v4, v7, v6
	v_or3_b32 v5, v9, v8, 0
	v_or3_b32 v2, 0, 0, v2
	;; [unrolled: 1-line block ×3, first 2 shown]
	ds_write2_b64 v10, v[2:3], v[4:5] offset1:32
	s_waitcnt lgkmcnt(0)
	s_barrier
	s_cbranch_scc1 .LBB72_6
; %bb.5:
	s_load_dword s7, s[4:5], 0xd0
	s_mov_b32 s11, 0
	s_waitcnt lgkmcnt(0)
	s_mul_i32 s7, s7, s33
	s_add_i32 s10, s7, s8
	s_lshl_b64 s[10:11], s[10:11], 2
	s_add_u32 s10, s22, s10
	s_addc_u32 s11, s23, s11
	s_load_dword s42, s[10:11], 0x0
.LBB72_6:
	s_nop 0
	s_load_dwordx2 s[10:11], s[4:5], 0x8c
	s_load_dwordx4 s[36:39], s[4:5], 0x98
	s_load_dwordx2 s[12:13], s[4:5], 0xa8
	s_ashr_i32 s7, s33, 31
	s_ashr_i32 s22, s45, 1
	s_waitcnt lgkmcnt(0)
	s_ashr_i32 s23, s10, 2
	s_mul_hi_u32 s10, s36, s33
	s_mul_i32 s18, s36, s7
	s_add_i32 s10, s10, s18
	s_mul_i32 s18, s37, s33
	s_ashr_i32 s8, s38, 2
	s_add_i32 s10, s10, s18
	s_mul_i32 s18, s36, s33
	s_add_u32 s14, s14, s18
	s_addc_u32 s10, s15, s10
	s_mul_i32 s15, s44, s43
	s_sub_i32 s15, s46, s15
	s_xor_b32 s6, s35, s6
	s_add_i32 s18, s44, 1
	s_sub_i32 s28, s15, s43
	s_cmp_ge_u32 s15, s43
	s_cselect_b32 s18, s18, s44
	s_cselect_b32 s15, s28, s15
	s_add_i32 s28, s18, 1
	s_cmp_ge_u32 s15, s43
	s_cselect_b32 s15, s28, s18
	s_xor_b32 s15, s15, s6
	s_sub_i32 s6, s15, s6
	s_mul_i32 s11, s6, s11
	s_ashr_i32 s15, s11, 31
	s_add_u32 s28, s14, s11
	s_addc_u32 s29, s10, s15
	s_mul_hi_u32 s10, s12, s33
	s_mul_i32 s7, s12, s7
	s_add_i32 s7, s10, s7
	s_mul_i32 s10, s13, s33
	s_add_i32 s7, s7, s10
	s_mul_i32 s10, s12, s33
	s_add_u32 s10, s16, s10
	s_mul_i32 s6, s6, s39
	s_addc_u32 s7, s17, s7
	s_ashr_i32 s11, s6, 31
	v_mul_lo_u32 v14, s8, v1
	s_add_u32 s16, s10, s6
	s_addc_u32 s17, s7, s11
	s_lshl_b32 s18, s9, 6
	s_sub_i32 s36, s42, 64
	s_cmp_ge_i32 s18, s36
	v_lshrrev_b32_e32 v46, 4, v0
	v_and_b32_e32 v45, 60, v34
	v_lshlrev_b32_e32 v36, 2, v34
	v_mbcnt_lo_u32_b32 v41, -1, 0
	s_cbranch_scc1 .LBB72_23
; %bb.7:
	v_lshl_add_u32 v3, v1, 1, v46
	v_mul_lo_u32 v2, s23, v3
	v_lshlrev_b32_e32 v4, 2, v45
	s_movk_i32 s6, 0x110
	v_mad_u32_u24 v47, v3, s6, v4
	s_lshl_b32 s6, s23, 4
	v_add_u32_e32 v4, s6, v2
	v_add_u32_e32 v6, s6, v4
	;; [unrolled: 1-line block ×3, first 2 shown]
	s_cmp_lg_u64 s[40:41], 0
	v_mad_u64_u32 v[16:17], s[6:7], v42, s22, v[0:1]
	s_cselect_b64 s[10:11], -1, 0
	v_mov_b32_e32 v11, 0x5400
	s_lshl_b32 s6, s8, 3
	v_lshl_add_u32 v52, v1, 7, v11
	v_add_u32_e32 v11, s6, v14
	v_add_u32_e32 v29, s6, v11
	;; [unrolled: 1-line block ×3, first 2 shown]
	v_ashrrev_i32_e32 v3, 31, v2
	v_ashrrev_i32_e32 v5, 31, v4
	;; [unrolled: 1-line block ×8, first 2 shown]
	v_lshl_add_u32 v13, v1, 9, v36
	s_add_u32 s12, s4, 0xd0
	v_lshlrev_b64 v[17:18], 2, v[2:3]
	v_lshlrev_b64 v[19:20], 2, v[4:5]
	;; [unrolled: 1-line block ×8, first 2 shown]
	v_mov_b32_e32 v10, 0
	v_add_u32_e32 v48, 0x1100, v47
	v_add_u32_e32 v49, 0x2200, v47
	;; [unrolled: 1-line block ×3, first 2 shown]
	v_mul_u32_u24_e32 v51, 0x110, v0
	v_lshl_add_u32 v53, v0, 1, v52
	v_add_u32_e32 v54, v39, v36
	v_add_u32_e32 v55, 0x1000, v13
	;; [unrolled: 1-line block ×4, first 2 shown]
	s_addc_u32 s13, s5, 0
	v_mov_b32_e32 v13, 0xfeffffff
	v_lshlrev_b32_e32 v58, 2, v45
	s_mov_b32 s37, 0x3f200000
	s_mov_b32 s38, 0x3fb8aa3b
	;; [unrolled: 1-line block ×4, first 2 shown]
	v_mov_b32_e32 v59, 0xbd5c1c4e
	v_mov_b32_e32 v60, 0x3e088382
	;; [unrolled: 1-line block ×3, first 2 shown]
	s_brev_b32 s44, -2
	s_mov_b32 s45, 0x10001
	v_mov_b32_e32 v62, 0x7f800000
	v_mbcnt_hi_u32_b32 v63, -1, v41
	v_mov_b32_e32 v11, 0
	v_mov_b32_e32 v38, 0
	;; [unrolled: 1-line block ×4, first 2 shown]
.LBB72_8:                               ; =>This Inner Loop Header: Depth=1
	s_mul_hi_i32 s7, s18, s23
	s_mul_i32 s6, s18, s23
	s_lshl_b64 s[6:7], s[6:7], 2
	s_add_u32 s6, s28, s6
	s_addc_u32 s7, s29, s7
	v_mov_b32_e32 v2, s7
	v_add_co_u32_e32 v3, vcc, s6, v17
	v_addc_co_u32_e32 v4, vcc, v2, v18, vcc
	v_add_co_u32_e32 v2, vcc, v3, v58
	v_addc_co_u32_e32 v3, vcc, 0, v4, vcc
	v_mov_b32_e32 v4, s7
	v_add_co_u32_e32 v5, vcc, s6, v19
	v_addc_co_u32_e32 v6, vcc, v4, v20, vcc
	v_add_co_u32_e32 v4, vcc, v5, v58
	v_addc_co_u32_e32 v5, vcc, 0, v6, vcc
	;; [unrolled: 5-line block ×3, first 2 shown]
	v_mov_b32_e32 v8, s7
	v_add_co_u32_e32 v9, vcc, s6, v23
	v_addc_co_u32_e32 v15, vcc, v8, v24, vcc
	v_add_co_u32_e32 v8, vcc, v9, v58
	global_load_dwordx4 v[64:67], v[2:3], off
	global_load_dwordx4 v[68:71], v[4:5], off
	v_addc_co_u32_e32 v9, vcc, 0, v15, vcc
	global_load_dwordx4 v[72:75], v[6:7], off
	global_load_dwordx4 v[76:79], v[8:9], off
	v_mov_b32_e32 v15, 0
	v_mov_b32_e32 v44, 0
	s_waitcnt vmcnt(3)
	ds_write_b128 v47, v[64:67]
	s_waitcnt vmcnt(2)
	ds_write_b128 v48, v[68:71]
	;; [unrolled: 2-line block ×4, first 2 shown]
	s_waitcnt lgkmcnt(0)
	s_barrier
	ds_read_b128 v[64:67], v51
	ds_read_b128 v[68:71], v43
	ds_read_b128 v[72:75], v51 offset:8704
	s_waitcnt lgkmcnt(1)
	;;#ASMSTART
	v_dot2_f32_f16 v15, v64, v68, v15
	;;#ASMEND
	;;#ASMSTART
	v_dot2_f32_f16 v15, v65, v69, v15
	;;#ASMEND
	;;#ASMSTART
	v_dot2_f32_f16 v15, v66, v70, v15
	;;#ASMEND
	;;#ASMSTART
	v_dot2_f32_f16 v15, v67, v71, v15
	;;#ASMEND
	s_waitcnt lgkmcnt(0)
	;;#ASMSTART
	v_dot2_f32_f16 v44, v72, v68, v44
	;;#ASMEND
	;;#ASMSTART
	v_dot2_f32_f16 v44, v73, v69, v44
	;;#ASMEND
	;;#ASMSTART
	v_dot2_f32_f16 v44, v74, v70, v44
	;;#ASMEND
	;;#ASMSTART
	v_dot2_f32_f16 v44, v75, v71, v44
	;;#ASMEND
	ds_read_b128 v[64:67], v51 offset:16
	ds_read_b128 v[68:71], v43 offset:16
	ds_read_b128 v[72:75], v51 offset:8720
	s_waitcnt lgkmcnt(1)
	;;#ASMSTART
	v_dot2_f32_f16 v15, v64, v68, v15
	;;#ASMEND
	;;#ASMSTART
	v_dot2_f32_f16 v15, v65, v69, v15
	;;#ASMEND
	;;#ASMSTART
	v_dot2_f32_f16 v15, v66, v70, v15
	;;#ASMEND
	;;#ASMSTART
	v_dot2_f32_f16 v15, v67, v71, v15
	;;#ASMEND
	s_waitcnt lgkmcnt(0)
	;;#ASMSTART
	v_dot2_f32_f16 v44, v72, v68, v44
	;;#ASMEND
	;;#ASMSTART
	v_dot2_f32_f16 v44, v73, v69, v44
	;;#ASMEND
	;;#ASMSTART
	v_dot2_f32_f16 v44, v74, v70, v44
	;;#ASMEND
	;;#ASMSTART
	v_dot2_f32_f16 v44, v75, v71, v44
	;;#ASMEND
	ds_read_b128 v[64:67], v51 offset:32
	ds_read_b128 v[68:71], v43 offset:32
	;; [unrolled: 29-line block ×15, first 2 shown]
	ds_read_b128 v[72:75], v51 offset:8944
	s_waitcnt lgkmcnt(1)
	;;#ASMSTART
	v_dot2_f32_f16 v15, v64, v68, v15
	;;#ASMEND
	;;#ASMSTART
	v_dot2_f32_f16 v15, v65, v69, v15
	;;#ASMEND
	;; [unrolled: 3-line block ×4, first 2 shown]
	s_waitcnt lgkmcnt(0)
	;;#ASMSTART
	v_dot2_f32_f16 v44, v72, v68, v44
	;;#ASMEND
	;;#ASMSTART
	v_dot2_f32_f16 v44, v73, v69, v44
	;;#ASMEND
	;; [unrolled: 3-line block ×4, first 2 shown]
	s_barrier
	global_load_dwordx4 v[64:67], v[2:3], off offset:256
	s_nop 0
	global_load_dwordx4 v[2:5], v[4:5], off offset:256
	s_nop 0
	;; [unrolled: 2-line block ×3, first 2 shown]
	global_load_dwordx4 v[6:9], v[8:9], off offset:256
	s_waitcnt vmcnt(3)
	ds_write_b128 v47, v[64:67]
	s_waitcnt vmcnt(2)
	ds_write_b128 v48, v[2:5]
	;; [unrolled: 2-line block ×4, first 2 shown]
	s_waitcnt lgkmcnt(0)
	s_barrier
	ds_read_b128 v[2:5], v51
	ds_read_b128 v[6:9], v43 offset:256
	ds_read_b128 v[64:67], v51 offset:8704
	s_waitcnt lgkmcnt(1)
	;;#ASMSTART
	v_dot2_f32_f16 v15, v2, v6, v15
	;;#ASMEND
	;;#ASMSTART
	v_dot2_f32_f16 v15, v3, v7, v15
	;;#ASMEND
	;;#ASMSTART
	v_dot2_f32_f16 v15, v4, v8, v15
	;;#ASMEND
	;;#ASMSTART
	v_dot2_f32_f16 v15, v5, v9, v15
	;;#ASMEND
	s_waitcnt lgkmcnt(0)
	;;#ASMSTART
	v_dot2_f32_f16 v44, v64, v6, v44
	;;#ASMEND
	;;#ASMSTART
	v_dot2_f32_f16 v44, v65, v7, v44
	;;#ASMEND
	;;#ASMSTART
	v_dot2_f32_f16 v44, v66, v8, v44
	;;#ASMEND
	;;#ASMSTART
	v_dot2_f32_f16 v44, v67, v9, v44
	;;#ASMEND
	ds_read_b128 v[2:5], v51 offset:16
	ds_read_b128 v[6:9], v43 offset:272
	ds_read_b128 v[64:67], v51 offset:8720
	s_waitcnt lgkmcnt(1)
	;;#ASMSTART
	v_dot2_f32_f16 v15, v2, v6, v15
	;;#ASMEND
	;;#ASMSTART
	v_dot2_f32_f16 v15, v3, v7, v15
	;;#ASMEND
	;;#ASMSTART
	v_dot2_f32_f16 v15, v4, v8, v15
	;;#ASMEND
	;;#ASMSTART
	v_dot2_f32_f16 v15, v5, v9, v15
	;;#ASMEND
	s_waitcnt lgkmcnt(0)
	;;#ASMSTART
	v_dot2_f32_f16 v44, v64, v6, v44
	;;#ASMEND
	;;#ASMSTART
	v_dot2_f32_f16 v44, v65, v7, v44
	;;#ASMEND
	;;#ASMSTART
	v_dot2_f32_f16 v44, v66, v8, v44
	;;#ASMEND
	;;#ASMSTART
	v_dot2_f32_f16 v44, v67, v9, v44
	;;#ASMEND
	ds_read_b128 v[2:5], v51 offset:32
	;; [unrolled: 29-line block ×15, first 2 shown]
	ds_read_b128 v[6:9], v43 offset:496
	ds_read_b128 v[64:67], v51 offset:8944
	s_waitcnt lgkmcnt(1)
	;;#ASMSTART
	v_dot2_f32_f16 v15, v2, v6, v15
	;;#ASMEND
	;;#ASMSTART
	v_dot2_f32_f16 v15, v3, v7, v15
	;;#ASMEND
	;; [unrolled: 3-line block ×4, first 2 shown]
	s_waitcnt lgkmcnt(0)
	;;#ASMSTART
	v_dot2_f32_f16 v44, v64, v6, v44
	;;#ASMEND
	;;#ASMSTART
	v_dot2_f32_f16 v44, v65, v7, v44
	;;#ASMEND
	;; [unrolled: 3-line block ×3, first 2 shown]
	v_cmp_nlt_f32_e64 s[6:7], |v15|, s37
	;;#ASMSTART
	v_dot2_f32_f16 v44, v67, v9, v44
	;;#ASMEND
                                        ; implicit-def: $vgpr5
	s_and_saveexec_b64 s[14:15], s[6:7]
	s_xor_b64 s[6:7], exec, s[14:15]
	s_cbranch_execz .LBB72_10
; %bb.9:                                ;   in Loop: Header=BB72_8 Depth=1
	v_add_f32_e64 v2, |v15|, |v15|
	v_mul_f32_e32 v3, 0x3fb8aa3b, v2
	v_rndne_f32_e32 v4, v3
	v_sub_f32_e32 v5, v3, v4
	v_fma_f32 v3, v2, s38, -v3
	v_fmac_f32_e32 v3, 0x32a5705f, v2
	v_add_f32_e32 v3, v5, v3
	v_cvt_i32_f32_e32 v4, v4
	v_exp_f32_e32 v3, v3
	v_cmp_ngt_f32_e32 vcc, s39, v2
	v_ldexp_f32 v3, v3, v4
	v_cndmask_b32_e32 v3, 0, v3, vcc
	v_cmp_nlt_f32_e32 vcc, s43, v2
	v_cndmask_b32_e32 v2, v62, v3, vcc
	v_add_f32_e32 v2, 1.0, v2
	v_rcp_f32_e32 v2, v2
	v_fma_f32 v5, v2, -2.0, 1.0
.LBB72_10:                              ;   in Loop: Header=BB72_8 Depth=1
	s_andn2_saveexec_b64 s[6:7], s[6:7]
; %bb.11:                               ;   in Loop: Header=BB72_8 Depth=1
	v_mul_f32_e32 v2, v15, v15
	v_mov_b32_e32 v3, 0x3ca908c9
	v_fmac_f32_e32 v3, 0xbbbac73d, v2
	v_fma_f32 v3, v2, v3, v59
	v_fma_f32 v3, v2, v3, v60
	;; [unrolled: 1-line block ×3, first 2 shown]
	v_mul_f32_e64 v3, |v15|, v3
	v_fma_f32 v5, v2, v3, |v15|
; %bb.12:                               ;   in Loop: Header=BB72_8 Depth=1
	s_or_b64 exec, exec, s[6:7]
	v_add_u32_e32 v2, s18, v16
	v_cndmask_b32_e64 v3, 0, 1, s[10:11]
	v_cmp_ne_u32_e64 s[6:7], 1, v3
	s_andn2_b64 vcc, exec, s[10:11]
	v_ashrrev_i32_e32 v3, 31, v2
	s_cbranch_vccnz .LBB72_22
; %bb.13:                               ;   in Loop: Header=BB72_8 Depth=1
	v_lshlrev_b64 v[6:7], 1, v[2:3]
	v_mov_b32_e32 v4, s41
	v_add_co_u32_e32 v6, vcc, s40, v6
	v_addc_co_u32_e32 v7, vcc, v4, v7, vcc
	global_load_ushort v4, v[6:7], off
	s_waitcnt vmcnt(0)
	v_cvt_f32_f16_e32 v4, v4
	v_mul_f32_e32 v4, v40, v4
	v_cmp_nlt_f32_e64 s[14:15], |v44|, s37
                                        ; implicit-def: $vgpr6
	s_and_saveexec_b64 s[46:47], s[14:15]
	s_xor_b64 s[14:15], exec, s[46:47]
	s_cbranch_execz .LBB72_15
.LBB72_14:                              ;   in Loop: Header=BB72_8 Depth=1
	v_add_f32_e64 v6, |v44|, |v44|
	v_mul_f32_e32 v7, 0x3fb8aa3b, v6
	v_rndne_f32_e32 v8, v7
	v_sub_f32_e32 v9, v7, v8
	v_fma_f32 v7, v6, s38, -v7
	v_fmac_f32_e32 v7, 0x32a5705f, v6
	v_add_f32_e32 v7, v9, v7
	v_cvt_i32_f32_e32 v8, v8
	v_exp_f32_e32 v7, v7
	v_cmp_ngt_f32_e32 vcc, s39, v6
	v_ldexp_f32 v7, v7, v8
	v_cndmask_b32_e32 v7, 0, v7, vcc
	v_cmp_nlt_f32_e32 vcc, s43, v6
	v_cndmask_b32_e32 v6, v62, v7, vcc
	v_add_f32_e32 v6, 1.0, v6
	v_rcp_f32_e32 v6, v6
	v_fma_f32 v6, v6, -2.0, 1.0
.LBB72_15:                              ;   in Loop: Header=BB72_8 Depth=1
	s_andn2_saveexec_b64 s[14:15], s[14:15]
	s_cbranch_execz .LBB72_18
; %bb.16:                               ;   in Loop: Header=BB72_8 Depth=1
	v_mul_f32_e32 v6, v44, v44
	v_mov_b32_e32 v7, 0x3ca908c9
	v_fmac_f32_e32 v7, 0xbbbac73d, v6
	v_fma_f32 v7, v6, v7, v59
	v_fma_f32 v7, v6, v7, v60
	v_fma_f32 v7, v6, v7, v61
	v_mul_f32_e64 v7, |v44|, v7
	v_fma_f32 v6, v6, v7, |v44|
	s_or_b64 exec, exec, s[14:15]
	s_and_b64 vcc, exec, s[6:7]
	s_cbranch_vccz .LBB72_19
.LBB72_17:                              ;   in Loop: Header=BB72_8 Depth=1
	v_mov_b32_e32 v2, 0
	s_branch .LBB72_20
.LBB72_18:                              ;   in Loop: Header=BB72_8 Depth=1
	s_or_b64 exec, exec, s[14:15]
	s_and_b64 vcc, exec, s[6:7]
	s_cbranch_vccnz .LBB72_17
.LBB72_19:                              ;   in Loop: Header=BB72_8 Depth=1
	v_lshlrev_b64 v[2:3], 1, v[2:3]
	v_mov_b32_e32 v7, s41
	v_add_co_u32_e32 v2, vcc, s40, v2
	v_addc_co_u32_e32 v3, vcc, v7, v3, vcc
	global_load_ushort v2, v[2:3], off offset:64
	s_waitcnt vmcnt(0)
	v_cvt_f32_f16_e32 v2, v2
	v_mul_f32_e32 v2, v40, v2
.LBB72_20:                              ;   in Loop: Header=BB72_8 Depth=1
	v_and_b32_e32 v7, 0x60, v63
	v_bfi_b32 v3, s44, v6, v44
	v_xor_b32_e32 v6, 1, v63
	v_add_u32_e32 v7, 32, v7
	v_cmp_lt_i32_e32 vcc, v6, v7
	v_xor_b32_e32 v8, 2, v63
	v_cndmask_b32_e32 v6, v63, v6, vcc
	v_cmp_lt_i32_e32 vcc, v8, v7
	v_xor_b32_e32 v9, 4, v63
	v_bfi_b32 v5, s44, v5, v15
	v_cndmask_b32_e32 v8, v63, v8, vcc
	v_cmp_lt_i32_e32 vcc, v9, v7
	v_xor_b32_e32 v15, 8, v63
	v_cndmask_b32_e32 v9, v63, v9, vcc
	v_cmp_lt_i32_e32 vcc, v15, v7
	v_xor_b32_e32 v44, 16, v63
	v_fmac_f32_e32 v4, s19, v5
	v_cndmask_b32_e32 v15, v63, v15, vcc
	v_cmp_lt_i32_e32 vcc, v44, v7
	v_fmac_f32_e32 v2, s19, v3
	v_add_f32_e32 v5, 0x40051340, v4
	v_cndmask_b32_e32 v7, v63, v44, vcc
	v_add_f32_e32 v3, 0x40051340, v2
	v_max3_f32 v3, v13, v5, v3
	v_lshlrev_b32_e32 v5, 2, v7
	ds_bpermute_b32 v5, v5, v3
	v_lshlrev_b32_e32 v7, 2, v15
	v_lshlrev_b32_e32 v9, 2, v9
	;; [unrolled: 1-line block ×4, first 2 shown]
	s_waitcnt lgkmcnt(0)
	v_max_f32_e32 v5, v5, v5
	v_max_f32_e32 v3, v3, v5
	ds_bpermute_b32 v5, v7, v3
	s_mul_hi_i32 s7, s18, s8
	s_mul_i32 s6, s18, s8
	s_lshl_b64 s[6:7], s[6:7], 2
	s_add_u32 s6, s16, s6
	s_waitcnt lgkmcnt(0)
	v_max_f32_e32 v5, v5, v5
	v_max_f32_e32 v3, v3, v5
	ds_bpermute_b32 v5, v9, v3
	s_addc_u32 s7, s17, s7
	s_waitcnt lgkmcnt(0)
	s_barrier
	v_max_f32_e32 v5, v5, v5
	v_max_f32_e32 v3, v3, v5
	ds_bpermute_b32 v5, v8, v3
	s_waitcnt lgkmcnt(0)
	v_max_f32_e32 v5, v5, v5
	v_max_f32_e32 v3, v3, v5
	ds_bpermute_b32 v5, v6, v3
	s_waitcnt lgkmcnt(0)
	v_max_f32_e32 v5, v5, v5
	v_max_f32_e32 v15, v3, v5
	v_sub_f32_e32 v4, v4, v15
	v_mul_f32_e32 v5, 0x3fb8aa3b, v4
	v_fma_f32 v6, v4, s38, -v5
	v_rndne_f32_e32 v7, v5
	v_fmac_f32_e32 v6, 0x32a5705f, v4
	v_sub_f32_e32 v5, v5, v7
	v_add_f32_e32 v5, v5, v6
	v_exp_f32_e32 v5, v5
	v_cvt_i32_f32_e32 v6, v7
	v_sub_f32_e32 v2, v2, v15
	v_cmp_ngt_f32_e32 vcc, s39, v4
	v_sub_f32_e32 v3, v13, v15
	v_ldexp_f32 v5, v5, v6
	v_mul_f32_e32 v6, 0x3fb8aa3b, v2
	v_fma_f32 v7, v2, s38, -v6
	v_rndne_f32_e32 v8, v6
	v_fmac_f32_e32 v7, 0x32a5705f, v2
	v_sub_f32_e32 v6, v6, v8
	v_add_f32_e32 v6, v6, v7
	v_exp_f32_e32 v6, v6
	v_cvt_i32_f32_e32 v7, v8
	v_cndmask_b32_e32 v5, 0, v5, vcc
	v_cmp_nlt_f32_e32 vcc, s43, v4
	v_cndmask_b32_e32 v4, v62, v5, vcc
	v_ldexp_f32 v6, v6, v7
	v_cmp_ngt_f32_e32 vcc, s39, v2
	v_cndmask_b32_e32 v6, 0, v6, vcc
	v_cmp_nlt_f32_e32 vcc, s43, v2
	v_cndmask_b32_e32 v2, v62, v6, vcc
	v_cvt_f16_f32_e32 v5, v4
	v_add_f32_e32 v44, v4, v2
	v_mul_f32_e32 v4, 0x3fb8aa3b, v3
	v_fma_f32 v6, v3, s38, -v4
	v_rndne_f32_e32 v7, v4
	v_fmac_f32_e32 v6, 0x32a5705f, v3
	v_sub_f32_e32 v4, v4, v7
	v_add_f32_e32 v4, v4, v6
	v_exp_f32_e32 v4, v4
	v_cvt_i32_f32_e32 v6, v7
	v_cmp_ngt_f32_e32 vcc, s39, v3
	v_cvt_f16_f32_e32 v2, v2
	ds_write_b16 v53, v5
	ds_write_b16 v53, v2 offset:64
	v_ldexp_f32 v4, v4, v6
	v_cndmask_b32_e32 v4, 0, v4, vcc
	v_cmp_nlt_f32_e32 vcc, s43, v3
	v_cndmask_b32_e32 v3, v62, v4, vcc
	v_fmac_f32_e32 v44, v12, v3
	v_cvt_f16_f32_e32 v3, v3
	v_add_co_u32_e32 v2, vcc, s6, v25
	v_mul_u32_u24_e32 v64, 0x10001, v3
	v_mov_b32_e32 v3, s7
	v_addc_co_u32_e32 v3, vcc, v3, v26, vcc
	v_add_co_u32_e32 v2, vcc, v2, v36
	v_addc_co_u32_e32 v3, vcc, 0, v3, vcc
	global_load_dwordx4 v[2:5], v[2:3], off
	v_pk_mul_f16 v65, v11, v64
	v_pk_mul_f16 v66, v10, v64
	s_waitcnt vmcnt(0)
	ds_write_b128 v54, v[2:5]
	v_add_co_u32_e32 v2, vcc, s6, v27
	v_mov_b32_e32 v3, s7
	v_addc_co_u32_e32 v3, vcc, v3, v28, vcc
	v_add_co_u32_e32 v2, vcc, v2, v36
	v_addc_co_u32_e32 v3, vcc, 0, v3, vcc
	global_load_dwordx4 v[2:5], v[2:3], off
	s_waitcnt vmcnt(0)
	ds_write_b128 v55, v[2:5]
	v_add_co_u32_e32 v2, vcc, s6, v29
	v_mov_b32_e32 v3, s7
	v_addc_co_u32_e32 v3, vcc, v3, v30, vcc
	v_add_co_u32_e32 v2, vcc, v2, v36
	v_addc_co_u32_e32 v3, vcc, 0, v3, vcc
	global_load_dwordx4 v[2:5], v[2:3], off
	s_waitcnt vmcnt(0)
	ds_write_b128 v56, v[2:5]
	v_add_co_u32_e32 v2, vcc, s6, v31
	v_mov_b32_e32 v3, s7
	v_addc_co_u32_e32 v3, vcc, v3, v32, vcc
	v_add_co_u32_e32 v2, vcc, v2, v36
	v_addc_co_u32_e32 v3, vcc, 0, v3, vcc
	global_load_dwordx4 v[2:5], v[2:3], off
	s_or_b32 s6, s18, 32
	s_mul_hi_i32 s7, s6, s8
	s_mul_i32 s6, s6, s8
	s_lshl_b64 s[6:7], s[6:7], 2
	s_add_u32 s6, s16, s6
	s_addc_u32 s7, s17, s7
	s_waitcnt vmcnt(0)
	ds_write_b128 v57, v[2:5]
	s_waitcnt lgkmcnt(0)
	s_barrier
	ds_read2_b64 v[67:70], v35 offset1:32
	ds_read_b128 v[71:74], v52
	ds_read_b128 v[10:13], v52 offset:16
	ds_read_b128 v[6:9], v52 offset:32
	;; [unrolled: 1-line block ×3, first 2 shown]
	s_waitcnt lgkmcnt(3)
	v_mul_u32_u24_sdwa v75, v71, s45 dst_sel:DWORD dst_unused:UNUSED_PAD src0_sel:WORD_0 src1_sel:DWORD
	v_pk_mul_f16 v67, v67, v75
	v_pk_fma_f16 v37, v37, v64, v67
	v_pk_mul_f16 v67, v68, v75
	v_pk_fma_f16 v38, v38, v64, v67
	v_pk_fma_f16 v68, v69, v75, v65
	v_pk_fma_f16 v69, v70, v75, v66
	ds_read2_b64 v[64:67], v35 offset0:64 offset1:96
	v_mul_u32_u24_sdwa v70, v71, s45 dst_sel:DWORD dst_unused:UNUSED_PAD src0_sel:WORD_1 src1_sel:DWORD
	v_mul_u32_u24_sdwa v71, v73, s45 dst_sel:DWORD dst_unused:UNUSED_PAD src0_sel:WORD_0 src1_sel:DWORD
	s_waitcnt lgkmcnt(0)
	v_pk_fma_f16 v37, v64, v70, v37
	v_pk_fma_f16 v38, v65, v70, v38
	;; [unrolled: 1-line block ×4, first 2 shown]
	ds_read2_b64 v[64:67], v35 offset0:128 offset1:160
	v_mul_u32_u24_sdwa v70, v72, s45 dst_sel:DWORD dst_unused:UNUSED_PAD src0_sel:WORD_0 src1_sel:DWORD
	s_waitcnt lgkmcnt(0)
	v_pk_fma_f16 v37, v64, v70, v37
	v_pk_fma_f16 v38, v65, v70, v38
	;; [unrolled: 1-line block ×4, first 2 shown]
	ds_read2_b64 v[64:67], v35 offset0:192 offset1:224
	v_mul_u32_u24_sdwa v70, v72, s45 dst_sel:DWORD dst_unused:UNUSED_PAD src0_sel:WORD_1 src1_sel:DWORD
	v_mul_u32_u24_sdwa v72, v10, s45 dst_sel:DWORD dst_unused:UNUSED_PAD src0_sel:WORD_0 src1_sel:DWORD
	v_mul_u32_u24_sdwa v10, v10, s45 dst_sel:DWORD dst_unused:UNUSED_PAD src0_sel:WORD_1 src1_sel:DWORD
	s_waitcnt lgkmcnt(0)
	v_pk_fma_f16 v38, v65, v70, v38
	v_add_u32_e32 v65, 0x800, v35
	v_pk_fma_f16 v37, v64, v70, v37
	v_pk_fma_f16 v64, v66, v70, v68
	;; [unrolled: 1-line block ×3, first 2 shown]
	ds_read2_b64 v[66:69], v65 offset1:32
	s_waitcnt lgkmcnt(0)
	v_pk_fma_f16 v37, v66, v71, v37
	v_pk_fma_f16 v38, v67, v71, v38
	;; [unrolled: 1-line block ×4, first 2 shown]
	ds_read2_b64 v[66:69], v65 offset0:64 offset1:96
	v_mul_u32_u24_sdwa v71, v73, s45 dst_sel:DWORD dst_unused:UNUSED_PAD src0_sel:WORD_1 src1_sel:DWORD
	s_waitcnt lgkmcnt(0)
	v_pk_fma_f16 v37, v66, v71, v37
	v_pk_fma_f16 v38, v67, v71, v38
	;; [unrolled: 1-line block ×4, first 2 shown]
	ds_read2_b64 v[66:69], v65 offset0:128 offset1:160
	v_mul_u32_u24_sdwa v71, v74, s45 dst_sel:DWORD dst_unused:UNUSED_PAD src0_sel:WORD_0 src1_sel:DWORD
	s_waitcnt lgkmcnt(0)
	v_pk_fma_f16 v37, v66, v71, v37
	v_pk_fma_f16 v38, v67, v71, v38
	;; [unrolled: 1-line block ×4, first 2 shown]
	ds_read2_b64 v[66:69], v65 offset0:192 offset1:224
	v_mul_u32_u24_sdwa v71, v74, s45 dst_sel:DWORD dst_unused:UNUSED_PAD src0_sel:WORD_1 src1_sel:DWORD
	s_waitcnt lgkmcnt(0)
	v_pk_fma_f16 v37, v66, v71, v37
	v_add_u32_e32 v66, 0x1000, v35
	v_pk_fma_f16 v38, v67, v71, v38
	v_pk_fma_f16 v64, v68, v71, v64
	v_pk_fma_f16 v71, v69, v71, v70
	ds_read2_b64 v[67:70], v66 offset1:32
	s_waitcnt lgkmcnt(0)
	v_pk_fma_f16 v37, v67, v72, v37
	v_pk_fma_f16 v38, v68, v72, v38
	;; [unrolled: 1-line block ×4, first 2 shown]
	ds_read2_b64 v[67:70], v66 offset0:64 offset1:96
	s_waitcnt lgkmcnt(0)
	v_pk_fma_f16 v37, v67, v10, v37
	v_pk_fma_f16 v38, v68, v10, v38
	;; [unrolled: 1-line block ×4, first 2 shown]
	ds_read2_b64 v[67:70], v66 offset0:128 offset1:160
	v_mul_u32_u24_sdwa v71, v11, s45 dst_sel:DWORD dst_unused:UNUSED_PAD src0_sel:WORD_0 src1_sel:DWORD
	v_mul_u32_u24_sdwa v11, v11, s45 dst_sel:DWORD dst_unused:UNUSED_PAD src0_sel:WORD_1 src1_sel:DWORD
	s_waitcnt lgkmcnt(0)
	v_pk_fma_f16 v37, v67, v71, v37
	v_pk_fma_f16 v38, v68, v71, v38
	;; [unrolled: 1-line block ×4, first 2 shown]
	ds_read2_b64 v[67:70], v66 offset0:192 offset1:224
	s_waitcnt lgkmcnt(0)
	v_pk_fma_f16 v37, v67, v11, v37
	v_add_u32_e32 v67, 0x1800, v35
	v_pk_fma_f16 v38, v68, v11, v38
	v_pk_fma_f16 v64, v69, v11, v64
	;; [unrolled: 1-line block ×3, first 2 shown]
	ds_read2_b64 v[68:71], v67 offset1:32
	v_mul_u32_u24_sdwa v11, v12, s45 dst_sel:DWORD dst_unused:UNUSED_PAD src0_sel:WORD_0 src1_sel:DWORD
	s_waitcnt lgkmcnt(0)
	v_pk_fma_f16 v37, v68, v11, v37
	v_pk_fma_f16 v38, v69, v11, v38
	v_pk_fma_f16 v64, v70, v11, v64
	v_pk_fma_f16 v10, v71, v11, v10
	ds_read2_b64 v[68:71], v67 offset0:64 offset1:96
	v_mul_u32_u24_sdwa v11, v12, s45 dst_sel:DWORD dst_unused:UNUSED_PAD src0_sel:WORD_1 src1_sel:DWORD
	s_waitcnt lgkmcnt(0)
	v_pk_fma_f16 v12, v68, v11, v37
	v_pk_fma_f16 v37, v69, v11, v38
	;; [unrolled: 1-line block ×4, first 2 shown]
	ds_read2_b64 v[68:71], v67 offset0:128 offset1:160
	v_mul_u32_u24_sdwa v11, v13, s45 dst_sel:DWORD dst_unused:UNUSED_PAD src0_sel:WORD_0 src1_sel:DWORD
	s_waitcnt lgkmcnt(0)
	v_pk_fma_f16 v12, v68, v11, v12
	v_pk_fma_f16 v37, v69, v11, v37
	;; [unrolled: 1-line block ×4, first 2 shown]
	ds_read2_b64 v[68:71], v67 offset0:192 offset1:224
	v_mul_u32_u24_sdwa v11, v13, s45 dst_sel:DWORD dst_unused:UNUSED_PAD src0_sel:WORD_1 src1_sel:DWORD
	s_waitcnt lgkmcnt(0)
	v_pk_fma_f16 v64, v68, v11, v12
	v_add_u32_e32 v68, 0x2000, v35
	v_pk_fma_f16 v37, v69, v11, v37
	v_pk_fma_f16 v38, v70, v11, v38
	;; [unrolled: 1-line block ×3, first 2 shown]
	ds_read2_b64 v[10:13], v68 offset1:32
	v_mul_u32_u24_sdwa v70, v6, s45 dst_sel:DWORD dst_unused:UNUSED_PAD src0_sel:WORD_0 src1_sel:DWORD
	v_mul_u32_u24_sdwa v6, v6, s45 dst_sel:DWORD dst_unused:UNUSED_PAD src0_sel:WORD_1 src1_sel:DWORD
	s_waitcnt lgkmcnt(0)
	v_pk_fma_f16 v64, v10, v70, v64
	v_pk_fma_f16 v37, v11, v70, v37
	;; [unrolled: 1-line block ×4, first 2 shown]
	ds_read2_b64 v[10:13], v68 offset0:64 offset1:96
	s_waitcnt lgkmcnt(0)
	v_pk_fma_f16 v64, v10, v6, v64
	v_pk_fma_f16 v37, v11, v6, v37
	;; [unrolled: 1-line block ×4, first 2 shown]
	ds_read2_b64 v[10:13], v68 offset0:128 offset1:160
	v_mul_u32_u24_sdwa v69, v7, s45 dst_sel:DWORD dst_unused:UNUSED_PAD src0_sel:WORD_0 src1_sel:DWORD
	v_mul_u32_u24_sdwa v7, v7, s45 dst_sel:DWORD dst_unused:UNUSED_PAD src0_sel:WORD_1 src1_sel:DWORD
	s_waitcnt lgkmcnt(0)
	v_pk_fma_f16 v64, v10, v69, v64
	v_pk_fma_f16 v37, v11, v69, v37
	;; [unrolled: 1-line block ×4, first 2 shown]
	ds_read2_b64 v[10:13], v68 offset0:192 offset1:224
	s_waitcnt lgkmcnt(0)
	v_pk_fma_f16 v69, v10, v7, v64
	v_add_u32_e32 v64, 0x2800, v35
	v_pk_fma_f16 v37, v11, v7, v37
	v_pk_fma_f16 v38, v12, v7, v38
	;; [unrolled: 1-line block ×3, first 2 shown]
	ds_read2_b64 v[10:13], v64 offset1:32
	v_mul_u32_u24_sdwa v7, v8, s45 dst_sel:DWORD dst_unused:UNUSED_PAD src0_sel:WORD_0 src1_sel:DWORD
	s_waitcnt lgkmcnt(0)
	v_pk_fma_f16 v69, v10, v7, v69
	v_pk_fma_f16 v37, v11, v7, v37
	;; [unrolled: 1-line block ×4, first 2 shown]
	ds_read2_b64 v[10:13], v64 offset0:64 offset1:96
	v_mul_u32_u24_sdwa v7, v8, s45 dst_sel:DWORD dst_unused:UNUSED_PAD src0_sel:WORD_1 src1_sel:DWORD
	s_waitcnt lgkmcnt(0)
	v_pk_fma_f16 v8, v10, v7, v69
	v_pk_fma_f16 v37, v11, v7, v37
	;; [unrolled: 1-line block ×4, first 2 shown]
	ds_read2_b64 v[10:13], v64 offset0:128 offset1:160
	v_mul_u32_u24_sdwa v7, v9, s45 dst_sel:DWORD dst_unused:UNUSED_PAD src0_sel:WORD_0 src1_sel:DWORD
	s_waitcnt lgkmcnt(0)
	v_pk_fma_f16 v8, v10, v7, v8
	v_pk_fma_f16 v37, v11, v7, v37
	;; [unrolled: 1-line block ×4, first 2 shown]
	ds_read2_b64 v[10:13], v64 offset0:192 offset1:224
	v_mul_u32_u24_sdwa v7, v9, s45 dst_sel:DWORD dst_unused:UNUSED_PAD src0_sel:WORD_1 src1_sel:DWORD
	s_waitcnt lgkmcnt(0)
	v_pk_fma_f16 v12, v12, v7, v38
	v_add_u32_e32 v38, 0x3000, v35
	v_pk_fma_f16 v10, v10, v7, v8
	v_pk_fma_f16 v11, v11, v7, v37
	;; [unrolled: 1-line block ×3, first 2 shown]
	ds_read2_b64 v[6:9], v38 offset1:32
	v_mul_u32_u24_sdwa v37, v2, s45 dst_sel:DWORD dst_unused:UNUSED_PAD src0_sel:WORD_0 src1_sel:DWORD
	v_mul_u32_u24_sdwa v2, v2, s45 dst_sel:DWORD dst_unused:UNUSED_PAD src0_sel:WORD_1 src1_sel:DWORD
	s_waitcnt lgkmcnt(0)
	v_pk_fma_f16 v10, v6, v37, v10
	v_pk_fma_f16 v11, v7, v37, v11
	v_pk_fma_f16 v12, v8, v37, v12
	v_pk_fma_f16 v13, v9, v37, v13
	ds_read2_b64 v[6:9], v38 offset0:64 offset1:96
	v_add_u32_e32 v37, 0x3800, v35
	s_waitcnt lgkmcnt(0)
	v_pk_fma_f16 v10, v6, v2, v10
	v_pk_fma_f16 v11, v7, v2, v11
	v_pk_fma_f16 v12, v8, v2, v12
	v_pk_fma_f16 v2, v9, v2, v13
	ds_read2_b64 v[6:9], v38 offset0:128 offset1:160
	v_mul_u32_u24_sdwa v13, v3, s45 dst_sel:DWORD dst_unused:UNUSED_PAD src0_sel:WORD_0 src1_sel:DWORD
	v_mul_u32_u24_sdwa v3, v3, s45 dst_sel:DWORD dst_unused:UNUSED_PAD src0_sel:WORD_1 src1_sel:DWORD
	s_waitcnt lgkmcnt(0)
	v_pk_fma_f16 v10, v6, v13, v10
	v_pk_fma_f16 v11, v7, v13, v11
	v_pk_fma_f16 v12, v8, v13, v12
	v_pk_fma_f16 v2, v9, v13, v2
	ds_read2_b64 v[6:9], v38 offset0:192 offset1:224
	s_waitcnt lgkmcnt(0)
	v_pk_fma_f16 v10, v6, v3, v10
	v_pk_fma_f16 v11, v7, v3, v11
	;; [unrolled: 1-line block ×4, first 2 shown]
	ds_read2_b64 v[6:9], v37 offset1:32
	v_mul_u32_u24_sdwa v3, v4, s45 dst_sel:DWORD dst_unused:UNUSED_PAD src0_sel:WORD_0 src1_sel:DWORD
	s_waitcnt lgkmcnt(0)
	v_pk_fma_f16 v10, v6, v3, v10
	v_pk_fma_f16 v11, v7, v3, v11
	;; [unrolled: 1-line block ×4, first 2 shown]
	ds_read2_b64 v[6:9], v37 offset0:64 offset1:96
	v_mul_u32_u24_sdwa v3, v4, s45 dst_sel:DWORD dst_unused:UNUSED_PAD src0_sel:WORD_1 src1_sel:DWORD
	s_waitcnt lgkmcnt(0)
	v_pk_fma_f16 v4, v6, v3, v10
	v_pk_fma_f16 v10, v7, v3, v11
	;; [unrolled: 1-line block ×4, first 2 shown]
	ds_read2_b64 v[6:9], v37 offset0:128 offset1:160
	v_mul_u32_u24_sdwa v3, v5, s45 dst_sel:DWORD dst_unused:UNUSED_PAD src0_sel:WORD_0 src1_sel:DWORD
	s_waitcnt lgkmcnt(0)
	v_pk_fma_f16 v4, v6, v3, v4
	v_pk_fma_f16 v10, v7, v3, v10
	;; [unrolled: 1-line block ×4, first 2 shown]
	ds_read2_b64 v[6:9], v37 offset0:192 offset1:224
	v_mul_u32_u24_sdwa v3, v5, s45 dst_sel:DWORD dst_unused:UNUSED_PAD src0_sel:WORD_1 src1_sel:DWORD
	s_waitcnt lgkmcnt(0)
	s_barrier
	v_pk_fma_f16 v77, v6, v3, v4
	v_pk_fma_f16 v78, v7, v3, v10
	;; [unrolled: 1-line block ×4, first 2 shown]
	v_add_co_u32_e32 v2, vcc, s6, v25
	v_mov_b32_e32 v3, s7
	v_addc_co_u32_e32 v3, vcc, v3, v26, vcc
	v_add_co_u32_e32 v2, vcc, v2, v36
	v_addc_co_u32_e32 v3, vcc, 0, v3, vcc
	global_load_dwordx4 v[2:5], v[2:3], off
	s_waitcnt vmcnt(0)
	ds_write_b128 v54, v[2:5]
	v_add_co_u32_e32 v2, vcc, s6, v27
	v_mov_b32_e32 v3, s7
	v_addc_co_u32_e32 v3, vcc, v3, v28, vcc
	v_add_co_u32_e32 v2, vcc, v2, v36
	v_addc_co_u32_e32 v3, vcc, 0, v3, vcc
	global_load_dwordx4 v[2:5], v[2:3], off
	s_waitcnt vmcnt(0)
	ds_write_b128 v55, v[2:5]
	;; [unrolled: 8-line block ×4, first 2 shown]
	s_waitcnt lgkmcnt(0)
	s_barrier
	ds_read2_b64 v[69:72], v35 offset1:32
	ds_read_b128 v[73:76], v52 offset:64
	ds_read_b128 v[10:13], v52 offset:80
	;; [unrolled: 1-line block ×4, first 2 shown]
	s_waitcnt lgkmcnt(3)
	v_mul_u32_u24_sdwa v81, v73, s45 dst_sel:DWORD dst_unused:UNUSED_PAD src0_sel:WORD_0 src1_sel:DWORD
	v_pk_fma_f16 v77, v69, v81, v77
	v_pk_fma_f16 v78, v70, v81, v78
	;; [unrolled: 1-line block ×4, first 2 shown]
	ds_read2_b64 v[69:72], v35 offset0:64 offset1:96
	v_mul_u32_u24_sdwa v73, v73, s45 dst_sel:DWORD dst_unused:UNUSED_PAD src0_sel:WORD_1 src1_sel:DWORD
	s_waitcnt lgkmcnt(0)
	v_pk_fma_f16 v77, v69, v73, v77
	v_pk_fma_f16 v78, v70, v73, v78
	;; [unrolled: 1-line block ×4, first 2 shown]
	ds_read2_b64 v[69:72], v35 offset0:128 offset1:160
	v_mul_u32_u24_sdwa v80, v74, s45 dst_sel:DWORD dst_unused:UNUSED_PAD src0_sel:WORD_0 src1_sel:DWORD
	v_mul_u32_u24_sdwa v74, v74, s45 dst_sel:DWORD dst_unused:UNUSED_PAD src0_sel:WORD_1 src1_sel:DWORD
	s_waitcnt lgkmcnt(0)
	v_pk_fma_f16 v77, v69, v80, v77
	v_pk_fma_f16 v78, v70, v80, v78
	;; [unrolled: 1-line block ×4, first 2 shown]
	ds_read2_b64 v[69:72], v35 offset0:192 offset1:224
	s_waitcnt lgkmcnt(0)
	v_pk_fma_f16 v77, v69, v74, v77
	v_pk_fma_f16 v78, v70, v74, v78
	;; [unrolled: 1-line block ×4, first 2 shown]
	ds_read2_b64 v[69:72], v65 offset1:32
	v_mul_u32_u24_sdwa v74, v75, s45 dst_sel:DWORD dst_unused:UNUSED_PAD src0_sel:WORD_0 src1_sel:DWORD
	s_waitcnt lgkmcnt(0)
	v_pk_fma_f16 v77, v69, v74, v77
	v_pk_fma_f16 v78, v70, v74, v78
	;; [unrolled: 1-line block ×4, first 2 shown]
	ds_read2_b64 v[69:72], v65 offset0:64 offset1:96
	v_mul_u32_u24_sdwa v74, v75, s45 dst_sel:DWORD dst_unused:UNUSED_PAD src0_sel:WORD_1 src1_sel:DWORD
	s_waitcnt lgkmcnt(0)
	v_pk_fma_f16 v75, v69, v74, v77
	v_pk_fma_f16 v77, v70, v74, v78
	;; [unrolled: 1-line block ×4, first 2 shown]
	ds_read2_b64 v[69:72], v65 offset0:128 offset1:160
	v_mul_u32_u24_sdwa v74, v76, s45 dst_sel:DWORD dst_unused:UNUSED_PAD src0_sel:WORD_0 src1_sel:DWORD
	s_waitcnt lgkmcnt(0)
	v_pk_fma_f16 v75, v69, v74, v75
	v_pk_fma_f16 v77, v70, v74, v77
	;; [unrolled: 1-line block ×4, first 2 shown]
	ds_read2_b64 v[69:72], v65 offset0:192 offset1:224
	v_mul_u32_u24_sdwa v65, v76, s45 dst_sel:DWORD dst_unused:UNUSED_PAD src0_sel:WORD_1 src1_sel:DWORD
	s_waitcnt lgkmcnt(0)
	v_pk_fma_f16 v74, v69, v65, v75
	v_pk_fma_f16 v75, v70, v65, v77
	;; [unrolled: 1-line block ×4, first 2 shown]
	ds_read2_b64 v[69:72], v66 offset1:32
	v_mul_u32_u24_sdwa v73, v10, s45 dst_sel:DWORD dst_unused:UNUSED_PAD src0_sel:WORD_0 src1_sel:DWORD
	v_mul_u32_u24_sdwa v10, v10, s45 dst_sel:DWORD dst_unused:UNUSED_PAD src0_sel:WORD_1 src1_sel:DWORD
	s_waitcnt lgkmcnt(0)
	v_pk_fma_f16 v74, v69, v73, v74
	v_pk_fma_f16 v75, v70, v73, v75
	;; [unrolled: 1-line block ×4, first 2 shown]
	ds_read2_b64 v[69:72], v66 offset0:64 offset1:96
	s_waitcnt lgkmcnt(0)
	v_pk_fma_f16 v73, v69, v10, v74
	v_pk_fma_f16 v74, v70, v10, v75
	;; [unrolled: 1-line block ×4, first 2 shown]
	ds_read2_b64 v[69:72], v66 offset0:128 offset1:160
	v_mul_u32_u24_sdwa v65, v11, s45 dst_sel:DWORD dst_unused:UNUSED_PAD src0_sel:WORD_0 src1_sel:DWORD
	v_mul_u32_u24_sdwa v11, v11, s45 dst_sel:DWORD dst_unused:UNUSED_PAD src0_sel:WORD_1 src1_sel:DWORD
	s_waitcnt lgkmcnt(0)
	v_pk_fma_f16 v73, v69, v65, v73
	v_pk_fma_f16 v74, v70, v65, v74
	;; [unrolled: 1-line block ×4, first 2 shown]
	ds_read2_b64 v[69:72], v66 offset0:192 offset1:224
	s_waitcnt lgkmcnt(0)
	v_pk_fma_f16 v65, v69, v11, v73
	v_pk_fma_f16 v66, v70, v11, v74
	;; [unrolled: 1-line block ×4, first 2 shown]
	ds_read2_b64 v[69:72], v67 offset1:32
	v_mul_u32_u24_sdwa v11, v12, s45 dst_sel:DWORD dst_unused:UNUSED_PAD src0_sel:WORD_0 src1_sel:DWORD
	s_waitcnt lgkmcnt(0)
	v_pk_fma_f16 v65, v69, v11, v65
	v_pk_fma_f16 v66, v70, v11, v66
	;; [unrolled: 1-line block ×4, first 2 shown]
	ds_read2_b64 v[69:72], v67 offset0:64 offset1:96
	v_mul_u32_u24_sdwa v11, v12, s45 dst_sel:DWORD dst_unused:UNUSED_PAD src0_sel:WORD_1 src1_sel:DWORD
	s_waitcnt lgkmcnt(0)
	v_pk_fma_f16 v12, v69, v11, v65
	v_pk_fma_f16 v65, v70, v11, v66
	;; [unrolled: 1-line block ×4, first 2 shown]
	ds_read2_b64 v[69:72], v67 offset0:128 offset1:160
	v_mul_u32_u24_sdwa v11, v13, s45 dst_sel:DWORD dst_unused:UNUSED_PAD src0_sel:WORD_0 src1_sel:DWORD
	s_waitcnt lgkmcnt(0)
	v_pk_fma_f16 v12, v69, v11, v12
	v_pk_fma_f16 v65, v70, v11, v65
	;; [unrolled: 1-line block ×4, first 2 shown]
	ds_read2_b64 v[69:72], v67 offset0:192 offset1:224
	v_mul_u32_u24_sdwa v11, v13, s45 dst_sel:DWORD dst_unused:UNUSED_PAD src0_sel:WORD_1 src1_sel:DWORD
	s_waitcnt lgkmcnt(0)
	v_pk_fma_f16 v67, v69, v11, v12
	v_pk_fma_f16 v65, v70, v11, v65
	;; [unrolled: 1-line block ×4, first 2 shown]
	ds_read2_b64 v[10:13], v68 offset1:32
	v_mul_u32_u24_sdwa v70, v6, s45 dst_sel:DWORD dst_unused:UNUSED_PAD src0_sel:WORD_0 src1_sel:DWORD
	v_mul_u32_u24_sdwa v6, v6, s45 dst_sel:DWORD dst_unused:UNUSED_PAD src0_sel:WORD_1 src1_sel:DWORD
	s_waitcnt lgkmcnt(0)
	v_pk_fma_f16 v67, v10, v70, v67
	v_pk_fma_f16 v65, v11, v70, v65
	;; [unrolled: 1-line block ×4, first 2 shown]
	ds_read2_b64 v[10:13], v68 offset0:64 offset1:96
	s_waitcnt lgkmcnt(0)
	v_pk_fma_f16 v67, v10, v6, v67
	v_pk_fma_f16 v65, v11, v6, v65
	;; [unrolled: 1-line block ×4, first 2 shown]
	ds_read2_b64 v[10:13], v68 offset0:128 offset1:160
	v_mul_u32_u24_sdwa v69, v7, s45 dst_sel:DWORD dst_unused:UNUSED_PAD src0_sel:WORD_0 src1_sel:DWORD
	v_mul_u32_u24_sdwa v7, v7, s45 dst_sel:DWORD dst_unused:UNUSED_PAD src0_sel:WORD_1 src1_sel:DWORD
	s_waitcnt lgkmcnt(0)
	v_pk_fma_f16 v67, v10, v69, v67
	v_pk_fma_f16 v65, v11, v69, v65
	;; [unrolled: 1-line block ×4, first 2 shown]
	ds_read2_b64 v[10:13], v68 offset0:192 offset1:224
	s_waitcnt lgkmcnt(0)
	v_pk_fma_f16 v67, v10, v7, v67
	v_pk_fma_f16 v65, v11, v7, v65
	;; [unrolled: 1-line block ×4, first 2 shown]
	ds_read2_b64 v[10:13], v64 offset1:32
	v_mul_u32_u24_sdwa v7, v8, s45 dst_sel:DWORD dst_unused:UNUSED_PAD src0_sel:WORD_0 src1_sel:DWORD
	s_waitcnt lgkmcnt(0)
	v_pk_fma_f16 v67, v10, v7, v67
	v_pk_fma_f16 v65, v11, v7, v65
	;; [unrolled: 1-line block ×4, first 2 shown]
	ds_read2_b64 v[10:13], v64 offset0:64 offset1:96
	v_mul_u32_u24_sdwa v7, v8, s45 dst_sel:DWORD dst_unused:UNUSED_PAD src0_sel:WORD_1 src1_sel:DWORD
	s_waitcnt lgkmcnt(0)
	v_pk_fma_f16 v8, v10, v7, v67
	v_pk_fma_f16 v65, v11, v7, v65
	;; [unrolled: 1-line block ×4, first 2 shown]
	ds_read2_b64 v[10:13], v64 offset0:128 offset1:160
	v_mul_u32_u24_sdwa v7, v9, s45 dst_sel:DWORD dst_unused:UNUSED_PAD src0_sel:WORD_0 src1_sel:DWORD
	s_waitcnt lgkmcnt(0)
	v_pk_fma_f16 v8, v10, v7, v8
	v_pk_fma_f16 v65, v11, v7, v65
	v_pk_fma_f16 v66, v12, v7, v66
	v_pk_fma_f16 v6, v13, v7, v6
	ds_read2_b64 v[10:13], v64 offset0:192 offset1:224
	v_mul_u32_u24_sdwa v7, v9, s45 dst_sel:DWORD dst_unused:UNUSED_PAD src0_sel:WORD_1 src1_sel:DWORD
	v_mul_u32_u24_sdwa v64, v2, s45 dst_sel:DWORD dst_unused:UNUSED_PAD src0_sel:WORD_0 src1_sel:DWORD
	v_mul_u32_u24_sdwa v2, v2, s45 dst_sel:DWORD dst_unused:UNUSED_PAD src0_sel:WORD_1 src1_sel:DWORD
	s_waitcnt lgkmcnt(0)
	v_pk_fma_f16 v10, v10, v7, v8
	v_pk_fma_f16 v11, v11, v7, v65
	;; [unrolled: 1-line block ×4, first 2 shown]
	ds_read2_b64 v[6:9], v38 offset1:32
	s_waitcnt lgkmcnt(0)
	v_pk_fma_f16 v10, v6, v64, v10
	v_pk_fma_f16 v11, v7, v64, v11
	;; [unrolled: 1-line block ×4, first 2 shown]
	ds_read2_b64 v[6:9], v38 offset0:64 offset1:96
	s_waitcnt lgkmcnt(0)
	v_pk_fma_f16 v10, v6, v2, v10
	v_pk_fma_f16 v11, v7, v2, v11
	v_pk_fma_f16 v12, v8, v2, v12
	v_pk_fma_f16 v2, v9, v2, v13
	ds_read2_b64 v[6:9], v38 offset0:128 offset1:160
	v_mul_u32_u24_sdwa v13, v3, s45 dst_sel:DWORD dst_unused:UNUSED_PAD src0_sel:WORD_0 src1_sel:DWORD
	v_mul_u32_u24_sdwa v3, v3, s45 dst_sel:DWORD dst_unused:UNUSED_PAD src0_sel:WORD_1 src1_sel:DWORD
	s_waitcnt lgkmcnt(0)
	v_pk_fma_f16 v10, v6, v13, v10
	v_pk_fma_f16 v11, v7, v13, v11
	;; [unrolled: 1-line block ×4, first 2 shown]
	ds_read2_b64 v[6:9], v38 offset0:192 offset1:224
	s_waitcnt lgkmcnt(0)
	v_pk_fma_f16 v10, v6, v3, v10
	v_pk_fma_f16 v11, v7, v3, v11
	;; [unrolled: 1-line block ×4, first 2 shown]
	ds_read2_b64 v[6:9], v37 offset1:32
	v_mul_u32_u24_sdwa v3, v4, s45 dst_sel:DWORD dst_unused:UNUSED_PAD src0_sel:WORD_0 src1_sel:DWORD
	s_waitcnt lgkmcnt(0)
	v_pk_fma_f16 v10, v6, v3, v10
	v_pk_fma_f16 v11, v7, v3, v11
	;; [unrolled: 1-line block ×4, first 2 shown]
	ds_read2_b64 v[6:9], v37 offset0:64 offset1:96
	v_mul_u32_u24_sdwa v3, v4, s45 dst_sel:DWORD dst_unused:UNUSED_PAD src0_sel:WORD_1 src1_sel:DWORD
	s_waitcnt lgkmcnt(0)
	v_pk_fma_f16 v4, v6, v3, v10
	v_pk_fma_f16 v10, v7, v3, v11
	;; [unrolled: 1-line block ×4, first 2 shown]
	ds_read2_b64 v[6:9], v37 offset0:128 offset1:160
	v_mul_u32_u24_sdwa v3, v5, s45 dst_sel:DWORD dst_unused:UNUSED_PAD src0_sel:WORD_0 src1_sel:DWORD
	s_waitcnt lgkmcnt(0)
	v_pk_fma_f16 v4, v6, v3, v4
	v_pk_fma_f16 v10, v7, v3, v10
	;; [unrolled: 1-line block ×4, first 2 shown]
	ds_read2_b64 v[6:9], v37 offset0:192 offset1:224
	s_waitcnt lgkmcnt(0)
	s_barrier
	s_load_dword s6, s[12:13], 0x4
	v_mul_u32_u24_sdwa v3, v5, s45 dst_sel:DWORD dst_unused:UNUSED_PAD src0_sel:WORD_1 src1_sel:DWORD
	v_pk_fma_f16 v37, v6, v3, v4
	v_pk_fma_f16 v38, v7, v3, v10
	;; [unrolled: 1-line block ×3, first 2 shown]
	s_waitcnt lgkmcnt(0)
	s_lshl_b32 s6, s6, 6
	s_add_i32 s18, s6, s18
	v_pk_fma_f16 v10, v9, v3, v2
	s_cmp_lt_i32 s18, s36
	s_cbranch_scc0 .LBB72_24
; %bb.21:                               ;   in Loop: Header=BB72_8 Depth=1
	v_mov_b32_e32 v13, v15
	v_mov_b32_e32 v12, v44
	s_branch .LBB72_8
.LBB72_22:                              ;   in Loop: Header=BB72_8 Depth=1
	v_mov_b32_e32 v4, 0
	v_cmp_nlt_f32_e64 s[14:15], |v44|, s37
                                        ; implicit-def: $vgpr6
	s_and_saveexec_b64 s[46:47], s[14:15]
	s_xor_b64 s[14:15], exec, s[46:47]
	s_cbranch_execz .LBB72_15
	s_branch .LBB72_14
.LBB72_23:
	v_mov_b32_e32 v37, 0
	v_mov_b32_e32 v15, 0xfeffffff
	;; [unrolled: 1-line block ×5, first 2 shown]
.LBB72_24:
	s_cmp_gt_i32 s42, s18
	s_cbranch_scc1 .LBB72_26
; %bb.25:
	v_mbcnt_hi_u32_b32 v22, -1, v41
	v_and_b32_e32 v2, 0x60, v22
	v_add_u32_e32 v23, 32, v2
	v_xor_b32_e32 v28, 16, v22
	v_xor_b32_e32 v27, 8, v22
	;; [unrolled: 1-line block ×5, first 2 shown]
	s_cbranch_execz .LBB72_27
	s_branch .LBB72_46
.LBB72_26:
                                        ; implicit-def: $vgpr22
                                        ; implicit-def: $vgpr23
                                        ; implicit-def: $vgpr28
                                        ; implicit-def: $vgpr27
                                        ; implicit-def: $vgpr26
                                        ; implicit-def: $vgpr25
                                        ; implicit-def: $vgpr24
.LBB72_27:
	v_lshl_add_u32 v25, v1, 1, v46
	v_mul_lo_u32 v2, s23, v25
	s_mul_hi_i32 s11, s18, s23
	s_mul_i32 s10, s18, s23
	s_sub_i32 s36, s42, s18
	s_lshl_b64 s[10:11], s[10:11], 2
	v_ashrrev_i32_e32 v3, 31, v2
	s_add_u32 s14, s28, s10
	v_lshlrev_b64 v[3:4], 2, v[2:3]
	s_addc_u32 s15, s29, s11
	v_mov_b32_e32 v6, s15
	v_add_co_u32_e32 v3, vcc, s14, v3
	v_lshlrev_b32_e32 v26, 2, v45
	v_addc_co_u32_e32 v4, vcc, v6, v4, vcc
	v_add_co_u32_e32 v13, vcc, v3, v26
	s_mov_b64 s[6:7], src_private_base
	v_addc_co_u32_e32 v16, vcc, 0, v4, vcc
	v_mov_b32_e32 v5, 0
	v_mov_b32_e32 v7, s7
	v_cmp_gt_i32_e32 vcc, s36, v25
	v_mov_b32_e32 v8, 0
	buffer_store_dword v5, off, s[0:3], 0
	buffer_store_dword v5, off, s[0:3], 0 offset:4
	buffer_store_dword v5, off, s[0:3], 0 offset:8
	;; [unrolled: 1-line block ×3, first 2 shown]
	v_cndmask_b32_e32 v4, v7, v16, vcc
	v_cndmask_b32_e32 v3, v8, v13, vcc
	flat_load_dwordx4 v[17:20], v[3:4]
	s_lshl_b32 s23, s23, 4
	v_add_u32_e32 v2, s23, v2
	v_ashrrev_i32_e32 v3, 31, v2
	v_lshlrev_b64 v[3:4], 2, v[2:3]
	s_movk_i32 s6, 0x110
	v_mad_u32_u24 v6, v25, s6, v26
	v_mov_b32_e32 v9, s15
	v_add_co_u32_e64 v3, s[6:7], s14, v3
	v_addc_co_u32_e64 v4, s[6:7], v9, v4, s[6:7]
	v_add_co_u32_e64 v9, s[6:7], v3, v26
	v_add_u32_e32 v21, 16, v25
	v_addc_co_u32_e64 v12, s[6:7], 0, v4, s[6:7]
	v_cmp_gt_i32_e64 s[6:7], s36, v21
	buffer_store_dword v5, off, s[0:3], 0
	buffer_store_dword v5, off, s[0:3], 0 offset:4
	buffer_store_dword v5, off, s[0:3], 0 offset:8
	;; [unrolled: 1-line block ×3, first 2 shown]
	v_cndmask_b32_e64 v4, v7, v12, s[6:7]
	v_cndmask_b32_e64 v3, v8, v9, s[6:7]
	v_add_u32_e32 v2, s23, v2
	v_add_u32_e32 v23, 32, v25
	v_cmp_gt_i32_e64 s[12:13], s36, v23
	s_waitcnt vmcnt(0) lgkmcnt(0)
	ds_write_b128 v6, v[17:20]
	flat_load_dwordx4 v[19:22], v[3:4]
	v_ashrrev_i32_e32 v3, 31, v2
	v_lshlrev_b64 v[3:4], 2, v[2:3]
	v_mov_b32_e32 v17, s15
	v_add_co_u32_e64 v3, s[10:11], s14, v3
	v_addc_co_u32_e64 v4, s[10:11], v17, v4, s[10:11]
	v_add_co_u32_e64 v17, s[10:11], v3, v26
	v_addc_co_u32_e64 v18, s[10:11], 0, v4, s[10:11]
	v_cndmask_b32_e64 v4, v7, v18, s[12:13]
	v_cndmask_b32_e64 v3, v8, v17, s[12:13]
	buffer_store_dword v5, off, s[0:3], 0
	buffer_store_dword v5, off, s[0:3], 0 offset:4
	buffer_store_dword v5, off, s[0:3], 0 offset:8
	;; [unrolled: 1-line block ×3, first 2 shown]
	v_add_u32_e32 v2, s23, v2
	s_movk_i32 s23, 0x100
	s_waitcnt vmcnt(0) lgkmcnt(0)
	ds_write_b128 v6, v[19:22] offset:4352
	flat_load_dwordx4 v[21:24], v[3:4]
	v_ashrrev_i32_e32 v3, 31, v2
	v_lshlrev_b64 v[2:3], 2, v[2:3]
	v_mov_b32_e32 v19, s15
	v_add_co_u32_e64 v2, s[10:11], s14, v2
	v_addc_co_u32_e64 v3, s[10:11], v19, v3, s[10:11]
	v_add_co_u32_e64 v19, s[10:11], v2, v26
	v_add_u32_e32 v4, 48, v25
	v_addc_co_u32_e64 v20, s[10:11], 0, v3, s[10:11]
	v_cmp_gt_i32_e64 s[10:11], s36, v4
	v_cndmask_b32_e64 v3, v7, v20, s[10:11]
	v_cndmask_b32_e64 v2, v8, v19, s[10:11]
	buffer_store_dword v5, off, s[0:3], 0
	buffer_store_dword v5, off, s[0:3], 0 offset:4
	buffer_store_dword v5, off, s[0:3], 0 offset:8
	;; [unrolled: 1-line block ×3, first 2 shown]
	v_mul_u32_u24_e32 v4, 0x110, v0
	v_add_co_u32_e64 v13, s[14:15], s23, v13
	v_addc_co_u32_e64 v16, s[14:15], 0, v16, s[14:15]
	v_cndmask_b32_e32 v46, v7, v16, vcc
	v_cndmask_b32_e32 v45, v8, v13, vcc
	v_add_co_u32_e32 v9, vcc, s23, v9
	v_addc_co_u32_e32 v12, vcc, 0, v12, vcc
	v_cndmask_b32_e64 v13, v7, v12, s[6:7]
	v_cndmask_b32_e64 v12, v8, v9, s[6:7]
	v_add_co_u32_e32 v9, vcc, s23, v17
	s_mov_b32 s6, 0x3f200000
	s_waitcnt vmcnt(0) lgkmcnt(0)
	ds_write_b128 v6, v[21:24] offset:8704
	flat_load_dwordx4 v[21:24], v[2:3]
	v_mov_b32_e32 v3, 0
	v_mov_b32_e32 v2, 0
	s_waitcnt vmcnt(0) lgkmcnt(0)
	ds_write_b128 v6, v[21:24] offset:13056
	s_waitcnt lgkmcnt(0)
	s_barrier
	ds_read_b128 v[21:24], v4
	ds_read_b128 v[25:28], v43
	ds_read_b128 v[29:32], v4 offset:8704
	s_waitcnt lgkmcnt(1)
	;;#ASMSTART
	v_dot2_f32_f16 v3, v21, v25, v3
	;;#ASMEND
	;;#ASMSTART
	v_dot2_f32_f16 v3, v22, v26, v3
	;;#ASMEND
	;;#ASMSTART
	v_dot2_f32_f16 v3, v23, v27, v3
	;;#ASMEND
	;;#ASMSTART
	v_dot2_f32_f16 v3, v24, v28, v3
	;;#ASMEND
	s_waitcnt lgkmcnt(0)
	;;#ASMSTART
	v_dot2_f32_f16 v2, v29, v25, v2
	;;#ASMEND
	;;#ASMSTART
	v_dot2_f32_f16 v2, v30, v26, v2
	;;#ASMEND
	;;#ASMSTART
	v_dot2_f32_f16 v2, v31, v27, v2
	;;#ASMEND
	;;#ASMSTART
	v_dot2_f32_f16 v2, v32, v28, v2
	;;#ASMEND
	ds_read_b128 v[21:24], v4 offset:16
	ds_read_b128 v[25:28], v43 offset:16
	ds_read_b128 v[29:32], v4 offset:8720
	s_waitcnt lgkmcnt(1)
	;;#ASMSTART
	v_dot2_f32_f16 v3, v21, v25, v3
	;;#ASMEND
	;;#ASMSTART
	v_dot2_f32_f16 v3, v22, v26, v3
	;;#ASMEND
	;;#ASMSTART
	v_dot2_f32_f16 v3, v23, v27, v3
	;;#ASMEND
	;;#ASMSTART
	v_dot2_f32_f16 v3, v24, v28, v3
	;;#ASMEND
	s_waitcnt lgkmcnt(0)
	;;#ASMSTART
	v_dot2_f32_f16 v2, v29, v25, v2
	;;#ASMEND
	;;#ASMSTART
	v_dot2_f32_f16 v2, v30, v26, v2
	;;#ASMEND
	;;#ASMSTART
	v_dot2_f32_f16 v2, v31, v27, v2
	;;#ASMEND
	;;#ASMSTART
	v_dot2_f32_f16 v2, v32, v28, v2
	;;#ASMEND
	ds_read_b128 v[21:24], v4 offset:32
	ds_read_b128 v[25:28], v43 offset:32
	;; [unrolled: 29-line block ×15, first 2 shown]
	ds_read_b128 v[29:32], v4 offset:8944
	s_waitcnt lgkmcnt(1)
	;;#ASMSTART
	v_dot2_f32_f16 v3, v21, v25, v3
	;;#ASMEND
	;;#ASMSTART
	v_dot2_f32_f16 v3, v22, v26, v3
	;;#ASMEND
	;; [unrolled: 3-line block ×4, first 2 shown]
	s_waitcnt lgkmcnt(0)
	;;#ASMSTART
	v_dot2_f32_f16 v2, v29, v25, v2
	;;#ASMEND
	;;#ASMSTART
	v_dot2_f32_f16 v2, v30, v26, v2
	;;#ASMEND
	;; [unrolled: 3-line block ×4, first 2 shown]
	s_barrier
	buffer_store_dword v5, off, s[0:3], 0
	buffer_store_dword v5, off, s[0:3], 0 offset:4
	buffer_store_dword v5, off, s[0:3], 0 offset:8
	;; [unrolled: 1-line block ×3, first 2 shown]
	flat_load_dwordx4 v[21:24], v[45:46]
	s_nop 0
	buffer_store_dword v5, off, s[0:3], 0
	buffer_store_dword v5, off, s[0:3], 0 offset:4
	buffer_store_dword v5, off, s[0:3], 0 offset:8
	;; [unrolled: 1-line block ×3, first 2 shown]
	s_waitcnt vmcnt(0) lgkmcnt(0)
	ds_write_b128 v6, v[21:24]
	flat_load_dwordx4 v[21:24], v[12:13]
	v_addc_co_u32_e32 v12, vcc, 0, v18, vcc
	v_cndmask_b32_e64 v13, v7, v12, s[12:13]
	v_cndmask_b32_e64 v12, v8, v9, s[12:13]
	buffer_store_dword v5, off, s[0:3], 0
	buffer_store_dword v5, off, s[0:3], 0 offset:4
	buffer_store_dword v5, off, s[0:3], 0 offset:8
	;; [unrolled: 1-line block ×3, first 2 shown]
	s_waitcnt vmcnt(0) lgkmcnt(0)
	ds_write_b128 v6, v[21:24] offset:4352
	flat_load_dwordx4 v[21:24], v[12:13]
	v_add_co_u32_e32 v12, vcc, s23, v19
	v_addc_co_u32_e32 v9, vcc, 0, v20, vcc
	v_cndmask_b32_e64 v9, v7, v9, s[10:11]
	v_cndmask_b32_e64 v8, v8, v12, s[10:11]
	buffer_store_dword v5, off, s[0:3], 0
	buffer_store_dword v5, off, s[0:3], 0 offset:4
	buffer_store_dword v5, off, s[0:3], 0 offset:8
	buffer_store_dword v5, off, s[0:3], 0 offset:12
	s_waitcnt vmcnt(0) lgkmcnt(0)
	ds_write_b128 v6, v[21:24] offset:8704
	flat_load_dwordx4 v[16:19], v[8:9]
	s_waitcnt vmcnt(0) lgkmcnt(0)
	ds_write_b128 v6, v[16:19] offset:13056
	s_waitcnt lgkmcnt(0)
	s_barrier
	ds_read_b128 v[5:8], v4
	ds_read_b128 v[16:19], v43 offset:256
	ds_read_b128 v[20:23], v4 offset:8704
	s_waitcnt lgkmcnt(1)
	;;#ASMSTART
	v_dot2_f32_f16 v3, v5, v16, v3
	;;#ASMEND
	;;#ASMSTART
	v_dot2_f32_f16 v3, v6, v17, v3
	;;#ASMEND
	;;#ASMSTART
	v_dot2_f32_f16 v3, v7, v18, v3
	;;#ASMEND
	;;#ASMSTART
	v_dot2_f32_f16 v3, v8, v19, v3
	;;#ASMEND
	s_waitcnt lgkmcnt(0)
	;;#ASMSTART
	v_dot2_f32_f16 v2, v20, v16, v2
	;;#ASMEND
	;;#ASMSTART
	v_dot2_f32_f16 v2, v21, v17, v2
	;;#ASMEND
	;;#ASMSTART
	v_dot2_f32_f16 v2, v22, v18, v2
	;;#ASMEND
	;;#ASMSTART
	v_dot2_f32_f16 v2, v23, v19, v2
	;;#ASMEND
	ds_read_b128 v[5:8], v4 offset:16
	ds_read_b128 v[16:19], v43 offset:272
	ds_read_b128 v[20:23], v4 offset:8720
	s_waitcnt lgkmcnt(1)
	;;#ASMSTART
	v_dot2_f32_f16 v3, v5, v16, v3
	;;#ASMEND
	;;#ASMSTART
	v_dot2_f32_f16 v3, v6, v17, v3
	;;#ASMEND
	;;#ASMSTART
	v_dot2_f32_f16 v3, v7, v18, v3
	;;#ASMEND
	;;#ASMSTART
	v_dot2_f32_f16 v3, v8, v19, v3
	;;#ASMEND
	s_waitcnt lgkmcnt(0)
	;;#ASMSTART
	v_dot2_f32_f16 v2, v20, v16, v2
	;;#ASMEND
	;;#ASMSTART
	v_dot2_f32_f16 v2, v21, v17, v2
	;;#ASMEND
	;;#ASMSTART
	v_dot2_f32_f16 v2, v22, v18, v2
	;;#ASMEND
	;;#ASMSTART
	v_dot2_f32_f16 v2, v23, v19, v2
	;;#ASMEND
	ds_read_b128 v[5:8], v4 offset:32
	;; [unrolled: 29-line block ×15, first 2 shown]
	ds_read_b128 v[16:19], v43 offset:496
	ds_read_b128 v[20:23], v4 offset:8944
	s_waitcnt lgkmcnt(1)
	;;#ASMSTART
	v_dot2_f32_f16 v3, v5, v16, v3
	;;#ASMEND
	;;#ASMSTART
	v_dot2_f32_f16 v3, v6, v17, v3
	;;#ASMEND
	;; [unrolled: 3-line block ×4, first 2 shown]
	s_waitcnt lgkmcnt(0)
	;;#ASMSTART
	v_dot2_f32_f16 v2, v20, v16, v2
	;;#ASMEND
	;;#ASMSTART
	v_dot2_f32_f16 v2, v21, v17, v2
	;;#ASMEND
	;; [unrolled: 3-line block ×3, first 2 shown]
	v_cmp_nlt_f32_e64 s[6:7], |v3|, s6
	;;#ASMSTART
	v_dot2_f32_f16 v2, v23, v19, v2
	;;#ASMEND
                                        ; implicit-def: $vgpr4
	s_and_saveexec_b64 s[10:11], s[6:7]
	s_xor_b64 s[6:7], exec, s[10:11]
	s_cbranch_execz .LBB72_29
; %bb.28:
	v_add_f32_e64 v4, |v3|, |v3|
	v_mul_f32_e32 v5, 0x3fb8aa3b, v4
	s_mov_b32 s10, 0x3fb8aa3b
	v_rndne_f32_e32 v6, v5
	v_sub_f32_e32 v7, v5, v6
	v_fma_f32 v5, v4, s10, -v5
	v_fmac_f32_e32 v5, 0x32a5705f, v4
	v_add_f32_e32 v5, v7, v5
	v_exp_f32_e32 v5, v5
	v_cvt_i32_f32_e32 v6, v6
	s_mov_b32 s10, 0xc2ce8ed0
	v_cmp_ngt_f32_e32 vcc, s10, v4
	s_mov_b32 s10, 0x42b17218
	v_ldexp_f32 v5, v5, v6
	v_cndmask_b32_e32 v5, 0, v5, vcc
	v_mov_b32_e32 v6, 0x7f800000
	v_cmp_nlt_f32_e32 vcc, s10, v4
	v_cndmask_b32_e32 v4, v6, v5, vcc
	v_add_f32_e32 v4, 1.0, v4
	v_rcp_f32_e32 v4, v4
	v_fma_f32 v4, v4, -2.0, 1.0
.LBB72_29:
	s_andn2_saveexec_b64 s[6:7], s[6:7]
	s_cbranch_execz .LBB72_31
; %bb.30:
	v_mul_f32_e32 v4, v3, v3
	v_mov_b32_e32 v5, 0x3ca908c9
	v_fmac_f32_e32 v5, 0xbbbac73d, v4
	v_mov_b32_e32 v6, 0xbd5c1c4e
	v_fmac_f32_e32 v6, v4, v5
	;; [unrolled: 2-line block ×4, first 2 shown]
	v_mul_f32_e64 v5, |v3|, v6
	v_fma_f32 v4, v4, v5, |v3|
.LBB72_31:
	s_or_b64 exec, exec, s[6:7]
	v_mul_lo_u32 v5, v42, s22
	s_cmp_lg_u64 s[40:41], 0
	s_brev_b32 s6, -2
	v_bfi_b32 v3, s6, v4, v3
	s_cselect_b64 s[6:7], -1, 0
	v_cndmask_b32_e64 v4, 0, 1, s[6:7]
	v_add_u32_e32 v5, s18, v5
	v_mul_f32_e32 v3, s19, v3
	v_cmp_gt_i32_e32 vcc, s36, v0
	v_cmp_ne_u32_e64 s[6:7], 1, v4
	v_mov_b32_e32 v4, v15
	s_and_saveexec_b64 s[10:11], vcc
	s_cbranch_execz .LBB72_36
; %bb.32:
	s_and_b64 vcc, exec, s[6:7]
	s_cbranch_vccnz .LBB72_34
; %bb.33:
	v_add_u32_e32 v6, v5, v0
	v_ashrrev_i32_e32 v7, 31, v6
	v_lshlrev_b64 v[6:7], 1, v[6:7]
	v_mov_b32_e32 v4, s41
	v_add_co_u32_e32 v6, vcc, s40, v6
	v_addc_co_u32_e32 v7, vcc, v4, v7, vcc
	global_load_ushort v4, v[6:7], off
	s_waitcnt vmcnt(0)
	v_cvt_f32_f16_e32 v4, v4
	v_mul_f32_e32 v4, v40, v4
	s_branch .LBB72_35
.LBB72_34:
	v_mov_b32_e32 v4, 0
.LBB72_35:
	v_add_f32_e32 v3, v3, v4
	v_add_f32_e32 v4, 0x40051340, v3
	v_max_f32_e32 v6, v15, v15
	v_max_f32_e32 v4, v6, v4
.LBB72_36:
	s_or_b64 exec, exec, s[10:11]
	s_mov_b32 s10, 0x3f200000
	v_cmp_nlt_f32_e64 s[10:11], |v2|, s10
                                        ; implicit-def: $vgpr7
	s_and_saveexec_b64 s[12:13], s[10:11]
	s_xor_b64 s[10:11], exec, s[12:13]
	s_cbranch_execz .LBB72_38
; %bb.37:
	v_add_f32_e64 v6, |v2|, |v2|
	v_mul_f32_e32 v7, 0x3fb8aa3b, v6
	s_mov_b32 s12, 0x3fb8aa3b
	v_rndne_f32_e32 v8, v7
	v_sub_f32_e32 v9, v7, v8
	v_fma_f32 v7, v6, s12, -v7
	v_fmac_f32_e32 v7, 0x32a5705f, v6
	v_add_f32_e32 v7, v9, v7
	v_exp_f32_e32 v7, v7
	v_cvt_i32_f32_e32 v8, v8
	s_mov_b32 s12, 0xc2ce8ed0
	v_cmp_ngt_f32_e32 vcc, s12, v6
	s_mov_b32 s12, 0x42b17218
	v_ldexp_f32 v7, v7, v8
	v_cndmask_b32_e32 v7, 0, v7, vcc
	v_mov_b32_e32 v8, 0x7f800000
	v_cmp_nlt_f32_e32 vcc, s12, v6
	v_cndmask_b32_e32 v6, v8, v7, vcc
	v_add_f32_e32 v6, 1.0, v6
	v_rcp_f32_e32 v6, v6
	v_fma_f32 v7, v6, -2.0, 1.0
.LBB72_38:
	s_andn2_saveexec_b64 s[10:11], s[10:11]
	s_cbranch_execz .LBB72_40
; %bb.39:
	v_mul_f32_e32 v6, v2, v2
	v_mov_b32_e32 v7, 0x3ca908c9
	v_fmac_f32_e32 v7, 0xbbbac73d, v6
	v_mov_b32_e32 v8, 0xbd5c1c4e
	v_fmac_f32_e32 v8, v6, v7
	;; [unrolled: 2-line block ×4, first 2 shown]
	v_mul_f32_e64 v7, |v2|, v8
	v_fma_f32 v7, v6, v7, |v2|
.LBB72_40:
	s_or_b64 exec, exec, s[10:11]
	s_brev_b32 s10, -2
	v_add_u32_e32 v6, 32, v0
	v_bfi_b32 v2, s10, v7, v2
	v_mul_f32_e32 v2, s19, v2
	v_cmp_gt_i32_e32 vcc, s36, v6
	s_and_saveexec_b64 s[10:11], vcc
	s_cbranch_execz .LBB72_45
; %bb.41:
	s_and_b64 vcc, exec, s[6:7]
	s_cbranch_vccnz .LBB72_43
; %bb.42:
	v_ashrrev_i32_e32 v8, 31, v5
	v_add_co_u32_e32 v7, vcc, v5, v0
	v_addc_co_u32_e32 v8, vcc, 0, v8, vcc
	v_lshlrev_b64 v[7:8], 1, v[7:8]
	v_mov_b32_e32 v5, s41
	v_add_co_u32_e32 v7, vcc, s40, v7
	v_addc_co_u32_e32 v8, vcc, v5, v8, vcc
	global_load_ushort v5, v[7:8], off offset:64
	s_waitcnt vmcnt(0)
	v_cvt_f32_f16_e32 v5, v5
	v_mul_f32_e32 v5, v40, v5
	s_branch .LBB72_44
.LBB72_43:
	v_mov_b32_e32 v5, 0
.LBB72_44:
	v_add_f32_e32 v2, v2, v5
	v_add_f32_e32 v5, 0x40051340, v2
	v_max_f32_e32 v4, v4, v4
	v_max_f32_e32 v4, v4, v5
.LBB72_45:
	s_or_b64 exec, exec, s[10:11]
	v_mbcnt_hi_u32_b32 v22, -1, v41
	v_and_b32_e32 v5, 0x60, v22
	v_xor_b32_e32 v24, 1, v22
	v_add_u32_e32 v23, 32, v5
	v_cmp_lt_i32_e32 vcc, v24, v23
	v_xor_b32_e32 v25, 2, v22
	v_cndmask_b32_e32 v5, v22, v24, vcc
	v_cmp_lt_i32_e32 vcc, v25, v23
	v_xor_b32_e32 v26, 4, v22
	v_cndmask_b32_e32 v7, v22, v25, vcc
	;; [unrolled: 3-line block ×4, first 2 shown]
	v_cmp_lt_i32_e32 vcc, v28, v23
	v_cndmask_b32_e32 v12, v22, v28, vcc
	v_lshlrev_b32_e32 v12, 2, v12
	ds_bpermute_b32 v12, v12, v4
	v_max_f32_e32 v4, v4, v4
	v_lshlrev_b32_e32 v9, 2, v9
	v_lshlrev_b32_e32 v8, 2, v8
	;; [unrolled: 1-line block ×3, first 2 shown]
	s_waitcnt lgkmcnt(0)
	v_max_f32_e32 v12, v12, v12
	v_max_f32_e32 v4, v4, v12
	ds_bpermute_b32 v9, v9, v4
	v_lshlrev_b32_e32 v5, 2, v5
	s_mov_b32 s10, 0x3fb8aa3b
	s_mov_b32 s11, 0xc2ce8ed0
	;; [unrolled: 1-line block ×3, first 2 shown]
	s_waitcnt lgkmcnt(0)
	v_max_f32_e32 v9, v9, v9
	v_max_f32_e32 v4, v4, v9
	ds_bpermute_b32 v8, v8, v4
	v_cmp_gt_u32_e32 vcc, s36, v0
	v_lshlrev_b32_e32 v31, 7, v1
	s_waitcnt lgkmcnt(0)
	s_barrier
	v_max_f32_e32 v8, v8, v8
	v_max_f32_e32 v4, v4, v8
	ds_bpermute_b32 v7, v7, v4
	s_waitcnt lgkmcnt(0)
	v_mov_b32_e32 v32, 0
	v_mov_b32_e32 v43, 0
	v_add_u32_e32 v39, v39, v36
	v_max_f32_e32 v7, v7, v7
	v_max_f32_e32 v4, v4, v7
	ds_bpermute_b32 v5, v5, v4
	v_add_u32_e32 v47, 8, v1
	v_lshl_add_u32 v45, v47, 9, v36
	v_add_u32_e32 v46, 16, v1
	v_lshl_add_u32 v42, v46, 9, v36
	s_waitcnt lgkmcnt(0)
	v_max_f32_e32 v5, v5, v5
	v_max_f32_e32 v30, v4, v5
	v_sub_f32_e32 v3, v3, v30
	v_mul_f32_e32 v5, 0x3fb8aa3b, v3
	v_fma_f32 v7, v3, s10, -v5
	v_rndne_f32_e32 v8, v5
	v_fmac_f32_e32 v7, 0x32a5705f, v3
	v_sub_f32_e32 v5, v5, v8
	v_add_f32_e32 v5, v5, v7
	v_exp_f32_e32 v5, v5
	v_cvt_i32_f32_e32 v7, v8
	v_cmp_ngt_f32_e64 s[6:7], s11, v3
	v_sub_f32_e32 v2, v2, v30
	v_sub_f32_e32 v4, v15, v30
	v_ldexp_f32 v5, v5, v7
	v_cndmask_b32_e64 v5, 0, v5, s[6:7]
	v_cmp_nlt_f32_e64 s[6:7], s12, v3
	v_mov_b32_e32 v3, 0x7f800000
	v_cndmask_b32_e64 v5, v3, v5, s[6:7]
	v_cndmask_b32_e32 v5, 0, v5, vcc
	v_cmp_gt_u32_e32 vcc, s36, v6
	v_mul_f32_e32 v6, 0x3fb8aa3b, v2
	v_fma_f32 v8, v2, s10, -v6
	v_rndne_f32_e32 v9, v6
	v_fmac_f32_e32 v8, 0x32a5705f, v2
	v_sub_f32_e32 v6, v6, v9
	v_add_f32_e32 v6, v6, v8
	v_exp_f32_e32 v6, v6
	v_cvt_i32_f32_e32 v8, v9
	v_cmp_ngt_f32_e64 s[6:7], s11, v2
	v_cvt_f16_f32_e32 v7, v5
	v_ashrrev_i32_e32 v15, 31, v14
	v_ldexp_f32 v6, v6, v8
	v_cndmask_b32_e64 v6, 0, v6, s[6:7]
	v_cmp_nlt_f32_e64 s[6:7], s12, v2
	v_cndmask_b32_e64 v2, v3, v6, s[6:7]
	v_cndmask_b32_e32 v2, 0, v2, vcc
	v_add_f32_e32 v29, v5, v2
	v_mul_f32_e32 v5, 0x3fb8aa3b, v4
	v_fma_f32 v6, v4, s10, -v5
	v_rndne_f32_e32 v8, v5
	v_fmac_f32_e32 v6, 0x32a5705f, v4
	v_sub_f32_e32 v5, v5, v8
	v_add_f32_e32 v5, v5, v6
	v_exp_f32_e32 v5, v5
	v_cvt_i32_f32_e32 v6, v8
	v_cmp_ngt_f32_e32 vcc, s11, v4
	s_movk_i32 s6, 0x5400
	s_mul_hi_i32 s7, s18, s8
	v_ldexp_f32 v5, v5, v6
	v_cndmask_b32_e32 v5, 0, v5, vcc
	v_cmp_nlt_f32_e32 vcc, s12, v4
	v_cndmask_b32_e32 v3, v3, v5, vcc
	v_fmac_f32_e32 v29, v44, v3
	v_cvt_f16_f32_e32 v3, v3
	v_cvt_f16_f32_e32 v2, v2
	s_mov_b64 s[10:11], src_private_base
	v_lshlrev_b64 v[20:21], 2, v[14:15]
	v_mul_u32_u24_e32 v48, 0x10001, v3
	v_lshlrev_b32_e32 v3, 1, v0
	v_add3_u32 v3, v31, s6, v3
	s_lshl_b32 s6, s8, 3
	v_add_u32_e32 v6, s6, v14
	v_add_u32_e32 v8, s6, v6
	v_pk_mul_f16 v50, v10, v48
	v_add_u32_e32 v10, s6, v8
	s_mul_i32 s6, s18, s8
	s_lshl_b64 s[6:7], s[6:7], 2
	s_add_u32 s10, s16, s6
	s_addc_u32 s13, s17, s7
	ds_write_b16 v3, v7
	ds_write_b16 v3, v2 offset:64
	v_add_co_u32_e64 v2, s[6:7], s10, v20
	v_mov_b32_e32 v3, s13
	v_addc_co_u32_e64 v3, s[6:7], v3, v21, s[6:7]
	v_add_co_u32_e64 v2, s[6:7], v2, v36
	v_cmp_gt_i32_e32 vcc, s36, v1
	v_addc_co_u32_e64 v3, s[6:7], 0, v3, s[6:7]
	v_mov_b32_e32 v44, s11
	buffer_store_dword v32, off, s[0:3], 0
	buffer_store_dword v32, off, s[0:3], 0 offset:4
	buffer_store_dword v32, off, s[0:3], 0 offset:8
	buffer_store_dword v32, off, s[0:3], 0 offset:12
	v_cndmask_b32_e32 v3, v44, v3, vcc
	v_cndmask_b32_e32 v2, v43, v2, vcc
	flat_load_dwordx4 v[2:5], v[2:3]
	v_ashrrev_i32_e32 v7, 31, v6
	v_lshlrev_b64 v[16:17], 2, v[6:7]
	v_cmp_gt_i32_e32 vcc, s36, v47
	v_ashrrev_i32_e32 v9, 31, v8
	v_lshlrev_b64 v[18:19], 2, v[8:9]
	v_pk_mul_f16 v49, v11, v48
	v_ashrrev_i32_e32 v11, 31, v10
	v_lshlrev_b64 v[14:15], 2, v[10:11]
	v_add_u32_e32 v41, 24, v1
	v_lshl_add_u32 v40, v41, 9, v36
	s_mov_b32 s12, 0x10001
	s_waitcnt vmcnt(0) lgkmcnt(0)
	ds_write_b128 v39, v[2:5]
	v_add_co_u32_e64 v2, s[6:7], s10, v16
	v_mov_b32_e32 v3, s13
	v_addc_co_u32_e64 v3, s[6:7], v3, v17, s[6:7]
	v_add_co_u32_e64 v2, s[6:7], v2, v36
	v_addc_co_u32_e64 v3, s[6:7], 0, v3, s[6:7]
	buffer_store_dword v32, off, s[0:3], 0
	buffer_store_dword v32, off, s[0:3], 0 offset:4
	buffer_store_dword v32, off, s[0:3], 0 offset:8
	;; [unrolled: 1-line block ×3, first 2 shown]
	v_cndmask_b32_e32 v3, v44, v3, vcc
	v_cndmask_b32_e32 v2, v43, v2, vcc
	flat_load_dwordx4 v[2:5], v[2:3]
	v_cmp_gt_i32_e32 vcc, s36, v46
	s_waitcnt vmcnt(0) lgkmcnt(0)
	ds_write_b128 v45, v[2:5]
	v_add_co_u32_e64 v2, s[6:7], s10, v18
	v_mov_b32_e32 v3, s13
	v_addc_co_u32_e64 v3, s[6:7], v3, v19, s[6:7]
	v_add_co_u32_e64 v2, s[6:7], v2, v36
	v_addc_co_u32_e64 v3, s[6:7], 0, v3, s[6:7]
	buffer_store_dword v32, off, s[0:3], 0
	buffer_store_dword v32, off, s[0:3], 0 offset:4
	buffer_store_dword v32, off, s[0:3], 0 offset:8
	;; [unrolled: 1-line block ×3, first 2 shown]
	v_cndmask_b32_e32 v3, v44, v3, vcc
	v_cndmask_b32_e32 v2, v43, v2, vcc
	flat_load_dwordx4 v[2:5], v[2:3]
	v_cmp_gt_i32_e32 vcc, s36, v41
	s_waitcnt vmcnt(0) lgkmcnt(0)
	ds_write_b128 v42, v[2:5]
	v_add_co_u32_e64 v2, s[6:7], s10, v14
	v_mov_b32_e32 v3, s13
	v_addc_co_u32_e64 v3, s[6:7], v3, v15, s[6:7]
	v_add_co_u32_e64 v2, s[6:7], v2, v36
	v_addc_co_u32_e64 v3, s[6:7], 0, v3, s[6:7]
	buffer_store_dword v32, off, s[0:3], 0
	buffer_store_dword v32, off, s[0:3], 0 offset:4
	buffer_store_dword v32, off, s[0:3], 0 offset:8
	;; [unrolled: 1-line block ×3, first 2 shown]
	v_cndmask_b32_e32 v3, v44, v3, vcc
	v_cndmask_b32_e32 v2, v43, v2, vcc
	flat_load_dwordx4 v[2:5], v[2:3]
	s_or_b32 s6, s18, 32
	s_mul_hi_i32 s7, s6, s8
	s_mul_i32 s6, s6, s8
	s_lshl_b64 s[6:7], s[6:7], 2
	s_add_u32 s10, s16, s6
	s_addc_u32 s8, s17, s7
	s_sub_i32 s11, s36, 32
	v_cmp_gt_i32_e32 vcc, s11, v1
	v_add_co_u32_e64 v1, s[6:7], s10, v20
	s_waitcnt vmcnt(0) lgkmcnt(0)
	ds_write_b128 v40, v[2:5]
	s_waitcnt lgkmcnt(0)
	s_barrier
	ds_read2_b64 v[51:54], v35 offset1:32
	ds_read_b128 v[55:58], v31 offset:21504
	ds_read_b128 v[10:13], v31 offset:21520
	;; [unrolled: 1-line block ×4, first 2 shown]
	s_waitcnt lgkmcnt(3)
	v_mul_u32_u24_sdwa v59, v55, s12 dst_sel:DWORD dst_unused:UNUSED_PAD src0_sel:WORD_0 src1_sel:DWORD
	v_pk_mul_f16 v51, v51, v59
	v_pk_fma_f16 v37, v37, v48, v51
	v_pk_mul_f16 v51, v52, v59
	v_pk_fma_f16 v38, v38, v48, v51
	v_pk_fma_f16 v52, v53, v59, v49
	;; [unrolled: 1-line block ×3, first 2 shown]
	ds_read2_b64 v[48:51], v35 offset0:64 offset1:96
	v_mul_u32_u24_sdwa v54, v55, s12 dst_sel:DWORD dst_unused:UNUSED_PAD src0_sel:WORD_1 src1_sel:DWORD
	s_waitcnt lgkmcnt(0)
	v_pk_fma_f16 v37, v48, v54, v37
	v_pk_fma_f16 v38, v49, v54, v38
	;; [unrolled: 1-line block ×4, first 2 shown]
	ds_read2_b64 v[48:51], v35 offset0:128 offset1:160
	v_mul_u32_u24_sdwa v54, v56, s12 dst_sel:DWORD dst_unused:UNUSED_PAD src0_sel:WORD_0 src1_sel:DWORD
	s_waitcnt lgkmcnt(0)
	v_pk_fma_f16 v37, v48, v54, v37
	v_pk_fma_f16 v38, v49, v54, v38
	;; [unrolled: 1-line block ×4, first 2 shown]
	ds_read2_b64 v[48:51], v35 offset0:192 offset1:224
	v_mul_u32_u24_sdwa v54, v56, s12 dst_sel:DWORD dst_unused:UNUSED_PAD src0_sel:WORD_1 src1_sel:DWORD
	s_waitcnt lgkmcnt(0)
	v_pk_fma_f16 v55, v48, v54, v37
	v_add_u32_e32 v37, 0x800, v35
	v_pk_fma_f16 v38, v49, v54, v38
	v_pk_fma_f16 v52, v50, v54, v52
	v_pk_fma_f16 v53, v51, v54, v53
	ds_read2_b64 v[48:51], v37 offset1:32
	v_mul_u32_u24_sdwa v54, v57, s12 dst_sel:DWORD dst_unused:UNUSED_PAD src0_sel:WORD_0 src1_sel:DWORD
	s_waitcnt lgkmcnt(0)
	v_pk_fma_f16 v55, v48, v54, v55
	v_pk_fma_f16 v38, v49, v54, v38
	;; [unrolled: 1-line block ×4, first 2 shown]
	ds_read2_b64 v[48:51], v37 offset0:64 offset1:96
	v_mul_u32_u24_sdwa v54, v57, s12 dst_sel:DWORD dst_unused:UNUSED_PAD src0_sel:WORD_1 src1_sel:DWORD
	s_waitcnt lgkmcnt(0)
	v_pk_fma_f16 v55, v48, v54, v55
	v_pk_fma_f16 v38, v49, v54, v38
	;; [unrolled: 1-line block ×4, first 2 shown]
	ds_read2_b64 v[48:51], v37 offset0:128 offset1:160
	v_mul_u32_u24_sdwa v54, v58, s12 dst_sel:DWORD dst_unused:UNUSED_PAD src0_sel:WORD_0 src1_sel:DWORD
	s_waitcnt lgkmcnt(0)
	v_pk_fma_f16 v55, v48, v54, v55
	v_pk_fma_f16 v38, v49, v54, v38
	;; [unrolled: 1-line block ×4, first 2 shown]
	ds_read2_b64 v[48:51], v37 offset0:192 offset1:224
	v_mul_u32_u24_sdwa v54, v58, s12 dst_sel:DWORD dst_unused:UNUSED_PAD src0_sel:WORD_1 src1_sel:DWORD
	s_waitcnt lgkmcnt(0)
	v_pk_fma_f16 v56, v49, v54, v38
	v_add_u32_e32 v38, 0x1000, v35
	v_pk_fma_f16 v55, v48, v54, v55
	v_pk_fma_f16 v52, v50, v54, v52
	v_pk_fma_f16 v53, v51, v54, v53
	ds_read2_b64 v[48:51], v38 offset1:32
	v_mul_u32_u24_sdwa v54, v10, s12 dst_sel:DWORD dst_unused:UNUSED_PAD src0_sel:WORD_0 src1_sel:DWORD
	v_mul_u32_u24_sdwa v10, v10, s12 dst_sel:DWORD dst_unused:UNUSED_PAD src0_sel:WORD_1 src1_sel:DWORD
	s_waitcnt lgkmcnt(0)
	v_pk_fma_f16 v55, v48, v54, v55
	v_pk_fma_f16 v56, v49, v54, v56
	;; [unrolled: 1-line block ×4, first 2 shown]
	ds_read2_b64 v[48:51], v38 offset0:64 offset1:96
	s_waitcnt lgkmcnt(0)
	v_pk_fma_f16 v54, v48, v10, v55
	v_pk_fma_f16 v55, v49, v10, v56
	;; [unrolled: 1-line block ×4, first 2 shown]
	ds_read2_b64 v[48:51], v38 offset0:128 offset1:160
	v_mul_u32_u24_sdwa v53, v11, s12 dst_sel:DWORD dst_unused:UNUSED_PAD src0_sel:WORD_0 src1_sel:DWORD
	v_mul_u32_u24_sdwa v11, v11, s12 dst_sel:DWORD dst_unused:UNUSED_PAD src0_sel:WORD_1 src1_sel:DWORD
	s_waitcnt lgkmcnt(0)
	v_pk_fma_f16 v54, v48, v53, v54
	v_pk_fma_f16 v55, v49, v53, v55
	;; [unrolled: 1-line block ×4, first 2 shown]
	ds_read2_b64 v[48:51], v38 offset0:192 offset1:224
	s_waitcnt lgkmcnt(0)
	v_pk_fma_f16 v53, v48, v11, v54
	v_pk_fma_f16 v54, v49, v11, v55
	;; [unrolled: 1-line block ×4, first 2 shown]
	v_add_u32_e32 v10, 0x1800, v35
	ds_read2_b64 v[48:51], v10 offset1:32
	v_mul_u32_u24_sdwa v55, v12, s12 dst_sel:DWORD dst_unused:UNUSED_PAD src0_sel:WORD_0 src1_sel:DWORD
	v_mul_u32_u24_sdwa v12, v12, s12 dst_sel:DWORD dst_unused:UNUSED_PAD src0_sel:WORD_1 src1_sel:DWORD
	s_waitcnt lgkmcnt(0)
	v_pk_fma_f16 v53, v48, v55, v53
	v_pk_fma_f16 v54, v49, v55, v54
	;; [unrolled: 1-line block ×4, first 2 shown]
	ds_read2_b64 v[48:51], v10 offset0:64 offset1:96
	s_waitcnt lgkmcnt(0)
	v_pk_fma_f16 v53, v48, v12, v53
	v_pk_fma_f16 v54, v49, v12, v54
	;; [unrolled: 1-line block ×4, first 2 shown]
	ds_read2_b64 v[48:51], v10 offset0:128 offset1:160
	v_mul_u32_u24_sdwa v12, v13, s12 dst_sel:DWORD dst_unused:UNUSED_PAD src0_sel:WORD_0 src1_sel:DWORD
	s_waitcnt lgkmcnt(0)
	v_pk_fma_f16 v53, v48, v12, v53
	v_pk_fma_f16 v54, v49, v12, v54
	;; [unrolled: 1-line block ×4, first 2 shown]
	ds_read2_b64 v[48:51], v10 offset0:192 offset1:224
	v_mul_u32_u24_sdwa v12, v13, s12 dst_sel:DWORD dst_unused:UNUSED_PAD src0_sel:WORD_1 src1_sel:DWORD
	s_waitcnt lgkmcnt(0)
	v_pk_fma_f16 v13, v48, v12, v53
	v_pk_fma_f16 v53, v49, v12, v54
	;; [unrolled: 1-line block ×4, first 2 shown]
	v_add_u32_e32 v11, 0x2000, v35
	ds_read2_b64 v[48:51], v11 offset1:32
	v_mul_u32_u24_sdwa v54, v6, s12 dst_sel:DWORD dst_unused:UNUSED_PAD src0_sel:WORD_0 src1_sel:DWORD
	v_mul_u32_u24_sdwa v6, v6, s12 dst_sel:DWORD dst_unused:UNUSED_PAD src0_sel:WORD_1 src1_sel:DWORD
	s_waitcnt lgkmcnt(0)
	v_pk_fma_f16 v13, v48, v54, v13
	v_pk_fma_f16 v53, v49, v54, v53
	;; [unrolled: 1-line block ×4, first 2 shown]
	ds_read2_b64 v[48:51], v11 offset0:64 offset1:96
	s_waitcnt lgkmcnt(0)
	v_pk_fma_f16 v13, v48, v6, v13
	v_pk_fma_f16 v53, v49, v6, v53
	;; [unrolled: 1-line block ×4, first 2 shown]
	ds_read2_b64 v[48:51], v11 offset0:128 offset1:160
	v_mul_u32_u24_sdwa v12, v7, s12 dst_sel:DWORD dst_unused:UNUSED_PAD src0_sel:WORD_0 src1_sel:DWORD
	v_mul_u32_u24_sdwa v7, v7, s12 dst_sel:DWORD dst_unused:UNUSED_PAD src0_sel:WORD_1 src1_sel:DWORD
	s_waitcnt lgkmcnt(0)
	v_pk_fma_f16 v13, v48, v12, v13
	v_pk_fma_f16 v53, v49, v12, v53
	;; [unrolled: 1-line block ×4, first 2 shown]
	ds_read2_b64 v[48:51], v11 offset0:192 offset1:224
	s_waitcnt lgkmcnt(0)
	v_pk_fma_f16 v12, v48, v7, v13
	v_pk_fma_f16 v13, v49, v7, v53
	;; [unrolled: 1-line block ×4, first 2 shown]
	v_add_u32_e32 v6, 0x2800, v35
	ds_read2_b64 v[48:51], v6 offset1:32
	v_mul_u32_u24_sdwa v53, v8, s12 dst_sel:DWORD dst_unused:UNUSED_PAD src0_sel:WORD_0 src1_sel:DWORD
	v_mul_u32_u24_sdwa v8, v8, s12 dst_sel:DWORD dst_unused:UNUSED_PAD src0_sel:WORD_1 src1_sel:DWORD
	s_waitcnt lgkmcnt(0)
	v_pk_fma_f16 v12, v48, v53, v12
	v_pk_fma_f16 v13, v49, v53, v13
	;; [unrolled: 1-line block ×4, first 2 shown]
	ds_read2_b64 v[48:51], v6 offset0:64 offset1:96
	s_waitcnt lgkmcnt(0)
	v_pk_fma_f16 v12, v48, v8, v12
	v_pk_fma_f16 v13, v49, v8, v13
	;; [unrolled: 1-line block ×4, first 2 shown]
	ds_read2_b64 v[48:51], v6 offset0:128 offset1:160
	v_mul_u32_u24_sdwa v8, v9, s12 dst_sel:DWORD dst_unused:UNUSED_PAD src0_sel:WORD_0 src1_sel:DWORD
	s_waitcnt lgkmcnt(0)
	v_pk_fma_f16 v12, v48, v8, v12
	v_pk_fma_f16 v13, v49, v8, v13
	;; [unrolled: 1-line block ×4, first 2 shown]
	ds_read2_b64 v[48:51], v6 offset0:192 offset1:224
	v_mul_u32_u24_sdwa v8, v9, s12 dst_sel:DWORD dst_unused:UNUSED_PAD src0_sel:WORD_1 src1_sel:DWORD
	s_waitcnt lgkmcnt(0)
	v_pk_fma_f16 v9, v48, v8, v12
	v_pk_fma_f16 v12, v49, v8, v13
	;; [unrolled: 1-line block ×4, first 2 shown]
	v_add_u32_e32 v7, 0x3000, v35
	ds_read2_b64 v[48:51], v7 offset1:32
	v_mul_u32_u24_sdwa v52, v2, s12 dst_sel:DWORD dst_unused:UNUSED_PAD src0_sel:WORD_0 src1_sel:DWORD
	v_mul_u32_u24_sdwa v2, v2, s12 dst_sel:DWORD dst_unused:UNUSED_PAD src0_sel:WORD_1 src1_sel:DWORD
	s_waitcnt lgkmcnt(0)
	v_pk_fma_f16 v9, v48, v52, v9
	v_pk_fma_f16 v12, v49, v52, v12
	;; [unrolled: 1-line block ×4, first 2 shown]
	ds_read2_b64 v[48:51], v7 offset0:64 offset1:96
	s_waitcnt lgkmcnt(0)
	v_pk_fma_f16 v9, v48, v2, v9
	v_pk_fma_f16 v12, v49, v2, v12
	;; [unrolled: 1-line block ×4, first 2 shown]
	ds_read2_b64 v[48:51], v7 offset0:128 offset1:160
	v_mul_u32_u24_sdwa v8, v3, s12 dst_sel:DWORD dst_unused:UNUSED_PAD src0_sel:WORD_0 src1_sel:DWORD
	v_mul_u32_u24_sdwa v3, v3, s12 dst_sel:DWORD dst_unused:UNUSED_PAD src0_sel:WORD_1 src1_sel:DWORD
	s_waitcnt lgkmcnt(0)
	v_pk_fma_f16 v9, v48, v8, v9
	v_pk_fma_f16 v12, v49, v8, v12
	;; [unrolled: 1-line block ×4, first 2 shown]
	ds_read2_b64 v[48:51], v7 offset0:192 offset1:224
	s_waitcnt lgkmcnt(0)
	v_pk_fma_f16 v8, v48, v3, v9
	v_pk_fma_f16 v9, v49, v3, v12
	;; [unrolled: 1-line block ×4, first 2 shown]
	v_add_u32_e32 v3, 0x3800, v35
	ds_read2_b64 v[48:51], v3 offset1:32
	v_mul_u32_u24_sdwa v13, v4, s12 dst_sel:DWORD dst_unused:UNUSED_PAD src0_sel:WORD_0 src1_sel:DWORD
	v_mul_u32_u24_sdwa v4, v4, s12 dst_sel:DWORD dst_unused:UNUSED_PAD src0_sel:WORD_1 src1_sel:DWORD
	s_waitcnt lgkmcnt(0)
	v_pk_fma_f16 v8, v48, v13, v8
	v_pk_fma_f16 v9, v49, v13, v9
	;; [unrolled: 1-line block ×4, first 2 shown]
	ds_read2_b64 v[48:51], v3 offset0:64 offset1:96
	v_mul_u32_u24_sdwa v13, v5, s12 dst_sel:DWORD dst_unused:UNUSED_PAD src0_sel:WORD_1 src1_sel:DWORD
	s_waitcnt lgkmcnt(0)
	v_pk_fma_f16 v8, v48, v4, v8
	v_pk_fma_f16 v9, v49, v4, v9
	;; [unrolled: 1-line block ×4, first 2 shown]
	ds_read2_b64 v[48:51], v3 offset0:128 offset1:160
	v_mul_u32_u24_sdwa v4, v5, s12 dst_sel:DWORD dst_unused:UNUSED_PAD src0_sel:WORD_0 src1_sel:DWORD
	s_waitcnt lgkmcnt(0)
	v_pk_fma_f16 v8, v48, v4, v8
	v_pk_fma_f16 v9, v49, v4, v9
	;; [unrolled: 1-line block ×4, first 2 shown]
	ds_read2_b64 v[48:51], v3 offset0:192 offset1:224
	s_waitcnt lgkmcnt(0)
	s_barrier
	buffer_store_dword v32, off, s[0:3], 0
	buffer_store_dword v32, off, s[0:3], 0 offset:4
	buffer_store_dword v32, off, s[0:3], 0 offset:8
	buffer_store_dword v32, off, s[0:3], 0 offset:12
	v_pk_fma_f16 v5, v49, v13, v9
	v_pk_fma_f16 v9, v51, v13, v2
	v_mov_b32_e32 v2, s8
	v_addc_co_u32_e64 v2, s[6:7], v2, v21, s[6:7]
	v_add_co_u32_e64 v1, s[6:7], v1, v36
	v_addc_co_u32_e64 v2, s[6:7], 0, v2, s[6:7]
	v_cndmask_b32_e32 v2, v44, v2, vcc
	v_cndmask_b32_e32 v1, v43, v1, vcc
	v_pk_fma_f16 v4, v48, v13, v8
	v_pk_fma_f16 v8, v50, v13, v12
	flat_load_dwordx4 v[48:51], v[1:2]
	v_add_co_u32_e64 v1, s[6:7], s10, v16
	v_mov_b32_e32 v2, s8
	v_addc_co_u32_e64 v2, s[6:7], v2, v17, s[6:7]
	v_add_co_u32_e64 v1, s[6:7], v1, v36
	v_cmp_gt_i32_e32 vcc, s11, v47
	v_addc_co_u32_e64 v2, s[6:7], 0, v2, s[6:7]
	v_cndmask_b32_e32 v2, v44, v2, vcc
	v_cndmask_b32_e32 v1, v43, v1, vcc
	v_cmp_gt_i32_e32 vcc, s11, v46
	s_waitcnt vmcnt(0) lgkmcnt(0)
	ds_write_b128 v39, v[48:51]
	buffer_store_dword v32, off, s[0:3], 0
	buffer_store_dword v32, off, s[0:3], 0 offset:4
	buffer_store_dword v32, off, s[0:3], 0 offset:8
	;; [unrolled: 1-line block ×3, first 2 shown]
	flat_load_dwordx4 v[47:50], v[1:2]
	v_add_co_u32_e64 v1, s[6:7], s10, v18
	v_mov_b32_e32 v2, s8
	v_addc_co_u32_e64 v2, s[6:7], v2, v19, s[6:7]
	v_add_co_u32_e64 v1, s[6:7], v1, v36
	v_addc_co_u32_e64 v2, s[6:7], 0, v2, s[6:7]
	v_cndmask_b32_e32 v2, v44, v2, vcc
	v_cndmask_b32_e32 v1, v43, v1, vcc
	v_cmp_gt_i32_e32 vcc, s11, v41
	s_waitcnt vmcnt(0) lgkmcnt(0)
	ds_write_b128 v45, v[47:50]
	buffer_store_dword v32, off, s[0:3], 0
	buffer_store_dword v32, off, s[0:3], 0 offset:4
	buffer_store_dword v32, off, s[0:3], 0 offset:8
	;; [unrolled: 1-line block ×3, first 2 shown]
	flat_load_dwordx4 v[16:19], v[1:2]
	v_add_co_u32_e64 v1, s[6:7], s10, v14
	v_mov_b32_e32 v2, s8
	v_addc_co_u32_e64 v2, s[6:7], v2, v15, s[6:7]
	v_add_co_u32_e64 v1, s[6:7], v1, v36
	v_addc_co_u32_e64 v2, s[6:7], 0, v2, s[6:7]
	v_cndmask_b32_e32 v2, v44, v2, vcc
	v_cndmask_b32_e32 v1, v43, v1, vcc
	s_waitcnt vmcnt(0) lgkmcnt(0)
	ds_write_b128 v42, v[16:19]
	buffer_store_dword v32, off, s[0:3], 0
	buffer_store_dword v32, off, s[0:3], 0 offset:4
	buffer_store_dword v32, off, s[0:3], 0 offset:8
	;; [unrolled: 1-line block ×3, first 2 shown]
	flat_load_dwordx4 v[12:15], v[1:2]
	s_waitcnt vmcnt(0) lgkmcnt(0)
	ds_write_b128 v40, v[12:15]
	s_waitcnt lgkmcnt(0)
	s_barrier
	ds_read2_b64 v[12:15], v35 offset1:32
	ds_read_b128 v[16:19], v31 offset:21568
	ds_read_b128 v[39:42], v31 offset:21584
	;; [unrolled: 1-line block ×4, first 2 shown]
	s_waitcnt lgkmcnt(3)
	v_mul_u32_u24_sdwa v1, v16, s12 dst_sel:DWORD dst_unused:UNUSED_PAD src0_sel:WORD_0 src1_sel:DWORD
	v_pk_fma_f16 v2, v12, v1, v4
	v_pk_fma_f16 v4, v13, v1, v5
	v_pk_fma_f16 v5, v14, v1, v8
	v_pk_fma_f16 v1, v15, v1, v9
	ds_read2_b64 v[12:15], v35 offset0:64 offset1:96
	v_mul_u32_u24_sdwa v8, v16, s12 dst_sel:DWORD dst_unused:UNUSED_PAD src0_sel:WORD_1 src1_sel:DWORD
	s_waitcnt lgkmcnt(0)
	v_pk_fma_f16 v2, v12, v8, v2
	v_pk_fma_f16 v4, v13, v8, v4
	v_pk_fma_f16 v5, v14, v8, v5
	v_pk_fma_f16 v1, v15, v8, v1
	ds_read2_b64 v[12:15], v35 offset0:128 offset1:160
	v_mul_u32_u24_sdwa v8, v17, s12 dst_sel:DWORD dst_unused:UNUSED_PAD src0_sel:WORD_0 src1_sel:DWORD
	s_waitcnt lgkmcnt(0)
	v_pk_fma_f16 v2, v12, v8, v2
	v_pk_fma_f16 v4, v13, v8, v4
	v_pk_fma_f16 v5, v14, v8, v5
	v_pk_fma_f16 v1, v15, v8, v1
	ds_read2_b64 v[12:15], v35 offset0:192 offset1:224
	v_mul_u32_u24_sdwa v8, v17, s12 dst_sel:DWORD dst_unused:UNUSED_PAD src0_sel:WORD_1 src1_sel:DWORD
	s_waitcnt lgkmcnt(0)
	v_pk_fma_f16 v2, v12, v8, v2
	v_pk_fma_f16 v4, v13, v8, v4
	v_pk_fma_f16 v5, v14, v8, v5
	v_pk_fma_f16 v1, v15, v8, v1
	ds_read2_b64 v[12:15], v37 offset1:32
	v_mul_u32_u24_sdwa v8, v18, s12 dst_sel:DWORD dst_unused:UNUSED_PAD src0_sel:WORD_0 src1_sel:DWORD
	s_waitcnt lgkmcnt(0)
	v_pk_fma_f16 v2, v12, v8, v2
	v_pk_fma_f16 v4, v13, v8, v4
	v_pk_fma_f16 v5, v14, v8, v5
	v_pk_fma_f16 v1, v15, v8, v1
	ds_read2_b64 v[12:15], v37 offset0:64 offset1:96
	v_mul_u32_u24_sdwa v8, v18, s12 dst_sel:DWORD dst_unused:UNUSED_PAD src0_sel:WORD_1 src1_sel:DWORD
	s_waitcnt lgkmcnt(0)
	v_pk_fma_f16 v2, v12, v8, v2
	v_pk_fma_f16 v4, v13, v8, v4
	v_pk_fma_f16 v5, v14, v8, v5
	v_pk_fma_f16 v1, v15, v8, v1
	ds_read2_b64 v[12:15], v37 offset0:128 offset1:160
	v_mul_u32_u24_sdwa v8, v19, s12 dst_sel:DWORD dst_unused:UNUSED_PAD src0_sel:WORD_0 src1_sel:DWORD
	s_waitcnt lgkmcnt(0)
	v_pk_fma_f16 v2, v12, v8, v2
	v_pk_fma_f16 v4, v13, v8, v4
	v_pk_fma_f16 v5, v14, v8, v5
	v_pk_fma_f16 v1, v15, v8, v1
	ds_read2_b64 v[12:15], v37 offset0:192 offset1:224
	v_mul_u32_u24_sdwa v8, v19, s12 dst_sel:DWORD dst_unused:UNUSED_PAD src0_sel:WORD_1 src1_sel:DWORD
	s_waitcnt lgkmcnt(0)
	v_pk_fma_f16 v2, v12, v8, v2
	v_pk_fma_f16 v4, v13, v8, v4
	v_pk_fma_f16 v5, v14, v8, v5
	v_pk_fma_f16 v1, v15, v8, v1
	ds_read2_b64 v[12:15], v38 offset1:32
	v_mul_u32_u24_sdwa v8, v39, s12 dst_sel:DWORD dst_unused:UNUSED_PAD src0_sel:WORD_0 src1_sel:DWORD
	s_waitcnt lgkmcnt(0)
	;; [unrolled: 28-line block ×4, first 2 shown]
	v_pk_fma_f16 v2, v12, v8, v2
	v_pk_fma_f16 v4, v13, v8, v4
	v_pk_fma_f16 v5, v14, v8, v5
	v_pk_fma_f16 v1, v15, v8, v1
	ds_read2_b64 v[12:15], v11 offset0:64 offset1:96
	v_mul_u32_u24_sdwa v8, v43, s12 dst_sel:DWORD dst_unused:UNUSED_PAD src0_sel:WORD_1 src1_sel:DWORD
	s_waitcnt lgkmcnt(0)
	v_pk_fma_f16 v2, v12, v8, v2
	v_pk_fma_f16 v4, v13, v8, v4
	;; [unrolled: 1-line block ×4, first 2 shown]
	ds_read2_b64 v[12:15], v11 offset0:128 offset1:160
	v_mul_u32_u24_sdwa v8, v44, s12 dst_sel:DWORD dst_unused:UNUSED_PAD src0_sel:WORD_0 src1_sel:DWORD
	s_waitcnt lgkmcnt(0)
	v_pk_fma_f16 v2, v12, v8, v2
	v_pk_fma_f16 v4, v13, v8, v4
	;; [unrolled: 1-line block ×4, first 2 shown]
	ds_read2_b64 v[8:11], v11 offset0:192 offset1:224
	v_mul_u32_u24_sdwa v12, v44, s12 dst_sel:DWORD dst_unused:UNUSED_PAD src0_sel:WORD_1 src1_sel:DWORD
	v_mov_b32_e32 v15, v30
	v_mov_b32_e32 v44, v29
	s_waitcnt lgkmcnt(0)
	v_pk_fma_f16 v2, v8, v12, v2
	v_pk_fma_f16 v4, v9, v12, v4
	;; [unrolled: 1-line block ×4, first 2 shown]
	ds_read2_b64 v[8:11], v6 offset1:32
	v_mul_u32_u24_sdwa v12, v45, s12 dst_sel:DWORD dst_unused:UNUSED_PAD src0_sel:WORD_0 src1_sel:DWORD
	s_waitcnt lgkmcnt(0)
	v_pk_fma_f16 v2, v8, v12, v2
	v_pk_fma_f16 v4, v9, v12, v4
	;; [unrolled: 1-line block ×4, first 2 shown]
	ds_read2_b64 v[8:11], v6 offset0:64 offset1:96
	v_mul_u32_u24_sdwa v12, v45, s12 dst_sel:DWORD dst_unused:UNUSED_PAD src0_sel:WORD_1 src1_sel:DWORD
	s_waitcnt lgkmcnt(0)
	v_pk_fma_f16 v2, v8, v12, v2
	v_pk_fma_f16 v4, v9, v12, v4
	;; [unrolled: 1-line block ×4, first 2 shown]
	ds_read2_b64 v[8:11], v6 offset0:128 offset1:160
	v_mul_u32_u24_sdwa v12, v46, s12 dst_sel:DWORD dst_unused:UNUSED_PAD src0_sel:WORD_0 src1_sel:DWORD
	s_waitcnt lgkmcnt(0)
	v_pk_fma_f16 v2, v8, v12, v2
	v_pk_fma_f16 v4, v9, v12, v4
	;; [unrolled: 1-line block ×4, first 2 shown]
	ds_read2_b64 v[8:11], v6 offset0:192 offset1:224
	v_mul_u32_u24_sdwa v6, v46, s12 dst_sel:DWORD dst_unused:UNUSED_PAD src0_sel:WORD_1 src1_sel:DWORD
	s_waitcnt lgkmcnt(0)
	v_pk_fma_f16 v2, v8, v6, v2
	v_pk_fma_f16 v4, v9, v6, v4
	;; [unrolled: 1-line block ×4, first 2 shown]
	ds_read2_b64 v[8:11], v7 offset1:32
	v_mul_u32_u24_sdwa v6, v47, s12 dst_sel:DWORD dst_unused:UNUSED_PAD src0_sel:WORD_0 src1_sel:DWORD
	s_waitcnt lgkmcnt(0)
	v_pk_fma_f16 v2, v8, v6, v2
	v_pk_fma_f16 v4, v9, v6, v4
	;; [unrolled: 1-line block ×4, first 2 shown]
	ds_read2_b64 v[8:11], v7 offset0:64 offset1:96
	v_mul_u32_u24_sdwa v6, v47, s12 dst_sel:DWORD dst_unused:UNUSED_PAD src0_sel:WORD_1 src1_sel:DWORD
	s_waitcnt lgkmcnt(0)
	v_pk_fma_f16 v2, v8, v6, v2
	v_pk_fma_f16 v4, v9, v6, v4
	;; [unrolled: 1-line block ×4, first 2 shown]
	ds_read2_b64 v[8:11], v7 offset0:128 offset1:160
	v_mul_u32_u24_sdwa v6, v48, s12 dst_sel:DWORD dst_unused:UNUSED_PAD src0_sel:WORD_0 src1_sel:DWORD
	s_waitcnt lgkmcnt(0)
	v_pk_fma_f16 v2, v8, v6, v2
	v_pk_fma_f16 v8, v9, v6, v4
	;; [unrolled: 1-line block ×4, first 2 shown]
	ds_read2_b64 v[4:7], v7 offset0:192 offset1:224
	v_mul_u32_u24_sdwa v10, v48, s12 dst_sel:DWORD dst_unused:UNUSED_PAD src0_sel:WORD_1 src1_sel:DWORD
	s_waitcnt lgkmcnt(0)
	v_pk_fma_f16 v2, v4, v10, v2
	v_pk_fma_f16 v8, v5, v10, v8
	;; [unrolled: 1-line block ×4, first 2 shown]
	ds_read2_b64 v[4:7], v3 offset1:32
	v_mul_u32_u24_sdwa v10, v49, s12 dst_sel:DWORD dst_unused:UNUSED_PAD src0_sel:WORD_0 src1_sel:DWORD
	s_waitcnt lgkmcnt(0)
	v_pk_fma_f16 v2, v4, v10, v2
	v_pk_fma_f16 v8, v5, v10, v8
	;; [unrolled: 1-line block ×4, first 2 shown]
	ds_read2_b64 v[4:7], v3 offset0:64 offset1:96
	v_mul_u32_u24_sdwa v10, v49, s12 dst_sel:DWORD dst_unused:UNUSED_PAD src0_sel:WORD_1 src1_sel:DWORD
	s_waitcnt lgkmcnt(0)
	v_pk_fma_f16 v2, v4, v10, v2
	v_pk_fma_f16 v8, v5, v10, v8
	;; [unrolled: 1-line block ×4, first 2 shown]
	ds_read2_b64 v[4:7], v3 offset0:128 offset1:160
	v_mul_u32_u24_sdwa v10, v50, s12 dst_sel:DWORD dst_unused:UNUSED_PAD src0_sel:WORD_0 src1_sel:DWORD
	s_waitcnt lgkmcnt(0)
	v_pk_fma_f16 v11, v4, v10, v2
	v_pk_fma_f16 v7, v7, v10, v1
	ds_read2_b64 v[1:4], v3 offset0:192 offset1:224
	v_pk_fma_f16 v5, v5, v10, v8
	v_pk_fma_f16 v6, v6, v10, v9
	v_mul_u32_u24_sdwa v8, v50, s12 dst_sel:DWORD dst_unused:UNUSED_PAD src0_sel:WORD_1 src1_sel:DWORD
	s_waitcnt lgkmcnt(0)
	v_pk_fma_f16 v37, v1, v8, v11
	v_pk_fma_f16 v38, v2, v8, v5
	;; [unrolled: 1-line block ×4, first 2 shown]
	s_barrier
.LBB72_46:
	v_cmp_lt_i32_e32 vcc, v28, v23
	v_cndmask_b32_e32 v1, v22, v28, vcc
	v_lshlrev_b32_e32 v1, 2, v1
	ds_bpermute_b32 v1, v1, v44
	v_cmp_lt_i32_e32 vcc, v27, v23
	v_cndmask_b32_e32 v2, v22, v27, vcc
	v_lshlrev_b32_e32 v2, 2, v2
	v_cmp_lt_i32_e32 vcc, v26, v23
	s_waitcnt lgkmcnt(0)
	v_add_f32_e32 v1, v44, v1
	ds_bpermute_b32 v2, v2, v1
	v_cndmask_b32_e32 v3, v22, v26, vcc
	v_lshlrev_b32_e32 v3, 2, v3
	v_cmp_lt_i32_e32 vcc, v25, v23
	s_cmp_eq_u64 s[20:21], 0
	s_waitcnt lgkmcnt(0)
	v_add_f32_e32 v1, v1, v2
	ds_bpermute_b32 v2, v3, v1
	v_cndmask_b32_e32 v3, v22, v25, vcc
	v_lshlrev_b32_e32 v3, 2, v3
	v_cmp_lt_i32_e32 vcc, v24, v23
	s_cselect_b64 s[6:7], -1, 0
	s_waitcnt lgkmcnt(0)
	v_add_f32_e32 v1, v1, v2
	ds_bpermute_b32 v2, v3, v1
	v_cndmask_b32_e32 v3, v22, v24, vcc
	v_lshlrev_b32_e32 v3, 2, v3
	s_cmp_lg_u32 s9, 0
	s_cselect_b64 s[10:11], -1, 0
	s_waitcnt lgkmcnt(0)
	v_add_f32_e32 v1, v1, v2
	ds_bpermute_b32 v2, v3, v1
	s_or_b64 s[6:7], s[10:11], s[6:7]
	s_and_b64 vcc, exec, s[6:7]
	s_waitcnt lgkmcnt(0)
	v_add_f32_e32 v16, v1, v2
	s_cbranch_vccnz .LBB72_48
; %bb.47:
	s_lshl_b64 s[6:7], s[34:35], 2
	s_add_u32 s6, s20, s6
	s_addc_u32 s7, s21, s7
	v_mov_b32_e32 v1, 0
	global_load_dword v1, v1, s[6:7]
	v_max_f32_e32 v2, v15, v15
	s_mov_b32 s6, 0x3fb8aa3b
	s_mov_b32 s7, 0xc2ce8ed0
	s_waitcnt vmcnt(0)
	v_max_f32_e32 v3, v1, v1
	v_max_f32_e32 v2, v2, v3
	v_sub_f32_e32 v3, v15, v2
	v_sub_f32_e32 v1, v1, v2
	v_mul_f32_e32 v4, 0x3fb8aa3b, v3
	v_mul_f32_e32 v5, 0x3fb8aa3b, v1
	v_fma_f32 v6, v3, s6, -v4
	v_rndne_f32_e32 v7, v4
	v_fma_f32 v8, v1, s6, -v5
	v_rndne_f32_e32 v9, v5
	v_fmac_f32_e32 v6, 0x32a5705f, v3
	v_sub_f32_e32 v4, v4, v7
	v_fmac_f32_e32 v8, 0x32a5705f, v1
	v_sub_f32_e32 v5, v5, v9
	v_add_f32_e32 v4, v4, v6
	v_cvt_i32_f32_e32 v7, v7
	v_add_f32_e32 v5, v5, v8
	v_exp_f32_e32 v4, v4
	v_cvt_i32_f32_e32 v9, v9
	v_exp_f32_e32 v5, v5
	v_cmp_ngt_f32_e32 vcc, s7, v3
	v_ldexp_f32 v4, v4, v7
	s_mov_b32 s6, 0x42b17218
	v_ldexp_f32 v5, v5, v9
	v_cndmask_b32_e32 v4, 0, v4, vcc
	v_cmp_ngt_f32_e32 vcc, s7, v1
	v_mov_b32_e32 v6, 0x7f800000
	v_cndmask_b32_e32 v5, 0, v5, vcc
	v_cmp_nlt_f32_e32 vcc, s6, v3
	v_cndmask_b32_e32 v3, v6, v4, vcc
	v_cvt_f16_f32_e32 v4, v3
	v_cmp_nlt_f32_e32 vcc, s6, v1
	v_cndmask_b32_e32 v1, v6, v5, vcc
	v_fmac_f32_e32 v1, v16, v3
	v_mov_b32_e32 v16, v1
	v_mul_u32_u24_e32 v1, 0x10001, v4
	v_pk_mul_f16 v37, v37, v1
	v_pk_mul_f16 v38, v38, v1
	;; [unrolled: 1-line block ×4, first 2 shown]
	v_mov_b32_e32 v15, v2
.LBB72_48:
	v_cmp_gt_i32_e32 vcc, s30, v33
	s_and_saveexec_b64 s[6:7], vcc
	s_cbranch_execz .LBB72_51
; %bb.49:
	v_div_scale_f32 v1, s[6:7], v16, v16, 1.0
	v_div_scale_f32 v2, vcc, 1.0, v16, 1.0
	s_load_dword s6, s[4:5], 0xd4
	v_cmp_eq_u32_e64 s[4:5], 0, v0
	s_mul_i32 s33, s33, s30
	v_add_u32_e32 v4, s33, v33
	v_mul_lo_u32 v4, v4, s31
	v_cvt_f32_f16_sdwa v3, v38 dst_sel:DWORD dst_unused:UNUSED_PAD src0_sel:WORD_1
	v_cvt_f32_f16_e32 v9, v38
	v_cvt_f32_f16_sdwa v12, v37 dst_sel:DWORD dst_unused:UNUSED_PAD src0_sel:WORD_1
	v_cvt_f32_f16_e32 v13, v37
	s_waitcnt lgkmcnt(0)
	s_cmp_lg_u32 s6, 1
	v_mov_b32_e32 v8, s25
	v_cvt_f32_f16_sdwa v17, v10 dst_sel:DWORD dst_unused:UNUSED_PAD src0_sel:WORD_1
	v_rcp_f32_e32 v0, v1
	v_cvt_f32_f16_e32 v10, v10
	v_cvt_f32_f16_sdwa v18, v11 dst_sel:DWORD dst_unused:UNUSED_PAD src0_sel:WORD_1
	v_fma_f32 v5, -v1, v0, 1.0
	v_fmac_f32_e32 v0, v5, v0
	v_mul_f32_e32 v5, v2, v0
	v_fma_f32 v6, -v1, v5, v2
	v_fmac_f32_e32 v5, v6, v0
	v_fma_f32 v1, -v1, v5, v2
	v_div_fmas_f32 v14, v1, v0, v5
	v_add_u32_e32 v0, s34, v4
	v_mul_lo_u32 v0, s6, v0
	v_mov_b32_e32 v6, 0
	s_cselect_b64 s[6:7], -1, 0
	s_and_b64 s[4:5], s[4:5], s[6:7]
	v_add_u32_e32 v0, s9, v0
	v_lshl_add_u32 v5, v0, 8, v34
	v_lshlrev_b64 v[1:2], 2, v[5:6]
	v_add_u32_e32 v5, 0x80, v5
	v_add_co_u32_e32 v7, vcc, s24, v1
	v_addc_co_u32_e32 v8, vcc, v8, v2, vcc
	v_lshlrev_b64 v[5:6], 2, v[5:6]
	v_add_co_u32_e32 v5, vcc, s24, v5
	v_div_fixup_f32 v1, v14, v16, 1.0
	v_cndmask_b32_e64 v14, v1, 1.0, s[6:7]
	v_mul_f32_e32 v4, v14, v3
	v_mul_f32_e32 v3, v14, v9
	;; [unrolled: 1-line block ×4, first 2 shown]
	global_store_dwordx4 v[7:8], v[1:4], off
	v_mov_b32_e32 v7, s25
	v_cvt_f32_f16_e32 v1, v11
	v_mul_f32_e32 v4, v14, v17
	v_mul_f32_e32 v3, v14, v10
	;; [unrolled: 1-line block ×4, first 2 shown]
	v_addc_co_u32_e32 v6, vcc, v7, v6, vcc
	global_store_dwordx4 v[5:6], v[1:4], off
	s_and_b64 exec, exec, s[4:5]
	s_cbranch_execz .LBB72_51
; %bb.50:
	v_ashrrev_i32_e32 v1, 31, v0
	v_lshlrev_b64 v[0:1], 3, v[0:1]
	v_mov_b32_e32 v2, s27
	v_add_co_u32_e32 v0, vcc, s26, v0
	v_addc_co_u32_e32 v1, vcc, v2, v1, vcc
	global_store_dwordx2 v[0:1], v[15:16], off
.LBB72_51:
	s_endpgm
	.section	.rodata,"a",@progbits
	.p2align	6, 0x0
	.amdhsa_kernel _ZL15flash_attn_tileILi256ELi256ELi8ELi1ELb1EEvPKcS1_S1_S1_S1_PKiPfP15HIP_vector_typeIfLj2EEffffjfiS5_IjLj3EEiiiiiiiiiiiliiliiiiil
		.amdhsa_group_segment_fixed_size 22528
		.amdhsa_private_segment_fixed_size 32
		.amdhsa_kernarg_size 464
		.amdhsa_user_sgpr_count 8
		.amdhsa_user_sgpr_private_segment_buffer 1
		.amdhsa_user_sgpr_dispatch_ptr 0
		.amdhsa_user_sgpr_queue_ptr 0
		.amdhsa_user_sgpr_kernarg_segment_ptr 1
		.amdhsa_user_sgpr_dispatch_id 0
		.amdhsa_user_sgpr_flat_scratch_init 1
		.amdhsa_user_sgpr_private_segment_size 0
		.amdhsa_uses_dynamic_stack 0
		.amdhsa_system_sgpr_private_segment_wavefront_offset 1
		.amdhsa_system_sgpr_workgroup_id_x 1
		.amdhsa_system_sgpr_workgroup_id_y 1
		.amdhsa_system_sgpr_workgroup_id_z 1
		.amdhsa_system_sgpr_workgroup_info 0
		.amdhsa_system_vgpr_workitem_id 1
		.amdhsa_next_free_vgpr 85
		.amdhsa_next_free_sgpr 96
		.amdhsa_reserve_vcc 1
		.amdhsa_reserve_flat_scratch 1
		.amdhsa_float_round_mode_32 0
		.amdhsa_float_round_mode_16_64 0
		.amdhsa_float_denorm_mode_32 3
		.amdhsa_float_denorm_mode_16_64 3
		.amdhsa_dx10_clamp 1
		.amdhsa_ieee_mode 1
		.amdhsa_fp16_overflow 0
		.amdhsa_exception_fp_ieee_invalid_op 0
		.amdhsa_exception_fp_denorm_src 0
		.amdhsa_exception_fp_ieee_div_zero 0
		.amdhsa_exception_fp_ieee_overflow 0
		.amdhsa_exception_fp_ieee_underflow 0
		.amdhsa_exception_fp_ieee_inexact 0
		.amdhsa_exception_int_div_zero 0
	.end_amdhsa_kernel
	.section	.text._ZL15flash_attn_tileILi256ELi256ELi8ELi1ELb1EEvPKcS1_S1_S1_S1_PKiPfP15HIP_vector_typeIfLj2EEffffjfiS5_IjLj3EEiiiiiiiiiiiliiliiiiil,"axG",@progbits,_ZL15flash_attn_tileILi256ELi256ELi8ELi1ELb1EEvPKcS1_S1_S1_S1_PKiPfP15HIP_vector_typeIfLj2EEffffjfiS5_IjLj3EEiiiiiiiiiiiliiliiiiil,comdat
.Lfunc_end72:
	.size	_ZL15flash_attn_tileILi256ELi256ELi8ELi1ELb1EEvPKcS1_S1_S1_S1_PKiPfP15HIP_vector_typeIfLj2EEffffjfiS5_IjLj3EEiiiiiiiiiiiliiliiiiil, .Lfunc_end72-_ZL15flash_attn_tileILi256ELi256ELi8ELi1ELb1EEvPKcS1_S1_S1_S1_PKiPfP15HIP_vector_typeIfLj2EEffffjfiS5_IjLj3EEiiiiiiiiiiiliiliiiiil
                                        ; -- End function
	.set _ZL15flash_attn_tileILi256ELi256ELi8ELi1ELb1EEvPKcS1_S1_S1_S1_PKiPfP15HIP_vector_typeIfLj2EEffffjfiS5_IjLj3EEiiiiiiiiiiiliiliiiiil.num_vgpr, 82
	.set _ZL15flash_attn_tileILi256ELi256ELi8ELi1ELb1EEvPKcS1_S1_S1_S1_PKiPfP15HIP_vector_typeIfLj2EEffffjfiS5_IjLj3EEiiiiiiiiiiiliiliiiiil.num_agpr, 0
	.set _ZL15flash_attn_tileILi256ELi256ELi8ELi1ELb1EEvPKcS1_S1_S1_S1_PKiPfP15HIP_vector_typeIfLj2EEffffjfiS5_IjLj3EEiiiiiiiiiiiliiliiiiil.numbered_sgpr, 52
	.set _ZL15flash_attn_tileILi256ELi256ELi8ELi1ELb1EEvPKcS1_S1_S1_S1_PKiPfP15HIP_vector_typeIfLj2EEffffjfiS5_IjLj3EEiiiiiiiiiiiliiliiiiil.num_named_barrier, 0
	.set _ZL15flash_attn_tileILi256ELi256ELi8ELi1ELb1EEvPKcS1_S1_S1_S1_PKiPfP15HIP_vector_typeIfLj2EEffffjfiS5_IjLj3EEiiiiiiiiiiiliiliiiiil.private_seg_size, 32
	.set _ZL15flash_attn_tileILi256ELi256ELi8ELi1ELb1EEvPKcS1_S1_S1_S1_PKiPfP15HIP_vector_typeIfLj2EEffffjfiS5_IjLj3EEiiiiiiiiiiiliiliiiiil.uses_vcc, 1
	.set _ZL15flash_attn_tileILi256ELi256ELi8ELi1ELb1EEvPKcS1_S1_S1_S1_PKiPfP15HIP_vector_typeIfLj2EEffffjfiS5_IjLj3EEiiiiiiiiiiiliiliiiiil.uses_flat_scratch, 1
	.set _ZL15flash_attn_tileILi256ELi256ELi8ELi1ELb1EEvPKcS1_S1_S1_S1_PKiPfP15HIP_vector_typeIfLj2EEffffjfiS5_IjLj3EEiiiiiiiiiiiliiliiiiil.has_dyn_sized_stack, 0
	.set _ZL15flash_attn_tileILi256ELi256ELi8ELi1ELb1EEvPKcS1_S1_S1_S1_PKiPfP15HIP_vector_typeIfLj2EEffffjfiS5_IjLj3EEiiiiiiiiiiiliiliiiiil.has_recursion, 0
	.set _ZL15flash_attn_tileILi256ELi256ELi8ELi1ELb1EEvPKcS1_S1_S1_S1_PKiPfP15HIP_vector_typeIfLj2EEffffjfiS5_IjLj3EEiiiiiiiiiiiliiliiiiil.has_indirect_call, 0
	.section	.AMDGPU.csdata,"",@progbits
; Kernel info:
; codeLenInByte = 21456
; TotalNumSgprs: 58
; NumVgprs: 82
; ScratchSize: 32
; MemoryBound: 0
; FloatMode: 240
; IeeeMode: 1
; LDSByteSize: 22528 bytes/workgroup (compile time only)
; SGPRBlocks: 12
; VGPRBlocks: 21
; NumSGPRsForWavesPerEU: 102
; NumVGPRsForWavesPerEU: 85
; Occupancy: 2
; WaveLimiterHint : 1
; COMPUTE_PGM_RSRC2:SCRATCH_EN: 1
; COMPUTE_PGM_RSRC2:USER_SGPR: 8
; COMPUTE_PGM_RSRC2:TRAP_HANDLER: 0
; COMPUTE_PGM_RSRC2:TGID_X_EN: 1
; COMPUTE_PGM_RSRC2:TGID_Y_EN: 1
; COMPUTE_PGM_RSRC2:TGID_Z_EN: 1
; COMPUTE_PGM_RSRC2:TIDIG_COMP_CNT: 1
	.section	.text._ZL15flash_attn_tileILi256ELi256ELi4ELi1ELb1EEvPKcS1_S1_S1_S1_PKiPfP15HIP_vector_typeIfLj2EEffffjfiS5_IjLj3EEiiiiiiiiiiiliiliiiiil,"axG",@progbits,_ZL15flash_attn_tileILi256ELi256ELi4ELi1ELb1EEvPKcS1_S1_S1_S1_PKiPfP15HIP_vector_typeIfLj2EEffffjfiS5_IjLj3EEiiiiiiiiiiiliiliiiiil,comdat
	.globl	_ZL15flash_attn_tileILi256ELi256ELi4ELi1ELb1EEvPKcS1_S1_S1_S1_PKiPfP15HIP_vector_typeIfLj2EEffffjfiS5_IjLj3EEiiiiiiiiiiiliiliiiiil ; -- Begin function _ZL15flash_attn_tileILi256ELi256ELi4ELi1ELb1EEvPKcS1_S1_S1_S1_PKiPfP15HIP_vector_typeIfLj2EEffffjfiS5_IjLj3EEiiiiiiiiiiiliiliiiiil
	.p2align	8
	.type	_ZL15flash_attn_tileILi256ELi256ELi4ELi1ELb1EEvPKcS1_S1_S1_S1_PKiPfP15HIP_vector_typeIfLj2EEffffjfiS5_IjLj3EEiiiiiiiiiiiliiliiiiil,@function
_ZL15flash_attn_tileILi256ELi256ELi4ELi1ELb1EEvPKcS1_S1_S1_S1_PKiPfP15HIP_vector_typeIfLj2EEffffjfiS5_IjLj3EEiiiiiiiiiiiliiliiiiil: ; @_ZL15flash_attn_tileILi256ELi256ELi4ELi1ELb1EEvPKcS1_S1_S1_S1_PKiPfP15HIP_vector_typeIfLj2EEffffjfiS5_IjLj3EEiiiiiiiiiiiliiliiiiil
; %bb.0:
	s_load_dwordx4 s[28:31], s[4:5], 0x5c
	s_load_dwordx2 s[42:43], s[4:5], 0x80
	s_add_u32 flat_scratch_lo, s6, s11
	s_addc_u32 flat_scratch_hi, s7, 0
	s_add_u32 s0, s0, s11
	s_waitcnt lgkmcnt(0)
	v_cvt_f32_u32_e32 v2, s31
	s_addc_u32 s1, s1, 0
	s_sub_i32 s6, 0, s31
	s_load_dwordx2 s[44:45], s[4:5], 0xb8
	v_rcp_iflag_f32_e32 v2, v2
	s_mov_b64 s[40:41], 0
	v_mul_f32_e32 v2, 0x4f7ffffe, v2
	v_cvt_u32_f32_e32 v2, v2
	v_readfirstlane_b32 s7, v2
	s_mul_i32 s6, s6, s7
	s_mul_hi_u32 s6, s7, s6
	s_add_i32 s7, s7, s6
	s_mul_hi_u32 s6, s10, s7
	s_mul_i32 s7, s6, s31
	s_sub_i32 s7, s10, s7
	s_add_i32 s11, s6, 1
	s_sub_i32 s12, s7, s31
	s_cmp_ge_u32 s7, s31
	s_cselect_b32 s6, s11, s6
	s_cselect_b32 s7, s12, s7
	s_add_i32 s11, s6, 1
	s_cmp_ge_u32 s7, s31
	s_cselect_b32 s33, s11, s6
	s_abs_i32 s6, s43
	v_cvt_f32_u32_e32 v2, s6
	s_mul_i32 s12, s33, s31
	s_sub_i32 s13, 0, s6
	s_sub_i32 s34, s10, s12
	v_rcp_iflag_f32_e32 v2, v2
	s_abs_i32 s11, s31
	s_xor_b32 s7, s31, s43
	s_ashr_i32 s7, s7, 31
	v_mul_f32_e32 v2, 0x4f7ffffe, v2
	v_cvt_u32_f32_e32 v2, v2
	v_readfirstlane_b32 s10, v2
	s_mul_i32 s13, s13, s10
	s_mul_hi_u32 s12, s10, s13
	s_add_i32 s10, s10, s12
	s_mul_hi_u32 s10, s11, s10
	s_mul_i32 s12, s10, s6
	s_sub_i32 s11, s11, s12
	s_add_i32 s13, s10, 1
	s_sub_i32 s12, s11, s6
	s_cmp_ge_u32 s11, s6
	s_cselect_b32 s10, s13, s10
	s_cselect_b32 s11, s12, s11
	s_add_i32 s12, s10, 1
	s_cmp_ge_u32 s11, s6
	s_cselect_b32 s6, s12, s10
	s_xor_b32 s6, s6, s7
	s_sub_i32 s47, s6, s7
	s_abs_i32 s43, s47
	v_cvt_f32_u32_e32 v2, s43
	s_load_dwordx16 s[12:27], s[4:5], 0x0
	s_sub_i32 s6, 0, s43
	s_abs_i32 s46, s34
	v_rcp_iflag_f32_e32 v2, v2
	v_mul_f32_e32 v2, 0x4f7ffffe, v2
	v_cvt_u32_f32_e32 v2, v2
	v_readfirstlane_b32 s7, v2
	s_mul_i32 s6, s6, s7
	s_mul_hi_u32 s6, s7, s6
	s_add_i32 s6, s7, s6
	s_waitcnt lgkmcnt(0)
	s_cmp_eq_u64 s[18:19], 0
	s_cbranch_scc1 .LBB73_2
; %bb.1:
	s_abs_i32 s7, s44
	v_cvt_f32_u32_e32 v2, s7
	s_sub_i32 s37, 0, s7
	s_abs_i32 s36, s33
	s_ashr_i32 s35, s33, 31
	v_rcp_iflag_f32_e32 v2, v2
	s_load_dwordx2 s[10:11], s[4:5], 0xc8
	v_mul_f32_e32 v2, 0x4f7ffffe, v2
	v_cvt_u32_f32_e32 v2, v2
	v_readfirstlane_b32 s38, v2
	s_mul_i32 s37, s37, s38
	s_mul_hi_u32 s37, s38, s37
	s_add_i32 s38, s38, s37
	s_mul_hi_u32 s37, s36, s38
	s_mul_i32 s37, s37, s7
	s_sub_i32 s36, s36, s37
	s_sub_i32 s37, s36, s7
	s_cmp_ge_u32 s36, s7
	s_cselect_b32 s36, s37, s36
	s_sub_i32 s37, s36, s7
	s_cmp_ge_u32 s36, s7
	s_cselect_b32 s7, s37, s36
	s_xor_b32 s7, s7, s35
	s_sub_i32 s7, s7, s35
	s_ashr_i32 s35, s7, 31
	s_waitcnt lgkmcnt(0)
	s_mul_hi_u32 s36, s10, s7
	s_mul_i32 s35, s10, s35
	s_mul_i32 s11, s11, s7
	s_add_i32 s35, s36, s35
	s_add_i32 s35, s35, s11
	s_mul_i32 s7, s10, s7
	s_add_u32 s40, s18, s7
	s_addc_u32 s41, s19, s35
.LBB73_2:
	s_load_dwordx4 s[36:39], s[4:5], 0x40
	s_load_dwordx2 s[18:19], s[4:5], 0x50
	s_mul_hi_u32 s44, s46, s6
	v_mov_b32_e32 v40, 1.0
	s_waitcnt lgkmcnt(0)
	v_cmp_le_f32_e64 s[6:7], s37, 0
	s_and_b64 vcc, exec, s[6:7]
	s_cbranch_vccnz .LBB73_4
; %bb.3:
	v_mov_b32_e32 v2, s18
	v_sub_co_u32_e32 v2, vcc, s34, v2
	v_mov_b32_e32 v3, s39
	v_mov_b32_e32 v4, s38
	s_add_i32 s6, s34, 1
	v_lshlrev_b32_e32 v2, 1, v2
	v_cndmask_b32_e32 v3, v3, v4, vcc
	v_or_b32_e32 v2, 1, v2
	v_mov_b32_e32 v4, s6
	v_cndmask_b32_e32 v2, v2, v4, vcc
	v_cvt_f32_i32_e32 v2, v2
	v_cmp_neq_f32_e32 vcc, 1.0, v3
	s_mov_b32 s6, 0x3f2aaaab
	s_movk_i32 s10, 0x204
	v_cndmask_b32_e32 v4, 1.0, v2, vcc
	v_cmp_neq_f32_e32 vcc, 0, v4
	v_cndmask_b32_e32 v5, 1.0, v3, vcc
	v_frexp_mant_f32_e64 v2, |v5|
	v_cmp_gt_f32_e32 vcc, s6, v2
	v_cndmask_b32_e64 v3, 1.0, 2.0, vcc
	v_mul_f32_e32 v2, v2, v3
	v_add_f32_e32 v3, 1.0, v2
	v_rcp_f32_e32 v6, v3
	v_add_f32_e32 v7, -1.0, v2
	v_add_f32_e32 v8, -1.0, v3
	v_sub_f32_e32 v2, v2, v8
	v_mul_f32_e32 v8, v7, v6
	v_mul_f32_e32 v9, v3, v8
	v_fma_f32 v3, v8, v3, -v9
	v_fmac_f32_e32 v3, v8, v2
	v_add_f32_e32 v2, v9, v3
	v_sub_f32_e32 v10, v7, v2
	v_sub_f32_e32 v9, v2, v9
	;; [unrolled: 1-line block ×5, first 2 shown]
	v_add_f32_e32 v2, v3, v2
	v_add_f32_e32 v2, v10, v2
	v_mul_f32_e32 v2, v6, v2
	v_add_f32_e32 v6, v8, v2
	v_sub_f32_e32 v3, v6, v8
	v_sub_f32_e32 v7, v2, v3
	v_mul_f32_e32 v2, v6, v6
	v_fma_f32 v3, v6, v6, -v2
	v_add_f32_e32 v8, v7, v7
	v_fmac_f32_e32 v3, v6, v8
	v_add_f32_e32 v8, v2, v3
	v_mov_b32_e32 v9, 0x3e91f4c4
	v_sub_f32_e32 v2, v8, v2
	v_fmac_f32_e32 v9, 0x3e76c4e1, v8
	v_mov_b32_e32 v10, 0x3ecccdef
	v_sub_f32_e32 v2, v3, v2
	v_mul_f32_e32 v3, v6, v8
	v_fmac_f32_e32 v10, v8, v9
	v_fma_f32 v9, v8, v6, -v3
	v_fmac_f32_e32 v9, v8, v7
	v_fmac_f32_e32 v9, v2, v6
	v_add_f32_e32 v11, v3, v9
	v_sub_f32_e32 v3, v11, v3
	v_sub_f32_e32 v9, v9, v3
	v_mul_f32_e32 v3, v8, v10
	v_fma_f32 v8, v8, v10, -v3
	v_fmac_f32_e32 v8, v2, v10
	v_add_f32_e32 v10, v3, v8
	v_sub_f32_e32 v2, v10, v3
	v_sub_f32_e32 v8, v8, v2
	v_cvt_f64_f32_e64 v[2:3], |v5|
	v_add_f32_e32 v12, 0x3f2aaaaa, v10
	v_add_f32_e32 v13, 0xbf2aaaaa, v12
	;; [unrolled: 1-line block ×3, first 2 shown]
	v_frexp_exp_i32_f64_e32 v2, v[2:3]
	v_sub_f32_e32 v10, v10, v13
	v_add_f32_e32 v3, v8, v10
	v_add_f32_e32 v8, v12, v3
	v_sub_f32_e32 v10, v12, v8
	v_add_f32_e32 v3, v3, v10
	v_mul_f32_e32 v10, v11, v8
	v_fma_f32 v12, v11, v8, -v10
	v_subbrev_co_u32_e32 v2, vcc, 0, v2, vcc
	v_cvt_f32_i32_e32 v2, v2
	v_fmac_f32_e32 v12, v11, v3
	s_mov_b32 s6, 0x3f317218
	v_fmac_f32_e32 v12, v9, v8
	v_mul_f32_e32 v3, 0x3f317218, v2
	v_fma_f32 v8, v2, s6, -v3
	v_fmac_f32_e32 v8, 0xb102e308, v2
	v_ldexp_f32 v2, v7, 1
	v_add_f32_e32 v7, v3, v8
	v_sub_f32_e32 v3, v7, v3
	v_ldexp_f32 v6, v6, 1
	v_sub_f32_e32 v3, v8, v3
	v_add_f32_e32 v8, v10, v12
	v_sub_f32_e32 v9, v8, v10
	v_add_f32_e32 v10, v6, v8
	v_sub_f32_e32 v9, v12, v9
	v_sub_f32_e32 v6, v10, v6
	;; [unrolled: 1-line block ×3, first 2 shown]
	v_add_f32_e32 v2, v2, v9
	v_add_f32_e32 v2, v2, v6
	;; [unrolled: 1-line block ×3, first 2 shown]
	v_sub_f32_e32 v8, v6, v10
	v_sub_f32_e32 v2, v2, v8
	v_add_f32_e32 v8, v7, v6
	v_sub_f32_e32 v9, v8, v7
	v_sub_f32_e32 v10, v8, v9
	;; [unrolled: 1-line block ×4, first 2 shown]
	v_add_f32_e32 v6, v6, v7
	v_add_f32_e32 v7, v3, v2
	v_sub_f32_e32 v9, v7, v3
	v_sub_f32_e32 v10, v7, v9
	;; [unrolled: 1-line block ×4, first 2 shown]
	v_add_f32_e32 v2, v2, v3
	v_add_f32_e32 v3, v7, v6
	;; [unrolled: 1-line block ×3, first 2 shown]
	v_sub_f32_e32 v7, v6, v8
	v_sub_f32_e32 v3, v3, v7
	v_add_f32_e32 v2, v2, v3
	v_add_f32_e32 v3, v6, v2
	v_sub_f32_e32 v6, v3, v6
	v_sub_f32_e32 v2, v2, v6
	v_mul_f32_e32 v6, v4, v3
	v_fma_f32 v3, v4, v3, -v6
	v_fmac_f32_e32 v3, v4, v2
	v_add_f32_e32 v2, v6, v3
	v_cmp_class_f32_e64 vcc, v6, s10
	v_sub_f32_e32 v7, v2, v6
	v_cndmask_b32_e32 v2, v2, v6, vcc
	s_mov_b32 s7, 0x42b17218
	v_mov_b32_e32 v6, 0x37000000
	v_cmp_eq_f32_e32 vcc, s7, v2
	v_cndmask_b32_e32 v6, 0, v6, vcc
	v_sub_f32_e32 v3, v3, v7
	v_sub_f32_e32 v7, v2, v6
	s_mov_b32 s11, 0x3fb8aa3b
	v_mul_f32_e32 v8, 0x3fb8aa3b, v7
	v_fma_f32 v9, v7, s11, -v8
	v_rndne_f32_e32 v10, v8
	v_fmac_f32_e32 v9, 0x32a5705f, v7
	v_sub_f32_e32 v8, v8, v10
	v_add_f32_e32 v8, v8, v9
	v_exp_f32_e32 v8, v8
	v_cvt_i32_f32_e32 v9, v10
	s_mov_b32 s6, 0x7f800000
	v_cmp_neq_f32_e64 vcc, |v2|, s6
	s_mov_b32 s6, 0xc2ce8ed0
	v_cndmask_b32_e32 v2, 0, v3, vcc
	v_ldexp_f32 v3, v8, v9
	v_cmp_ngt_f32_e32 vcc, s6, v7
	v_add_f32_e32 v2, v6, v2
	v_cndmask_b32_e32 v3, 0, v3, vcc
	v_mov_b32_e32 v6, 0x7f800000
	v_cmp_nlt_f32_e32 vcc, s7, v7
	v_cndmask_b32_e32 v3, v6, v3, vcc
	v_fma_f32 v2, v3, v2, v3
	v_cmp_class_f32_e64 vcc, v3, s10
	v_cndmask_b32_e32 v2, v2, v3, vcc
	v_trunc_f32_e32 v3, v4
	v_cmp_eq_f32_e32 vcc, v3, v4
	v_mul_f32_e32 v3, 0.5, v4
	v_trunc_f32_e32 v8, v3
	v_cmp_neq_f32_e64 s[6:7], v8, v3
	s_and_b64 s[6:7], vcc, s[6:7]
	v_cndmask_b32_e64 v3, 1.0, v5, s[6:7]
	s_brev_b32 s18, -2
	v_mov_b32_e32 v7, 0x7fc00000
	v_bfi_b32 v2, s18, v2, v3
	v_cndmask_b32_e32 v3, v7, v2, vcc
	v_cmp_gt_f32_e32 vcc, 0, v5
	v_cndmask_b32_e32 v2, v2, v3, vcc
	v_cmp_class_f32_e64 s[38:39], v5, s10
	v_cmp_eq_f32_e32 vcc, 0, v5
	v_cmp_gt_f32_e64 s[10:11], 0, v4
	s_xor_b64 s[10:11], s[10:11], vcc
	v_cndmask_b32_e64 v3, v6, 0, s[10:11]
	v_cndmask_b32_e64 v4, 0, v5, s[6:7]
	v_bfi_b32 v3, s18, v3, v4
	s_or_b64 vcc, vcc, s[38:39]
	v_cndmask_b32_e32 v2, v2, v3, vcc
	v_cmp_o_f32_e32 vcc, v5, v5
	v_cndmask_b32_e32 v40, v7, v2, vcc
.LBB73_4:
	v_lshrrev_b32_e32 v6, 1, v1
	s_load_dwordx4 s[48:51], s[4:5], 0x70
	v_lshl_add_u32 v33, s8, 2, v6
	v_mul_hi_u32 v2, s28, v33
	s_ashr_i32 s35, s34, 31
	s_ashr_i32 s6, s47, 31
	s_waitcnt lgkmcnt(0)
	s_mul_i32 s7, s33, s50
	v_add_u32_e32 v2, v33, v2
	s_ashr_i32 s10, s7, 31
	v_lshrrev_b32_e32 v2, s29, v2
	s_add_u32 s7, s12, s7
	s_mul_i32 s11, s34, s49
	v_mul_lo_u32 v2, v2, s30
	s_addc_u32 s10, s13, s10
	s_ashr_i32 s12, s11, 31
	s_add_u32 s7, s7, s11
	s_addc_u32 s12, s10, s12
	s_ashr_i32 s49, s48, 31
	v_sub_u32_e32 v41, v33, v2
	s_lshr_b64 s[10:11], s[48:49], 2
	v_mad_u64_u32 v[2:3], s[10:11], s10, v41, 0
	s_lshr_b32 s10, s49, 2
	v_lshlrev_b32_e32 v35, 4, v0
	v_mad_u64_u32 v[3:4], s[10:11], s10, v41, v[3:4]
	v_mov_b32_e32 v4, s12
	v_lshlrev_b32_e32 v7, 8, v1
	v_lshlrev_b64 v[2:3], 2, v[2:3]
	v_and_b32_e32 v7, 0x100, v7
	v_add_co_u32_e32 v2, vcc, s7, v2
	v_addc_co_u32_e32 v3, vcc, v4, v3, vcc
	v_lshlrev_b32_e32 v4, 9, v1
	v_and_b32_e32 v4, 0x200, v4
	v_add_co_u32_e32 v2, vcc, v2, v4
	v_addc_co_u32_e32 v3, vcc, 0, v3, vcc
	v_add_co_u32_e32 v2, vcc, v2, v35
	v_addc_co_u32_e32 v3, vcc, 0, v3, vcc
	global_load_dwordx4 v[2:5], v[2:3], off
	v_lshlrev_b32_e32 v39, 3, v0
	v_lshl_or_b32 v6, v6, 9, v7
	v_lshlrev_b32_e32 v34, 2, v0
	v_mov_b32_e32 v36, 0
	v_add_u32_e32 v6, v6, v39
	s_cmp_eq_u64 s[22:23], 0
	s_waitcnt vmcnt(0)
	v_fma_mixlo_f16 v2, s36, v2, 0
	v_fma_mixlo_f16 v3, s36, v3, 0
	;; [unrolled: 1-line block ×4, first 2 shown]
	v_lshlrev_b32_e32 v3, 16, v3
	v_and_b32_e32 v2, 0xffff, v2
	v_lshlrev_b32_e32 v5, 16, v5
	v_and_b32_e32 v4, 0xffff, v4
	v_or_b32_e32 v2, v3, v2
	v_or3_b32 v3, v5, v4, 0
	v_or3_b32 v2, 0, 0, v2
	ds_write_b64 v6, v[2:3] offset:17408
	s_waitcnt lgkmcnt(0)
	s_barrier
	s_cbranch_scc1 .LBB73_6
; %bb.5:
	s_load_dword s7, s[4:5], 0xd0
	s_mov_b32 s11, 0
	s_waitcnt lgkmcnt(0)
	s_mul_i32 s7, s7, s33
	s_add_i32 s10, s7, s8
	s_lshl_b64 s[10:11], s[10:11], 2
	s_add_u32 s10, s22, s10
	s_addc_u32 s11, s23, s11
	s_load_dword s42, s[10:11], 0x0
.LBB73_6:
	s_nop 0
	s_load_dwordx2 s[10:11], s[4:5], 0x8c
	s_load_dwordx4 s[36:39], s[4:5], 0x98
	s_ashr_i32 s7, s33, 31
	s_ashr_i32 s22, s45, 1
	s_load_dwordx2 s[12:13], s[4:5], 0xa8
	s_waitcnt lgkmcnt(0)
	s_ashr_i32 s28, s10, 2
	s_mul_hi_u32 s10, s36, s33
	s_mul_i32 s18, s36, s7
	s_add_i32 s10, s10, s18
	s_mul_i32 s18, s37, s33
	s_ashr_i32 s8, s38, 2
	s_add_i32 s10, s10, s18
	s_mul_i32 s18, s36, s33
	s_add_u32 s14, s14, s18
	s_addc_u32 s10, s15, s10
	s_mul_i32 s15, s44, s43
	s_sub_i32 s15, s46, s15
	s_xor_b32 s6, s35, s6
	s_add_i32 s18, s44, 1
	s_sub_i32 s23, s15, s43
	s_cmp_ge_u32 s15, s43
	s_cselect_b32 s18, s18, s44
	s_cselect_b32 s15, s23, s15
	s_add_i32 s23, s18, 1
	s_cmp_ge_u32 s15, s43
	s_cselect_b32 s15, s23, s18
	s_xor_b32 s15, s15, s6
	s_sub_i32 s6, s15, s6
	s_mul_i32 s11, s6, s11
	s_ashr_i32 s15, s11, 31
	s_add_u32 s29, s14, s11
	s_addc_u32 s36, s10, s15
	s_mul_hi_u32 s10, s12, s33
	s_mul_i32 s7, s12, s7
	s_add_i32 s7, s10, s7
	s_mul_i32 s10, s13, s33
	s_add_i32 s7, s7, s10
	s_mul_i32 s10, s12, s33
	s_add_u32 s10, s16, s10
	s_mul_i32 s6, s6, s39
	s_addc_u32 s7, s17, s7
	s_ashr_i32 s11, s6, 31
	v_mul_lo_u32 v6, s8, v1
	s_add_u32 s16, s10, s6
	s_addc_u32 s17, s7, s11
	s_lshl_b32 s18, s9, 6
	s_sub_i32 s23, s42, 64
	v_lshlrev_b32_e32 v45, 6, v1
	s_cmp_ge_i32 s18, s23
	v_lshrrev_b32_e32 v47, 4, v0
	v_and_b32_e32 v46, 60, v34
	v_lshlrev_b32_e32 v42, 5, v1
	v_and_b32_e32 v43, 1, v0
	v_lshlrev_b32_e32 v38, 2, v34
	v_and_b32_e32 v37, 1, v1
	v_mbcnt_lo_u32_b32 v44, -1, 0
	s_cbranch_scc1 .LBB73_19
; %bb.7:
	v_lshl_add_u32 v4, v1, 1, v47
	v_mul_lo_u32 v3, s28, v4
	v_lshlrev_b32_e32 v5, 2, v46
	s_movk_i32 s6, 0x110
	v_mad_u32_u24 v48, v4, s6, v5
	s_lshl_b32 s6, s28, 4
	v_add_u32_e32 v11, s6, v3
	v_and_b32_e32 v7, 32, v42
	v_add_u32_e32 v13, s6, v11
	v_add_u32_e32 v5, v7, v0
	v_and_b32_e32 v10, 0x3f80, v45
	v_mov_b32_e32 v8, 0x4400
	v_add_u32_e32 v15, s6, v13
	v_lshl_add_u32 v53, v10, 2, v8
	s_cmp_lg_u64 s[40:41], 0
	v_mad_u64_u32 v[8:9], s[6:7], v41, s22, v[5:6]
	s_movk_i32 s12, 0xfe
	s_cselect_b64 s[10:11], -1, 0
	v_and_or_b32 v9, v1, s12, v43
	s_lshl_b32 s12, s8, 3
	v_mul_u32_u24_e32 v52, 0x110, v5
	v_mov_b32_e32 v5, 0x4e00
	v_add_u32_e32 v19, s12, v6
	v_lshl_add_u32 v54, v1, 2, v5
	v_lshl_add_u32 v55, v9, 2, v5
	v_add_u32_e32 v5, 0x4c00, v10
	v_add_u32_e32 v21, s12, v19
	v_lshl_or_b32 v7, v7, 1, v5
	v_add_u32_e32 v23, s12, v21
	v_ashrrev_i32_e32 v4, 31, v3
	v_ashrrev_i32_e32 v12, 31, v11
	;; [unrolled: 1-line block ×4, first 2 shown]
	v_lshl_add_u32 v56, v0, 1, v7
	v_ashrrev_i32_e32 v7, 31, v6
	v_ashrrev_i32_e32 v20, 31, v19
	;; [unrolled: 1-line block ×4, first 2 shown]
	v_and_b32_e32 v9, 1, v1
	v_mov_b32_e32 v2, 0
	v_lshl_add_u32 v57, v1, 9, v38
	v_lshl_or_b32 v61, v9, 1, v5
	v_lshl_add_u32 v62, v9, 9, v39
	s_add_u32 s12, s4, 0xd0
	v_lshlrev_b64 v[9:10], 2, v[3:4]
	v_lshlrev_b64 v[11:12], 2, v[11:12]
	;; [unrolled: 1-line block ×8, first 2 shown]
	v_add_u32_e32 v49, 0x1100, v48
	v_add_u32_e32 v50, 0x2200, v48
	;; [unrolled: 1-line block ×3, first 2 shown]
	v_cmp_eq_u32_e64 s[6:7], 0, v0
	v_add_u32_e32 v58, 0x1000, v57
	v_add_u32_e32 v59, 0x2000, v57
	;; [unrolled: 1-line block ×3, first 2 shown]
	s_addc_u32 s13, s5, 0
	v_mov_b32_e32 v69, 0xfeffffff
	v_lshlrev_b32_e32 v63, 2, v46
	s_mov_b32 s37, 0x3f200000
	s_mov_b32 s38, 0x3fb8aa3b
	;; [unrolled: 1-line block ×4, first 2 shown]
	v_mov_b32_e32 v64, 0xbd5c1c4e
	v_mov_b32_e32 v65, 0x3e088382
	;; [unrolled: 1-line block ×3, first 2 shown]
	s_brev_b32 s44, -2
	v_mbcnt_hi_u32_b32 v67, -1, v44
	v_mov_b32_e32 v68, 0x7f800000
	v_mov_b32_e32 v3, v2
	;; [unrolled: 1-line block ×5, first 2 shown]
.LBB73_8:                               ; =>This Inner Loop Header: Depth=1
	s_mul_hi_i32 s15, s18, s28
	s_mul_i32 s14, s18, s28
	s_lshl_b64 s[14:15], s[14:15], 2
	s_add_u32 s14, s29, s14
	s_addc_u32 s15, s36, s15
	v_add_co_u32_e32 v7, vcc, s14, v9
	v_mov_b32_e32 v25, s15
	v_addc_co_u32_e32 v26, vcc, v25, v10, vcc
	v_add_co_u32_e32 v25, vcc, v7, v63
	v_addc_co_u32_e32 v26, vcc, 0, v26, vcc
	global_load_dwordx4 v[27:30], v[25:26], off
	v_add_co_u32_e32 v7, vcc, s14, v11
	s_waitcnt vmcnt(0)
	ds_write_b128 v48, v[27:30]
	v_mov_b32_e32 v27, s15
	v_addc_co_u32_e32 v28, vcc, v27, v12, vcc
	v_add_co_u32_e32 v27, vcc, v7, v63
	v_addc_co_u32_e32 v28, vcc, 0, v28, vcc
	global_load_dwordx4 v[29:32], v[27:28], off
	v_add_co_u32_e32 v7, vcc, s14, v13
	s_waitcnt vmcnt(0)
	ds_write_b128 v49, v[29:32]
	v_mov_b32_e32 v29, s15
	v_addc_co_u32_e32 v30, vcc, v29, v14, vcc
	v_add_co_u32_e32 v29, vcc, v7, v63
	v_addc_co_u32_e32 v30, vcc, 0, v30, vcc
	global_load_dwordx4 v[70:73], v[29:30], off
	v_add_co_u32_e32 v7, vcc, s14, v15
	v_mov_b32_e32 v31, s15
	v_addc_co_u32_e32 v32, vcc, v31, v16, vcc
	v_add_co_u32_e32 v31, vcc, v7, v63
	v_addc_co_u32_e32 v32, vcc, 0, v32, vcc
	v_mov_b32_e32 v7, 0
	s_waitcnt vmcnt(0)
	ds_write_b128 v50, v[70:73]
	global_load_dwordx4 v[70:73], v[31:32], off
	s_waitcnt vmcnt(0)
	ds_write_b128 v51, v[70:73]
	s_waitcnt lgkmcnt(0)
	s_barrier
	ds_read_b128 v[70:73], v52
	ds_read_b128 v[74:77], v53
	s_waitcnt lgkmcnt(0)
	;;#ASMSTART
	v_dot2_f32_f16 v7, v70, v74, v7
	;;#ASMEND
	;;#ASMSTART
	v_dot2_f32_f16 v7, v71, v75, v7
	;;#ASMEND
	;;#ASMSTART
	v_dot2_f32_f16 v7, v72, v76, v7
	;;#ASMEND
	;;#ASMSTART
	v_dot2_f32_f16 v7, v73, v77, v7
	;;#ASMEND
	ds_read_b128 v[70:73], v52 offset:16
	ds_read_b128 v[74:77], v53 offset:16
	s_waitcnt lgkmcnt(0)
	;;#ASMSTART
	v_dot2_f32_f16 v7, v70, v74, v7
	;;#ASMEND
	;;#ASMSTART
	v_dot2_f32_f16 v7, v71, v75, v7
	;;#ASMEND
	;;#ASMSTART
	v_dot2_f32_f16 v7, v72, v76, v7
	;;#ASMEND
	;;#ASMSTART
	v_dot2_f32_f16 v7, v73, v77, v7
	;;#ASMEND
	ds_read_b128 v[70:73], v52 offset:32
	ds_read_b128 v[74:77], v53 offset:32
	s_waitcnt lgkmcnt(0)
	;;#ASMSTART
	v_dot2_f32_f16 v7, v70, v74, v7
	;;#ASMEND
	;;#ASMSTART
	v_dot2_f32_f16 v7, v71, v75, v7
	;;#ASMEND
	;;#ASMSTART
	v_dot2_f32_f16 v7, v72, v76, v7
	;;#ASMEND
	;;#ASMSTART
	v_dot2_f32_f16 v7, v73, v77, v7
	;;#ASMEND
	ds_read_b128 v[70:73], v52 offset:48
	ds_read_b128 v[74:77], v53 offset:48
	s_waitcnt lgkmcnt(0)
	;;#ASMSTART
	v_dot2_f32_f16 v7, v70, v74, v7
	;;#ASMEND
	;;#ASMSTART
	v_dot2_f32_f16 v7, v71, v75, v7
	;;#ASMEND
	;;#ASMSTART
	v_dot2_f32_f16 v7, v72, v76, v7
	;;#ASMEND
	;;#ASMSTART
	v_dot2_f32_f16 v7, v73, v77, v7
	;;#ASMEND
	ds_read_b128 v[70:73], v52 offset:64
	ds_read_b128 v[74:77], v53 offset:64
	s_waitcnt lgkmcnt(0)
	;;#ASMSTART
	v_dot2_f32_f16 v7, v70, v74, v7
	;;#ASMEND
	;;#ASMSTART
	v_dot2_f32_f16 v7, v71, v75, v7
	;;#ASMEND
	;;#ASMSTART
	v_dot2_f32_f16 v7, v72, v76, v7
	;;#ASMEND
	;;#ASMSTART
	v_dot2_f32_f16 v7, v73, v77, v7
	;;#ASMEND
	ds_read_b128 v[70:73], v52 offset:80
	ds_read_b128 v[74:77], v53 offset:80
	s_waitcnt lgkmcnt(0)
	;;#ASMSTART
	v_dot2_f32_f16 v7, v70, v74, v7
	;;#ASMEND
	;;#ASMSTART
	v_dot2_f32_f16 v7, v71, v75, v7
	;;#ASMEND
	;;#ASMSTART
	v_dot2_f32_f16 v7, v72, v76, v7
	;;#ASMEND
	;;#ASMSTART
	v_dot2_f32_f16 v7, v73, v77, v7
	;;#ASMEND
	ds_read_b128 v[70:73], v52 offset:96
	ds_read_b128 v[74:77], v53 offset:96
	s_waitcnt lgkmcnt(0)
	;;#ASMSTART
	v_dot2_f32_f16 v7, v70, v74, v7
	;;#ASMEND
	;;#ASMSTART
	v_dot2_f32_f16 v7, v71, v75, v7
	;;#ASMEND
	;;#ASMSTART
	v_dot2_f32_f16 v7, v72, v76, v7
	;;#ASMEND
	;;#ASMSTART
	v_dot2_f32_f16 v7, v73, v77, v7
	;;#ASMEND
	ds_read_b128 v[70:73], v52 offset:112
	ds_read_b128 v[74:77], v53 offset:112
	s_waitcnt lgkmcnt(0)
	;;#ASMSTART
	v_dot2_f32_f16 v7, v70, v74, v7
	;;#ASMEND
	;;#ASMSTART
	v_dot2_f32_f16 v7, v71, v75, v7
	;;#ASMEND
	;;#ASMSTART
	v_dot2_f32_f16 v7, v72, v76, v7
	;;#ASMEND
	;;#ASMSTART
	v_dot2_f32_f16 v7, v73, v77, v7
	;;#ASMEND
	ds_read_b128 v[70:73], v52 offset:128
	ds_read_b128 v[74:77], v53 offset:128
	s_waitcnt lgkmcnt(0)
	;;#ASMSTART
	v_dot2_f32_f16 v7, v70, v74, v7
	;;#ASMEND
	;;#ASMSTART
	v_dot2_f32_f16 v7, v71, v75, v7
	;;#ASMEND
	;;#ASMSTART
	v_dot2_f32_f16 v7, v72, v76, v7
	;;#ASMEND
	;;#ASMSTART
	v_dot2_f32_f16 v7, v73, v77, v7
	;;#ASMEND
	ds_read_b128 v[70:73], v52 offset:144
	ds_read_b128 v[74:77], v53 offset:144
	s_waitcnt lgkmcnt(0)
	;;#ASMSTART
	v_dot2_f32_f16 v7, v70, v74, v7
	;;#ASMEND
	;;#ASMSTART
	v_dot2_f32_f16 v7, v71, v75, v7
	;;#ASMEND
	;;#ASMSTART
	v_dot2_f32_f16 v7, v72, v76, v7
	;;#ASMEND
	;;#ASMSTART
	v_dot2_f32_f16 v7, v73, v77, v7
	;;#ASMEND
	ds_read_b128 v[70:73], v52 offset:160
	ds_read_b128 v[74:77], v53 offset:160
	s_waitcnt lgkmcnt(0)
	;;#ASMSTART
	v_dot2_f32_f16 v7, v70, v74, v7
	;;#ASMEND
	;;#ASMSTART
	v_dot2_f32_f16 v7, v71, v75, v7
	;;#ASMEND
	;;#ASMSTART
	v_dot2_f32_f16 v7, v72, v76, v7
	;;#ASMEND
	;;#ASMSTART
	v_dot2_f32_f16 v7, v73, v77, v7
	;;#ASMEND
	ds_read_b128 v[70:73], v52 offset:176
	ds_read_b128 v[74:77], v53 offset:176
	s_waitcnt lgkmcnt(0)
	;;#ASMSTART
	v_dot2_f32_f16 v7, v70, v74, v7
	;;#ASMEND
	;;#ASMSTART
	v_dot2_f32_f16 v7, v71, v75, v7
	;;#ASMEND
	;;#ASMSTART
	v_dot2_f32_f16 v7, v72, v76, v7
	;;#ASMEND
	;;#ASMSTART
	v_dot2_f32_f16 v7, v73, v77, v7
	;;#ASMEND
	ds_read_b128 v[70:73], v52 offset:192
	ds_read_b128 v[74:77], v53 offset:192
	s_waitcnt lgkmcnt(0)
	;;#ASMSTART
	v_dot2_f32_f16 v7, v70, v74, v7
	;;#ASMEND
	;;#ASMSTART
	v_dot2_f32_f16 v7, v71, v75, v7
	;;#ASMEND
	;;#ASMSTART
	v_dot2_f32_f16 v7, v72, v76, v7
	;;#ASMEND
	;;#ASMSTART
	v_dot2_f32_f16 v7, v73, v77, v7
	;;#ASMEND
	ds_read_b128 v[70:73], v52 offset:208
	ds_read_b128 v[74:77], v53 offset:208
	s_waitcnt lgkmcnt(0)
	;;#ASMSTART
	v_dot2_f32_f16 v7, v70, v74, v7
	;;#ASMEND
	;;#ASMSTART
	v_dot2_f32_f16 v7, v71, v75, v7
	;;#ASMEND
	;;#ASMSTART
	v_dot2_f32_f16 v7, v72, v76, v7
	;;#ASMEND
	;;#ASMSTART
	v_dot2_f32_f16 v7, v73, v77, v7
	;;#ASMEND
	ds_read_b128 v[70:73], v52 offset:224
	ds_read_b128 v[74:77], v53 offset:224
	s_waitcnt lgkmcnt(0)
	;;#ASMSTART
	v_dot2_f32_f16 v7, v70, v74, v7
	;;#ASMEND
	;;#ASMSTART
	v_dot2_f32_f16 v7, v71, v75, v7
	;;#ASMEND
	;;#ASMSTART
	v_dot2_f32_f16 v7, v72, v76, v7
	;;#ASMEND
	;;#ASMSTART
	v_dot2_f32_f16 v7, v73, v77, v7
	;;#ASMEND
	ds_read_b128 v[70:73], v52 offset:240
	ds_read_b128 v[74:77], v53 offset:240
	s_waitcnt lgkmcnt(0)
	;;#ASMSTART
	v_dot2_f32_f16 v7, v70, v74, v7
	;;#ASMEND
	;;#ASMSTART
	v_dot2_f32_f16 v7, v71, v75, v7
	;;#ASMEND
	;; [unrolled: 3-line block ×4, first 2 shown]
	s_barrier
	global_load_dwordx4 v[70:73], v[25:26], off offset:256
	s_waitcnt vmcnt(0)
	ds_write_b128 v48, v[70:73]
	global_load_dwordx4 v[25:28], v[27:28], off offset:256
	s_waitcnt vmcnt(0)
	ds_write_b128 v49, v[25:28]
	;; [unrolled: 3-line block ×4, first 2 shown]
	s_waitcnt lgkmcnt(0)
	s_barrier
	ds_read_b128 v[25:28], v52
	ds_read_b128 v[29:32], v53 offset:256
	s_waitcnt lgkmcnt(0)
	;;#ASMSTART
	v_dot2_f32_f16 v7, v25, v29, v7
	;;#ASMEND
	;;#ASMSTART
	v_dot2_f32_f16 v7, v26, v30, v7
	;;#ASMEND
	;;#ASMSTART
	v_dot2_f32_f16 v7, v27, v31, v7
	;;#ASMEND
	;;#ASMSTART
	v_dot2_f32_f16 v7, v28, v32, v7
	;;#ASMEND
	ds_read_b128 v[25:28], v52 offset:16
	ds_read_b128 v[29:32], v53 offset:272
	s_waitcnt lgkmcnt(0)
	;;#ASMSTART
	v_dot2_f32_f16 v7, v25, v29, v7
	;;#ASMEND
	;;#ASMSTART
	v_dot2_f32_f16 v7, v26, v30, v7
	;;#ASMEND
	;;#ASMSTART
	v_dot2_f32_f16 v7, v27, v31, v7
	;;#ASMEND
	;;#ASMSTART
	v_dot2_f32_f16 v7, v28, v32, v7
	;;#ASMEND
	ds_read_b128 v[25:28], v52 offset:32
	;; [unrolled: 15-line block ×15, first 2 shown]
	ds_read_b128 v[29:32], v53 offset:496
	s_waitcnt lgkmcnt(0)
	;;#ASMSTART
	v_dot2_f32_f16 v7, v25, v29, v7
	;;#ASMEND
	;;#ASMSTART
	v_dot2_f32_f16 v7, v26, v30, v7
	;;#ASMEND
	;; [unrolled: 3-line block ×4, first 2 shown]
	v_cmp_nlt_f32_e64 s[14:15], |v7|, s37
                                        ; implicit-def: $vgpr26
	s_and_saveexec_b64 s[46:47], s[14:15]
	s_xor_b64 s[14:15], exec, s[46:47]
	s_cbranch_execnz .LBB73_12
; %bb.9:                                ;   in Loop: Header=BB73_8 Depth=1
	s_andn2_saveexec_b64 s[14:15], s[14:15]
	s_cbranch_execnz .LBB73_13
.LBB73_10:                              ;   in Loop: Header=BB73_8 Depth=1
	s_or_b64 exec, exec, s[14:15]
	s_andn2_b64 vcc, exec, s[10:11]
	s_cbranch_vccnz .LBB73_14
.LBB73_11:                              ;   in Loop: Header=BB73_8 Depth=1
	v_add_u32_e32 v27, s18, v8
	v_ashrrev_i32_e32 v28, 31, v27
	v_lshlrev_b64 v[27:28], 1, v[27:28]
	v_mov_b32_e32 v25, s41
	v_add_co_u32_e32 v27, vcc, s40, v27
	v_addc_co_u32_e32 v28, vcc, v25, v28, vcc
	global_load_ushort v25, v[27:28], off
	s_waitcnt vmcnt(0)
	v_cvt_f32_f16_e32 v25, v25
	v_mul_f32_e32 v25, v40, v25
	s_branch .LBB73_15
.LBB73_12:                              ;   in Loop: Header=BB73_8 Depth=1
	v_add_f32_e64 v25, |v7|, |v7|
	v_mul_f32_e32 v26, 0x3fb8aa3b, v25
	v_rndne_f32_e32 v27, v26
	v_sub_f32_e32 v28, v26, v27
	v_fma_f32 v26, v25, s38, -v26
	v_fmac_f32_e32 v26, 0x32a5705f, v25
	v_add_f32_e32 v26, v28, v26
	v_cvt_i32_f32_e32 v27, v27
	v_exp_f32_e32 v26, v26
	v_cmp_ngt_f32_e32 vcc, s39, v25
	v_ldexp_f32 v26, v26, v27
	v_cndmask_b32_e32 v26, 0, v26, vcc
	v_cmp_nlt_f32_e32 vcc, s43, v25
	v_cndmask_b32_e32 v25, v68, v26, vcc
	v_add_f32_e32 v25, 1.0, v25
	v_rcp_f32_e32 v25, v25
	v_fma_f32 v26, v25, -2.0, 1.0
	s_andn2_saveexec_b64 s[14:15], s[14:15]
	s_cbranch_execz .LBB73_10
.LBB73_13:                              ;   in Loop: Header=BB73_8 Depth=1
	v_mul_f32_e32 v25, v7, v7
	v_mov_b32_e32 v26, 0x3ca908c9
	v_fmac_f32_e32 v26, 0xbbbac73d, v25
	v_fma_f32 v26, v25, v26, v64
	v_fma_f32 v26, v25, v26, v65
	;; [unrolled: 1-line block ×3, first 2 shown]
	v_mul_f32_e64 v26, |v7|, v26
	v_fma_f32 v26, v25, v26, |v7|
	s_or_b64 exec, exec, s[14:15]
	s_andn2_b64 vcc, exec, s[10:11]
	s_cbranch_vccz .LBB73_11
.LBB73_14:                              ;   in Loop: Header=BB73_8 Depth=1
	v_mov_b32_e32 v25, 0
.LBB73_15:                              ;   in Loop: Header=BB73_8 Depth=1
	v_bfi_b32 v7, s44, v26, v7
	v_and_b32_e32 v26, 0x60, v67
	v_add_u32_e32 v26, 32, v26
	v_xor_b32_e32 v27, 16, v67
	v_cmp_lt_i32_e32 vcc, v27, v26
	v_fmac_f32_e32 v25, s19, v7
	v_cndmask_b32_e32 v27, v67, v27, vcc
	v_add_f32_e32 v7, 0x40051340, v25
	v_max_f32_e32 v28, v69, v69
	v_lshlrev_b32_e32 v27, 2, v27
	v_max_f32_e32 v7, v28, v7
	ds_bpermute_b32 v27, v27, v7
	v_xor_b32_e32 v28, 8, v67
	v_cmp_lt_i32_e32 vcc, v28, v26
	v_cndmask_b32_e32 v28, v67, v28, vcc
	v_lshlrev_b32_e32 v28, 2, v28
	s_waitcnt lgkmcnt(0)
	v_max_f32_e32 v27, v27, v27
	v_max_f32_e32 v7, v7, v27
	ds_bpermute_b32 v27, v28, v7
	v_xor_b32_e32 v28, 4, v67
	v_cmp_lt_i32_e32 vcc, v28, v26
	v_cndmask_b32_e32 v28, v67, v28, vcc
	v_lshlrev_b32_e32 v28, 2, v28
	s_waitcnt lgkmcnt(0)
	v_max_f32_e32 v27, v27, v27
	;; [unrolled: 8-line block ×4, first 2 shown]
	v_max_f32_e32 v26, v27, v26
	ds_bpermute_b32 v27, v29, v26
	s_and_saveexec_b64 s[14:15], s[6:7]
	s_cbranch_execz .LBB73_17
; %bb.16:                               ;   in Loop: Header=BB73_8 Depth=1
	s_waitcnt lgkmcnt(0)
	v_max_f32_e32 v27, v27, v27
	v_max_f32_e32 v26, v26, v26
	;; [unrolled: 1-line block ×3, first 2 shown]
	ds_write_b32 v54, v26
.LBB73_17:                              ;   in Loop: Header=BB73_8 Depth=1
	s_or_b64 exec, exec, s[14:15]
	s_mul_hi_i32 s15, s18, s8
	s_mul_i32 s14, s18, s8
	s_lshl_b64 s[14:15], s[14:15], 2
	s_add_u32 s14, s16, s14
	s_addc_u32 s15, s17, s15
	v_mov_b32_e32 v26, s15
	s_waitcnt lgkmcnt(0)
	v_add_co_u32_e32 v27, vcc, s14, v17
	v_addc_co_u32_e32 v28, vcc, v26, v18, vcc
	v_add_co_u32_e32 v26, vcc, v27, v38
	v_addc_co_u32_e32 v27, vcc, 0, v28, vcc
	v_mov_b32_e32 v28, s15
	v_add_co_u32_e32 v29, vcc, s14, v19
	v_addc_co_u32_e32 v28, vcc, v28, v20, vcc
	v_add_co_u32_e32 v31, vcc, v29, v38
	v_addc_co_u32_e32 v32, vcc, 0, v28, vcc
	s_barrier
	global_load_dwordx4 v[27:30], v[26:27], off
	s_nop 0
	global_load_dwordx4 v[70:73], v[31:32], off
	v_mov_b32_e32 v26, s15
	v_add_co_u32_e32 v31, vcc, s14, v21
	v_addc_co_u32_e32 v26, vcc, v26, v22, vcc
	v_add_co_u32_e32 v31, vcc, v31, v38
	v_addc_co_u32_e32 v32, vcc, 0, v26, vcc
	v_mov_b32_e32 v26, s15
	v_add_co_u32_e32 v74, vcc, s14, v23
	v_addc_co_u32_e32 v26, vcc, v26, v24, vcc
	v_add_co_u32_e32 v78, vcc, v74, v38
	v_addc_co_u32_e32 v79, vcc, 0, v26, vcc
	global_load_dwordx4 v[74:77], v[31:32], off
	s_nop 0
	global_load_dwordx4 v[78:81], v[78:79], off
	ds_read_b32 v26, v55
	v_and_b32_e32 v31, 0x7e, v67
	v_add_u32_e32 v31, 2, v31
	v_cmp_lt_i32_e32 vcc, v7, v31
	v_cndmask_b32_e32 v7, v67, v7, vcc
	v_lshlrev_b32_e32 v7, 2, v7
	s_waitcnt lgkmcnt(0)
	ds_bpermute_b32 v7, v7, v26
	v_max_f32_e32 v26, v26, v26
	s_or_b32 s14, s18, 32
	s_mul_hi_i32 s15, s14, s8
	s_mul_i32 s14, s14, s8
	s_waitcnt lgkmcnt(0)
	v_max_f32_e32 v7, v7, v7
	v_max_f32_e32 v7, v26, v7
	v_sub_f32_e32 v26, v25, v7
	v_mul_f32_e32 v25, 0x3fb8aa3b, v26
	v_fma_f32 v31, v26, s38, -v25
	v_rndne_f32_e32 v32, v25
	v_fmac_f32_e32 v31, 0x32a5705f, v26
	v_sub_f32_e32 v25, v25, v32
	v_add_f32_e32 v25, v25, v31
	v_cvt_i32_f32_e32 v31, v32
	v_sub_f32_e32 v32, v69, v7
	v_mul_f32_e32 v69, 0x3fb8aa3b, v32
	v_fma_f32 v82, v32, s38, -v69
	v_rndne_f32_e32 v83, v69
	v_fmac_f32_e32 v82, 0x32a5705f, v32
	v_sub_f32_e32 v69, v69, v83
	v_exp_f32_e32 v25, v25
	v_add_f32_e32 v69, v69, v82
	v_exp_f32_e32 v69, v69
	v_cvt_i32_f32_e32 v82, v83
	v_ldexp_f32 v25, v25, v31
	v_cmp_ngt_f32_e32 vcc, s39, v26
	v_cndmask_b32_e32 v31, 0, v25, vcc
	v_ldexp_f32 v25, v69, v82
	v_cmp_ngt_f32_e32 vcc, s39, v32
	v_cndmask_b32_e32 v25, 0, v25, vcc
	v_cmp_nlt_f32_e32 vcc, s43, v32
	v_cndmask_b32_e32 v25, v68, v25, vcc
	v_cmp_nlt_f32_e32 vcc, s43, v26
	v_cndmask_b32_e32 v26, v68, v31, vcc
	v_cvt_f16_f32_e32 v32, v25
	v_cvt_f16_f32_e32 v31, v26
	s_lshl_b64 s[14:15], s[14:15], 2
	s_add_u32 s14, s16, s14
	v_mul_u32_u24_e32 v82, 0x10001, v32
	v_pk_mul_f16 v4, v4, v82
	v_pk_mul_f16 v5, v5, v82
	s_addc_u32 s15, s17, s15
	v_mov_b32_e32 v95, s15
	v_add_co_u32_e32 v96, vcc, s14, v17
	v_addc_co_u32_e32 v97, vcc, v95, v18, vcc
	ds_write_b16 v56, v31
	s_waitcnt vmcnt(3)
	ds_write_b128 v57, v[27:30]
	s_waitcnt vmcnt(2)
	ds_write_b128 v58, v[70:73]
	s_waitcnt vmcnt(1)
	ds_write_b128 v59, v[74:77]
	s_waitcnt vmcnt(0)
	ds_write_b128 v60, v[78:81]
	s_waitcnt lgkmcnt(0)
	s_barrier
	ds_read2_b64 v[71:74], v62 offset1:32
	ds_read_u16 v27, v61
	ds_read_u16 v29, v61 offset:4
	ds_read_u16 v31, v61 offset:8
	;; [unrolled: 1-line block ×15, first 2 shown]
	ds_read2_b64 v[75:78], v62 offset0:128 offset1:160
	s_waitcnt lgkmcnt(14)
	v_mul_u32_u24_e32 v27, 0x10001, v27
	v_pk_mul_f16 v71, v71, v27
	v_pk_fma_f16 v2, v2, v82, v71
	v_pk_mul_f16 v71, v72, v27
	v_pk_fma_f16 v4, v73, v27, v4
	v_pk_fma_f16 v5, v74, v27, v5
	v_mul_u32_u24_e32 v27, 0x10001, v29
	s_waitcnt lgkmcnt(0)
	v_pk_fma_f16 v29, v75, v27, v2
	v_add_u32_e32 v2, 0x800, v62
	v_pk_fma_f16 v3, v3, v82, v71
	ds_read2_b64 v[71:74], v2 offset1:32
	v_pk_fma_f16 v3, v76, v27, v3
	v_pk_fma_f16 v4, v77, v27, v4
	;; [unrolled: 1-line block ×3, first 2 shown]
	v_mul_u32_u24_e32 v27, 0x10001, v31
	ds_read2_b64 v[75:78], v2 offset0:128 offset1:160
	s_waitcnt lgkmcnt(1)
	v_pk_fma_f16 v31, v72, v27, v3
	v_add_u32_e32 v3, 0x1000, v62
	v_pk_fma_f16 v29, v71, v27, v29
	v_pk_fma_f16 v4, v73, v27, v4
	;; [unrolled: 1-line block ×3, first 2 shown]
	ds_read2_b64 v[71:74], v3 offset1:32
	v_mul_u32_u24_e32 v27, 0x10001, v79
	s_waitcnt lgkmcnt(1)
	v_pk_fma_f16 v29, v75, v27, v29
	v_pk_fma_f16 v31, v76, v27, v31
	;; [unrolled: 1-line block ×4, first 2 shown]
	ds_read2_b64 v[75:78], v3 offset0:128 offset1:160
	v_mul_u32_u24_e32 v27, 0x10001, v80
	s_waitcnt lgkmcnt(1)
	v_pk_fma_f16 v79, v73, v27, v4
	v_add_u32_e32 v4, 0x1800, v62
	v_pk_fma_f16 v29, v71, v27, v29
	v_pk_fma_f16 v31, v72, v27, v31
	;; [unrolled: 1-line block ×3, first 2 shown]
	ds_read2_b64 v[71:74], v4 offset1:32
	v_mul_u32_u24_e32 v27, 0x10001, v81
	s_waitcnt lgkmcnt(1)
	v_pk_fma_f16 v29, v75, v27, v29
	v_pk_fma_f16 v31, v76, v27, v31
	;; [unrolled: 1-line block ×4, first 2 shown]
	ds_read2_b64 v[75:78], v4 offset0:128 offset1:160
	v_mul_u32_u24_e32 v27, 0x10001, v83
	s_waitcnt lgkmcnt(1)
	v_pk_fma_f16 v29, v71, v27, v29
	v_pk_fma_f16 v31, v72, v27, v31
	;; [unrolled: 1-line block ×4, first 2 shown]
	v_add_u32_e32 v5, 0x2000, v62
	v_mul_u32_u24_e32 v80, 0x10001, v84
	ds_read2_b64 v[71:74], v5 offset1:32
	s_waitcnt lgkmcnt(1)
	v_pk_fma_f16 v29, v75, v80, v29
	v_pk_fma_f16 v31, v76, v80, v31
	;; [unrolled: 1-line block ×4, first 2 shown]
	ds_read2_b64 v[75:78], v5 offset0:128 offset1:160
	v_mul_u32_u24_e32 v80, 0x10001, v85
	s_waitcnt lgkmcnt(1)
	v_pk_fma_f16 v31, v72, v80, v31
	v_mul_u32_u24_e32 v72, 0x10001, v86
	v_add_co_u32_e32 v95, vcc, v96, v38
	v_pk_fma_f16 v29, v71, v80, v29
	v_pk_fma_f16 v71, v73, v80, v79
	;; [unrolled: 1-line block ×3, first 2 shown]
	s_waitcnt lgkmcnt(0)
	v_pk_fma_f16 v105, v76, v72, v31
	v_add_u32_e32 v31, 0x2800, v62
	v_addc_co_u32_e32 v96, vcc, 0, v97, vcc
	v_pk_fma_f16 v104, v75, v72, v29
	v_pk_fma_f16 v106, v77, v72, v71
	;; [unrolled: 1-line block ×3, first 2 shown]
	ds_read2_b64 v[71:74], v31 offset1:32
	ds_read2_b64 v[75:78], v31 offset0:128 offset1:160
	v_mov_b32_e32 v97, s15
	v_add_co_u32_e32 v98, vcc, s14, v19
	v_addc_co_u32_e32 v97, vcc, v97, v20, vcc
	v_add_co_u32_e32 v99, vcc, v98, v38
	v_addc_co_u32_e32 v100, vcc, 0, v97, vcc
	v_mul_u32_u24_e32 v103, 0x10001, v103
	s_waitcnt lgkmcnt(1)
	v_pk_fma_f16 v108, v71, v103, v104
	v_pk_fma_f16 v105, v72, v103, v105
	v_mov_b32_e32 v71, s15
	v_add_co_u32_e32 v72, vcc, s14, v21
	v_pk_fma_f16 v73, v73, v103, v106
	v_pk_fma_f16 v74, v74, v103, v107
	v_addc_co_u32_e32 v103, vcc, v71, v22, vcc
	v_add_co_u32_e32 v71, vcc, v72, v38
	v_addc_co_u32_e32 v72, vcc, 0, v103, vcc
	v_mov_b32_e32 v103, s15
	v_add_co_u32_e32 v104, vcc, s14, v23
	v_addc_co_u32_e32 v106, vcc, v103, v24, vcc
	v_add_u32_e32 v29, 0x3000, v62
	v_add_u32_e32 v27, 0x3800, v62
	v_add_co_u32_e32 v103, vcc, v104, v38
	v_mul_u32_u24_e32 v70, 0x10001, v70
	ds_read2_b64 v[79:82], v29 offset1:32
	ds_read2_b64 v[83:86], v29 offset0:128 offset1:160
	ds_read2_b64 v[87:90], v27 offset1:32
	ds_read2_b64 v[91:94], v27 offset0:128 offset1:160
	s_waitcnt lgkmcnt(0)
	s_barrier
	global_load_dwordx4 v[95:98], v[95:96], off
	s_nop 0
	global_load_dwordx4 v[99:102], v[99:100], off
	v_addc_co_u32_e32 v104, vcc, 0, v106, vcc
	v_pk_fma_f16 v106, v75, v70, v108
	v_pk_fma_f16 v105, v76, v70, v105
	;; [unrolled: 1-line block ×4, first 2 shown]
	global_load_dwordx4 v[70:73], v[71:72], off
	s_nop 0
	global_load_dwordx4 v[74:77], v[103:104], off
	v_fma_f32 v36, v36, v25, v26
	v_mul_u32_u24_e32 v25, 0x10001, v69
	v_pk_fma_f16 v26, v79, v25, v106
	v_pk_fma_f16 v69, v80, v25, v105
	v_pk_fma_f16 v79, v81, v25, v107
	v_pk_fma_f16 v25, v82, v25, v78
	v_mul_u32_u24_e32 v32, 0x10001, v32
	v_pk_fma_f16 v26, v83, v32, v26
	v_pk_fma_f16 v69, v84, v32, v69
	v_pk_fma_f16 v78, v85, v32, v79
	v_pk_fma_f16 v25, v86, v32, v25
	;; [unrolled: 5-line block ×4, first 2 shown]
	s_waitcnt vmcnt(3)
	ds_write_b128 v57, v[95:98]
	s_waitcnt vmcnt(2)
	ds_write_b128 v58, v[99:102]
	;; [unrolled: 2-line block ×4, first 2 shown]
	s_waitcnt lgkmcnt(0)
	s_barrier
	ds_read2_b64 v[69:72], v62 offset1:32
	ds_read_u16 v28, v61 offset:64
	ds_read_u16 v77, v61 offset:68
	;; [unrolled: 1-line block ×16, first 2 shown]
	s_waitcnt lgkmcnt(14)
	v_mul_u32_u24_e32 v28, 0x10001, v28
	ds_read2_b64 v[73:76], v62 offset0:128 offset1:160
	v_pk_fma_f16 v26, v69, v28, v26
	v_pk_fma_f16 v30, v70, v28, v30
	v_pk_fma_f16 v32, v71, v28, v32
	v_pk_fma_f16 v25, v72, v28, v25
	ds_read2_b64 v[69:72], v2 offset1:32
	v_mul_u32_u24_e32 v28, 0x10001, v77
	s_waitcnt lgkmcnt(1)
	v_pk_fma_f16 v26, v73, v28, v26
	v_pk_fma_f16 v30, v74, v28, v30
	v_pk_fma_f16 v32, v75, v28, v32
	v_pk_fma_f16 v25, v76, v28, v25
	v_mul_u32_u24_e32 v28, 0x10001, v78
	ds_read2_b64 v[73:76], v2 offset0:128 offset1:160
	s_waitcnt lgkmcnt(1)
	v_pk_fma_f16 v26, v69, v28, v26
	v_pk_fma_f16 v2, v70, v28, v30
	v_pk_fma_f16 v30, v71, v28, v32
	v_pk_fma_f16 v25, v72, v28, v25
	ds_read2_b64 v[69:72], v3 offset1:32
	v_mul_u32_u24_e32 v28, 0x10001, v79
	s_waitcnt lgkmcnt(1)
	v_pk_fma_f16 v26, v73, v28, v26
	v_pk_fma_f16 v2, v74, v28, v2
	v_pk_fma_f16 v30, v75, v28, v30
	v_pk_fma_f16 v25, v76, v28, v25
	v_mul_u32_u24_e32 v28, 0x10001, v80
	ds_read2_b64 v[73:76], v3 offset0:128 offset1:160
	s_waitcnt lgkmcnt(1)
	;; [unrolled: 14-line block ×4, first 2 shown]
	v_pk_fma_f16 v26, v69, v32, v26
	v_pk_fma_f16 v28, v70, v32, v28
	;; [unrolled: 1-line block ×4, first 2 shown]
	ds_read2_b64 v[69:72], v31 offset1:32
	v_mul_u32_u24_e32 v32, 0x10001, v85
	s_waitcnt lgkmcnt(1)
	v_pk_fma_f16 v2, v2, v32, v26
	v_pk_fma_f16 v26, v3, v32, v28
	;; [unrolled: 1-line block ×3, first 2 shown]
	v_mul_u32_u24_e32 v30, 0x10001, v86
	v_pk_fma_f16 v25, v5, v32, v25
	s_waitcnt lgkmcnt(0)
	v_pk_fma_f16 v32, v69, v30, v2
	ds_read2_b64 v[2:5], v31 offset0:128 offset1:160
	v_pk_fma_f16 v26, v70, v30, v26
	v_pk_fma_f16 v28, v71, v30, v28
	;; [unrolled: 1-line block ×3, first 2 shown]
	ds_read2_b64 v[69:72], v29 offset1:32
	v_mul_u32_u24_e32 v30, 0x10001, v87
	s_waitcnt lgkmcnt(1)
	v_pk_fma_f16 v2, v2, v30, v32
	v_pk_fma_f16 v26, v3, v30, v26
	;; [unrolled: 1-line block ×4, first 2 shown]
	v_mul_u32_u24_e32 v30, 0x10001, v88
	s_waitcnt lgkmcnt(0)
	v_pk_fma_f16 v31, v69, v30, v2
	ds_read2_b64 v[2:5], v29 offset0:128 offset1:160
	v_mul_u32_u24_e32 v69, 0x10001, v89
	v_pk_fma_f16 v26, v70, v30, v26
	v_pk_fma_f16 v32, v71, v30, v28
	;; [unrolled: 1-line block ×3, first 2 shown]
	s_waitcnt lgkmcnt(0)
	v_pk_fma_f16 v2, v2, v69, v31
	ds_read2_b64 v[28:31], v27 offset1:32
	v_pk_fma_f16 v3, v3, v69, v26
	v_pk_fma_f16 v4, v4, v69, v32
	;; [unrolled: 1-line block ×3, first 2 shown]
	v_mul_u32_u24_e32 v25, 0x10001, v90
	s_waitcnt lgkmcnt(0)
	v_pk_fma_f16 v26, v28, v25, v2
	v_pk_fma_f16 v28, v29, v25, v3
	;; [unrolled: 1-line block ×4, first 2 shown]
	ds_read2_b64 v[2:5], v27 offset0:128 offset1:160
	s_waitcnt lgkmcnt(0)
	s_barrier
	s_load_dword s14, s[12:13], 0x4
	v_mul_u32_u24_e32 v27, 0x10001, v91
	v_pk_fma_f16 v2, v2, v27, v26
	v_pk_fma_f16 v3, v3, v27, v28
	;; [unrolled: 1-line block ×3, first 2 shown]
	s_waitcnt lgkmcnt(0)
	s_lshl_b32 s14, s14, 6
	s_add_i32 s18, s14, s18
	s_cmp_lt_i32 s18, s23
	v_pk_fma_f16 v5, v5, v27, v25
	s_cbranch_scc0 .LBB73_20
; %bb.18:                               ;   in Loop: Header=BB73_8 Depth=1
	v_mov_b32_e32 v69, v7
	s_branch .LBB73_8
.LBB73_19:
	v_mov_b32_e32 v5, 0
	v_mov_b32_e32 v7, 0xfeffffff
	;; [unrolled: 1-line block ×5, first 2 shown]
.LBB73_20:
	s_cmp_gt_i32 s42, s18
	s_cbranch_scc1 .LBB73_23
; %bb.21:
	v_mbcnt_hi_u32_b32 v12, -1, v44
	v_and_b32_e32 v8, 0x60, v12
	v_add_u32_e32 v13, 32, v8
	v_xor_b32_e32 v14, 16, v12
	v_xor_b32_e32 v15, 8, v12
	;; [unrolled: 1-line block ×5, first 2 shown]
	v_and_b32_e32 v8, 1, v1
	s_cbranch_execz .LBB73_24
; %bb.22:
	v_mov_b32_e32 v37, v8
	s_branch .LBB73_36
.LBB73_23:
                                        ; implicit-def: $vgpr12
                                        ; implicit-def: $vgpr13
                                        ; implicit-def: $vgpr14
                                        ; implicit-def: $vgpr15
                                        ; implicit-def: $vgpr16
                                        ; implicit-def: $vgpr17
                                        ; implicit-def: $vgpr18
                                        ; implicit-def: $vgpr8
.LBB73_24:
	v_lshl_add_u32 v12, v1, 1, v47
	v_mul_lo_u32 v19, s28, v12
	s_mul_hi_i32 s11, s18, s28
	s_mul_i32 s10, s18, s28
	s_sub_i32 s23, s42, s18
	s_lshl_b64 s[10:11], s[10:11], 2
	v_ashrrev_i32_e32 v20, 31, v19
	s_add_u32 s14, s29, s10
	v_lshlrev_b64 v[8:9], 2, v[19:20]
	s_addc_u32 s15, s36, s11
	v_mov_b32_e32 v10, s15
	v_add_co_u32_e32 v8, vcc, s14, v8
	v_lshlrev_b32_e32 v26, 2, v46
	v_addc_co_u32_e32 v9, vcc, v10, v9, vcc
	v_add_co_u32_e32 v17, vcc, v8, v26
	s_mov_b64 s[6:7], src_private_base
	v_addc_co_u32_e32 v18, vcc, 0, v9, vcc
	v_mov_b32_e32 v13, 0
	v_mov_b32_e32 v15, s7
	v_cmp_gt_i32_e32 vcc, s23, v12
	v_mov_b32_e32 v16, 0
	buffer_store_dword v13, off, s[0:3], 0
	buffer_store_dword v13, off, s[0:3], 0 offset:4
	buffer_store_dword v13, off, s[0:3], 0 offset:8
	;; [unrolled: 1-line block ×3, first 2 shown]
	v_cndmask_b32_e32 v9, v15, v18, vcc
	v_cndmask_b32_e32 v8, v16, v17, vcc
	flat_load_dwordx4 v[8:11], v[8:9]
	s_lshl_b32 s28, s28, 4
	v_add_u32_e32 v21, s28, v19
	v_ashrrev_i32_e32 v22, 31, v21
	v_lshlrev_b64 v[19:20], 2, v[21:22]
	s_movk_i32 s6, 0x110
	v_mad_u32_u24 v14, v12, s6, v26
	v_mov_b32_e32 v24, s15
	v_add_co_u32_e64 v19, s[6:7], s14, v19
	v_addc_co_u32_e64 v20, s[6:7], v24, v20, s[6:7]
	v_add_co_u32_e64 v19, s[6:7], v19, v26
	v_add_u32_e32 v23, 16, v12
	v_addc_co_u32_e64 v20, s[6:7], 0, v20, s[6:7]
	v_cmp_gt_i32_e64 s[6:7], s23, v23
	buffer_store_dword v13, off, s[0:3], 0
	buffer_store_dword v13, off, s[0:3], 0 offset:4
	buffer_store_dword v13, off, s[0:3], 0 offset:8
	;; [unrolled: 1-line block ×3, first 2 shown]
	v_cndmask_b32_e64 v23, v15, v20, s[6:7]
	v_cndmask_b32_e64 v22, v16, v19, s[6:7]
	v_mov_b32_e32 v27, s15
	v_add_u32_e32 v25, 32, v12
	v_cmp_gt_i32_e64 s[12:13], s23, v25
	v_add_u32_e32 v12, 48, v12
	s_waitcnt vmcnt(0) lgkmcnt(0)
	ds_write_b128 v14, v[8:11]
	flat_load_dwordx4 v[8:11], v[22:23]
	v_add_u32_e32 v23, s28, v21
	v_ashrrev_i32_e32 v24, 31, v23
	v_lshlrev_b64 v[21:22], 2, v[23:24]
	buffer_store_dword v13, off, s[0:3], 0
	buffer_store_dword v13, off, s[0:3], 0 offset:4
	buffer_store_dword v13, off, s[0:3], 0 offset:8
	;; [unrolled: 1-line block ×3, first 2 shown]
	v_add_co_u32_e64 v21, s[10:11], s14, v21
	v_addc_co_u32_e64 v22, s[10:11], v27, v22, s[10:11]
	v_add_co_u32_e64 v21, s[10:11], v21, v26
	v_addc_co_u32_e64 v22, s[10:11], 0, v22, s[10:11]
	v_cndmask_b32_e64 v25, v15, v22, s[12:13]
	v_cndmask_b32_e64 v24, v16, v21, s[12:13]
	v_add_u32_e32 v23, s28, v23
	s_movk_i32 s28, 0x100
	s_waitcnt vmcnt(0) lgkmcnt(0)
	ds_write_b128 v14, v[8:11] offset:4352
	flat_load_dwordx4 v[8:11], v[24:25]
	v_ashrrev_i32_e32 v24, 31, v23
	v_lshlrev_b64 v[23:24], 2, v[23:24]
	v_mov_b32_e32 v25, s15
	v_add_co_u32_e64 v23, s[10:11], s14, v23
	v_addc_co_u32_e64 v24, s[10:11], v25, v24, s[10:11]
	v_add_co_u32_e64 v23, s[10:11], v23, v26
	v_addc_co_u32_e64 v24, s[10:11], 0, v24, s[10:11]
	v_cmp_gt_i32_e64 s[10:11], s23, v12
	v_cndmask_b32_e64 v26, v15, v24, s[10:11]
	v_cndmask_b32_e64 v25, v16, v23, s[10:11]
	buffer_store_dword v13, off, s[0:3], 0
	buffer_store_dword v13, off, s[0:3], 0 offset:4
	buffer_store_dword v13, off, s[0:3], 0 offset:8
	;; [unrolled: 1-line block ×3, first 2 shown]
	v_add_co_u32_e64 v17, s[14:15], s28, v17
	v_addc_co_u32_e64 v18, s[14:15], 0, v18, s[14:15]
	v_cndmask_b32_e32 v18, v15, v18, vcc
	v_cndmask_b32_e32 v17, v16, v17, vcc
	s_waitcnt vmcnt(0) lgkmcnt(0)
	ds_write_b128 v14, v[8:11] offset:8704
	flat_load_dwordx4 v[25:28], v[25:26]
	v_and_b32_e32 v8, 32, v42
	v_add_u32_e32 v9, v8, v0
	v_and_b32_e32 v10, 0x3f80, v45
	v_mul_u32_u24_e32 v12, 0x110, v9
	v_lshlrev_b32_e32 v11, 2, v10
	v_mov_b32_e32 v10, 0
	s_waitcnt vmcnt(0) lgkmcnt(0)
	ds_write_b128 v14, v[25:28] offset:13056
	s_waitcnt lgkmcnt(0)
	s_barrier
	ds_read_b128 v[25:28], v12
	ds_read_b128 v[29:32], v11 offset:17408
	s_waitcnt lgkmcnt(0)
	;;#ASMSTART
	v_dot2_f32_f16 v10, v25, v29, v10
	;;#ASMEND
	;;#ASMSTART
	v_dot2_f32_f16 v10, v26, v30, v10
	;;#ASMEND
	;;#ASMSTART
	v_dot2_f32_f16 v10, v27, v31, v10
	;;#ASMEND
	;;#ASMSTART
	v_dot2_f32_f16 v10, v28, v32, v10
	;;#ASMEND
	ds_read_b128 v[25:28], v12 offset:16
	ds_read_b128 v[29:32], v11 offset:17424
	s_waitcnt lgkmcnt(0)
	;;#ASMSTART
	v_dot2_f32_f16 v10, v25, v29, v10
	;;#ASMEND
	;;#ASMSTART
	v_dot2_f32_f16 v10, v26, v30, v10
	;;#ASMEND
	;;#ASMSTART
	v_dot2_f32_f16 v10, v27, v31, v10
	;;#ASMEND
	;;#ASMSTART
	v_dot2_f32_f16 v10, v28, v32, v10
	;;#ASMEND
	ds_read_b128 v[25:28], v12 offset:32
	;; [unrolled: 15-line block ×15, first 2 shown]
	ds_read_b128 v[29:32], v11 offset:17648
	s_waitcnt lgkmcnt(0)
	;;#ASMSTART
	v_dot2_f32_f16 v10, v25, v29, v10
	;;#ASMEND
	;;#ASMSTART
	v_dot2_f32_f16 v10, v26, v30, v10
	;;#ASMEND
	;; [unrolled: 3-line block ×4, first 2 shown]
	s_barrier
	buffer_store_dword v13, off, s[0:3], 0
	buffer_store_dword v13, off, s[0:3], 0 offset:4
	buffer_store_dword v13, off, s[0:3], 0 offset:8
	;; [unrolled: 1-line block ×3, first 2 shown]
	flat_load_dwordx4 v[25:28], v[17:18]
	v_add_co_u32_e32 v17, vcc, s28, v19
	v_addc_co_u32_e32 v18, vcc, 0, v20, vcc
	v_cndmask_b32_e64 v18, v15, v18, s[6:7]
	v_cndmask_b32_e64 v17, v16, v17, s[6:7]
	buffer_store_dword v13, off, s[0:3], 0
	buffer_store_dword v13, off, s[0:3], 0 offset:4
	buffer_store_dword v13, off, s[0:3], 0 offset:8
	buffer_store_dword v13, off, s[0:3], 0 offset:12
	v_add_co_u32_e32 v21, vcc, s28, v21
	v_addc_co_u32_e32 v22, vcc, 0, v22, vcc
	v_cndmask_b32_e64 v22, v15, v22, s[12:13]
	v_cndmask_b32_e64 v21, v16, v21, s[12:13]
	s_mov_b32 s6, 0x3f200000
	s_waitcnt vmcnt(0) lgkmcnt(0)
	ds_write_b128 v14, v[25:28]
	flat_load_dwordx4 v[17:20], v[17:18]
	s_nop 0
	buffer_store_dword v13, off, s[0:3], 0
	buffer_store_dword v13, off, s[0:3], 0 offset:4
	buffer_store_dword v13, off, s[0:3], 0 offset:8
	;; [unrolled: 1-line block ×3, first 2 shown]
	s_waitcnt vmcnt(0) lgkmcnt(0)
	ds_write_b128 v14, v[17:20] offset:4352
	flat_load_dwordx4 v[17:20], v[21:22]
	v_add_co_u32_e32 v21, vcc, s28, v23
	v_addc_co_u32_e32 v22, vcc, 0, v24, vcc
	v_cndmask_b32_e64 v22, v15, v22, s[10:11]
	v_cndmask_b32_e64 v21, v16, v21, s[10:11]
	buffer_store_dword v13, off, s[0:3], 0
	buffer_store_dword v13, off, s[0:3], 0 offset:4
	buffer_store_dword v13, off, s[0:3], 0 offset:8
	;; [unrolled: 1-line block ×3, first 2 shown]
	s_waitcnt vmcnt(0) lgkmcnt(0)
	ds_write_b128 v14, v[17:20] offset:8704
	flat_load_dwordx4 v[15:18], v[21:22]
	s_waitcnt vmcnt(0) lgkmcnt(0)
	ds_write_b128 v14, v[15:18] offset:13056
	s_waitcnt lgkmcnt(0)
	s_barrier
	ds_read_b128 v[13:16], v12
	ds_read_b128 v[17:20], v11 offset:17664
	s_waitcnt lgkmcnt(0)
	;;#ASMSTART
	v_dot2_f32_f16 v10, v13, v17, v10
	;;#ASMEND
	;;#ASMSTART
	v_dot2_f32_f16 v10, v14, v18, v10
	;;#ASMEND
	;;#ASMSTART
	v_dot2_f32_f16 v10, v15, v19, v10
	;;#ASMEND
	;;#ASMSTART
	v_dot2_f32_f16 v10, v16, v20, v10
	;;#ASMEND
	ds_read_b128 v[13:16], v12 offset:16
	ds_read_b128 v[17:20], v11 offset:17680
	s_waitcnt lgkmcnt(0)
	;;#ASMSTART
	v_dot2_f32_f16 v10, v13, v17, v10
	;;#ASMEND
	;;#ASMSTART
	v_dot2_f32_f16 v10, v14, v18, v10
	;;#ASMEND
	;;#ASMSTART
	v_dot2_f32_f16 v10, v15, v19, v10
	;;#ASMEND
	;;#ASMSTART
	v_dot2_f32_f16 v10, v16, v20, v10
	;;#ASMEND
	ds_read_b128 v[13:16], v12 offset:32
	;; [unrolled: 15-line block ×15, first 2 shown]
	ds_read_b128 v[16:19], v11 offset:17904
	s_waitcnt lgkmcnt(0)
	;;#ASMSTART
	v_dot2_f32_f16 v10, v12, v16, v10
	;;#ASMEND
	;;#ASMSTART
	v_dot2_f32_f16 v10, v13, v17, v10
	;;#ASMEND
	;; [unrolled: 3-line block ×4, first 2 shown]
	v_cmp_nlt_f32_e64 s[6:7], |v10|, s6
                                        ; implicit-def: $vgpr11
	s_and_saveexec_b64 s[10:11], s[6:7]
	s_xor_b64 s[6:7], exec, s[10:11]
	s_cbranch_execz .LBB73_26
; %bb.25:
	v_add_f32_e64 v11, |v10|, |v10|
	v_mul_f32_e32 v12, 0x3fb8aa3b, v11
	s_mov_b32 s10, 0x3fb8aa3b
	v_rndne_f32_e32 v13, v12
	v_sub_f32_e32 v14, v12, v13
	v_fma_f32 v12, v11, s10, -v12
	v_fmac_f32_e32 v12, 0x32a5705f, v11
	v_add_f32_e32 v12, v14, v12
	v_exp_f32_e32 v12, v12
	v_cvt_i32_f32_e32 v13, v13
	s_mov_b32 s10, 0xc2ce8ed0
	v_cmp_ngt_f32_e32 vcc, s10, v11
	s_mov_b32 s10, 0x42b17218
	v_ldexp_f32 v12, v12, v13
	v_cndmask_b32_e32 v12, 0, v12, vcc
	v_mov_b32_e32 v13, 0x7f800000
	v_cmp_nlt_f32_e32 vcc, s10, v11
	v_cndmask_b32_e32 v11, v13, v12, vcc
	v_add_f32_e32 v11, 1.0, v11
	v_rcp_f32_e32 v11, v11
	v_fma_f32 v11, v11, -2.0, 1.0
.LBB73_26:
	s_andn2_saveexec_b64 s[6:7], s[6:7]
	s_cbranch_execz .LBB73_28
; %bb.27:
	v_mul_f32_e32 v11, v10, v10
	v_mov_b32_e32 v12, 0x3ca908c9
	v_fmac_f32_e32 v12, 0xbbbac73d, v11
	v_mov_b32_e32 v13, 0xbd5c1c4e
	v_fmac_f32_e32 v13, v11, v12
	v_mov_b32_e32 v12, 0x3e088382
	v_fmac_f32_e32 v12, v11, v13
	v_mov_b32_e32 v13, 0xbeaaaa99
	v_fmac_f32_e32 v13, v11, v12
	v_mul_f32_e64 v12, |v10|, v13
	v_fma_f32 v11, v11, v12, |v10|
.LBB73_28:
	s_or_b64 exec, exec, s[6:7]
	s_brev_b32 s6, -2
	v_bfi_b32 v10, s6, v11, v10
	v_cmp_gt_i32_e32 vcc, s23, v9
	v_mul_f32_e32 v10, s19, v10
	v_mov_b32_e32 v11, v7
	s_and_saveexec_b64 s[6:7], vcc
	s_cbranch_execz .LBB73_33
; %bb.29:
	s_cmp_eq_u64 s[40:41], 0
	s_cbranch_scc1 .LBB73_31
; %bb.30:
	v_mul_lo_u32 v11, v41, s22
	v_mov_b32_e32 v13, s41
	v_add3_u32 v11, v11, v9, s18
	v_ashrrev_i32_e32 v12, 31, v11
	v_lshlrev_b64 v[11:12], 1, v[11:12]
	v_add_co_u32_e32 v11, vcc, s40, v11
	v_addc_co_u32_e32 v12, vcc, v13, v12, vcc
	global_load_ushort v11, v[11:12], off
	s_waitcnt vmcnt(0)
	v_cvt_f32_f16_e32 v11, v11
	v_mul_f32_e32 v11, v40, v11
	s_branch .LBB73_32
.LBB73_31:
	v_mov_b32_e32 v11, 0
.LBB73_32:
	v_add_f32_e32 v10, v10, v11
	v_add_f32_e32 v11, 0x40051340, v10
	v_max_f32_e32 v12, v7, v7
	v_max_f32_e32 v11, v12, v11
.LBB73_33:
	s_or_b64 exec, exec, s[6:7]
	v_mbcnt_hi_u32_b32 v12, -1, v44
	v_and_b32_e32 v13, 0x60, v12
	v_add_u32_e32 v13, 32, v13
	v_xor_b32_e32 v14, 16, v12
	v_cmp_lt_i32_e32 vcc, v14, v13
	v_cndmask_b32_e32 v15, v12, v14, vcc
	v_lshlrev_b32_e32 v15, 2, v15
	ds_bpermute_b32 v16, v15, v11
	v_xor_b32_e32 v15, 8, v12
	v_cmp_lt_i32_e32 vcc, v15, v13
	v_cndmask_b32_e32 v17, v12, v15, vcc
	v_max_f32_e32 v11, v11, v11
	s_waitcnt lgkmcnt(0)
	v_max_f32_e32 v16, v16, v16
	v_lshlrev_b32_e32 v17, 2, v17
	v_max_f32_e32 v11, v11, v16
	ds_bpermute_b32 v17, v17, v11
	v_xor_b32_e32 v16, 4, v12
	v_cmp_lt_i32_e32 vcc, v16, v13
	v_cndmask_b32_e32 v18, v12, v16, vcc
	v_lshlrev_b32_e32 v18, 2, v18
	s_waitcnt lgkmcnt(0)
	v_max_f32_e32 v17, v17, v17
	v_max_f32_e32 v11, v11, v17
	ds_bpermute_b32 v18, v18, v11
	v_xor_b32_e32 v17, 2, v12
	v_cmp_lt_i32_e32 vcc, v17, v13
	v_cndmask_b32_e32 v19, v12, v17, vcc
	v_lshlrev_b32_e32 v19, 2, v19
	s_waitcnt lgkmcnt(0)
	v_max_f32_e32 v18, v18, v18
	;; [unrolled: 8-line block ×3, first 2 shown]
	v_max_f32_e32 v11, v11, v19
	ds_bpermute_b32 v19, v20, v11
	v_cmp_eq_u32_e32 vcc, 0, v0
	s_and_saveexec_b64 s[6:7], vcc
	s_cbranch_execz .LBB73_35
; %bb.34:
	s_waitcnt lgkmcnt(0)
	v_max_f32_e32 v19, v19, v19
	v_max_f32_e32 v11, v11, v11
	v_lshlrev_b32_e32 v20, 2, v1
	v_max_f32_e32 v11, v11, v19
	ds_write_b32 v20, v11 offset:20000
.LBB73_35:
	s_or_b64 exec, exec, s[6:7]
	s_movk_i32 s6, 0xfe
	v_and_or_b32 v11, v1, s6, v43
	v_lshlrev_b32_e32 v11, 2, v11
	s_waitcnt lgkmcnt(0)
	s_barrier
	ds_read_b32 v11, v11 offset:20000
	v_and_b32_e32 v19, 0x7e, v12
	v_add_u32_e32 v19, 2, v19
	v_cmp_lt_i32_e32 vcc, v18, v19
	v_cndmask_b32_e32 v19, v12, v18, vcc
	v_lshlrev_b32_e32 v19, 2, v19
	s_waitcnt lgkmcnt(0)
	ds_bpermute_b32 v19, v19, v11
	v_max_f32_e32 v11, v11, v11
	v_cmp_gt_u32_e32 vcc, s23, v9
	s_mov_b32 s10, 0x3fb8aa3b
	s_mov_b32 s11, 0xc2ce8ed0
	s_waitcnt lgkmcnt(0)
	v_max_f32_e32 v19, v19, v19
	v_max_f32_e32 v19, v11, v19
	v_sub_f32_e32 v9, v10, v19
	v_mul_f32_e32 v10, 0x3fb8aa3b, v9
	v_fma_f32 v11, v9, s10, -v10
	v_rndne_f32_e32 v20, v10
	v_fmac_f32_e32 v11, 0x32a5705f, v9
	v_sub_f32_e32 v10, v10, v20
	v_add_f32_e32 v10, v10, v11
	v_exp_f32_e32 v10, v10
	v_cvt_i32_f32_e32 v11, v20
	v_mov_b32_e32 v20, 0x4c00
	v_sub_f32_e32 v7, v7, v19
	v_cmp_ngt_f32_e64 s[6:7], s11, v9
	v_ldexp_f32 v10, v10, v11
	v_and_b32_e32 v11, 0x1fc0, v42
	v_lshl_add_u32 v11, v11, 1, v20
	v_mul_f32_e32 v20, 0x3fb8aa3b, v7
	v_fma_f32 v21, v7, s10, -v20
	v_rndne_f32_e32 v22, v20
	v_fmac_f32_e32 v21, 0x32a5705f, v7
	v_sub_f32_e32 v20, v20, v22
	v_add_f32_e32 v20, v20, v21
	v_exp_f32_e32 v20, v20
	v_cvt_i32_f32_e32 v21, v22
	s_mov_b32 s12, 0x42b17218
	v_cndmask_b32_e64 v10, 0, v10, s[6:7]
	v_cmp_nlt_f32_e64 s[6:7], s12, v9
	v_mov_b32_e32 v9, 0x7f800000
	v_cndmask_b32_e64 v10, v9, v10, s[6:7]
	v_cndmask_b32_e32 v10, 0, v10, vcc
	v_ldexp_f32 v20, v20, v21
	v_cmp_ngt_f32_e32 vcc, s11, v7
	v_cndmask_b32_e32 v20, 0, v20, vcc
	v_cmp_nlt_f32_e32 vcc, s12, v7
	v_cndmask_b32_e32 v7, v9, v20, vcc
	v_fma_f32 v36, v36, v7, v10
	v_cvt_f16_f32_e32 v7, v7
	v_lshl_or_b32 v8, v8, 1, v11
	s_lshl_b32 s6, s8, 3
	s_mul_hi_i32 s7, s18, s8
	v_mul_u32_u24_e32 v26, 0x10001, v7
	v_pk_mul_f16 v29, v5, v26
	v_lshl_add_u32 v5, v0, 1, v8
	v_add_u32_e32 v8, s6, v6
	v_add_u32_e32 v30, s6, v8
	v_pk_mul_f16 v27, v4, v26
	v_cvt_f16_f32_e32 v4, v10
	v_add_u32_e32 v48, s6, v30
	s_mul_i32 s6, s18, s8
	v_ashrrev_i32_e32 v7, 31, v6
	s_lshl_b64 s[6:7], s[6:7], 2
	s_mov_b64 s[10:11], src_private_base
	v_lshl_or_b32 v20, v37, 1, v11
	s_add_u32 s12, s16, s6
	v_lshlrev_b64 v[10:11], 2, v[6:7]
	s_addc_u32 s10, s17, s7
	ds_write_b16 v5, v4
	v_add_co_u32_e64 v4, s[6:7], s12, v10
	v_mov_b32_e32 v5, s10
	v_addc_co_u32_e64 v5, s[6:7], v5, v11, s[6:7]
	v_add_co_u32_e64 v4, s[6:7], v4, v38
	v_mov_b32_e32 v40, 0
	v_cmp_gt_i32_e32 vcc, s23, v1
	v_addc_co_u32_e64 v5, s[6:7], 0, v5, s[6:7]
	v_mov_b32_e32 v28, s11
	v_mov_b32_e32 v23, 0
	buffer_store_dword v40, off, s[0:3], 0
	buffer_store_dword v40, off, s[0:3], 0 offset:4
	buffer_store_dword v40, off, s[0:3], 0 offset:8
	;; [unrolled: 1-line block ×3, first 2 shown]
	v_cndmask_b32_e32 v5, v28, v5, vcc
	v_cndmask_b32_e32 v4, v23, v4, vcc
	flat_load_dwordx4 v[4:7], v[4:5]
	v_ashrrev_i32_e32 v9, 31, v8
	v_lshlrev_b64 v[8:9], 2, v[8:9]
	v_lshl_add_u32 v42, v1, 9, v38
	v_add_u32_e32 v43, 8, v1
	v_cmp_gt_i32_e32 vcc, s23, v43
	v_lshl_add_u32 v32, v43, 9, v38
	v_ashrrev_i32_e32 v31, 31, v30
	v_add_u32_e32 v41, 16, v1
	v_ashrrev_i32_e32 v49, 31, v48
	v_add_u32_e32 v24, 24, v1
	v_lshl_add_u32 v25, v41, 9, v38
	v_lshl_add_u32 v21, v24, 9, v38
	s_waitcnt vmcnt(0) lgkmcnt(0)
	ds_write_b128 v42, v[4:7]
	v_add_co_u32_e64 v4, s[6:7], s12, v8
	v_mov_b32_e32 v5, s10
	v_addc_co_u32_e64 v5, s[6:7], v5, v9, s[6:7]
	v_add_co_u32_e64 v4, s[6:7], v4, v38
	v_addc_co_u32_e64 v5, s[6:7], 0, v5, s[6:7]
	buffer_store_dword v40, off, s[0:3], 0
	buffer_store_dword v40, off, s[0:3], 0 offset:4
	buffer_store_dword v40, off, s[0:3], 0 offset:8
	;; [unrolled: 1-line block ×3, first 2 shown]
	v_cndmask_b32_e32 v5, v28, v5, vcc
	v_cndmask_b32_e32 v4, v23, v4, vcc
	flat_load_dwordx4 v[4:7], v[4:5]
	v_cmp_gt_i32_e32 vcc, s23, v41
	s_waitcnt vmcnt(0) lgkmcnt(0)
	ds_write_b128 v32, v[4:7]
	v_lshlrev_b64 v[6:7], 2, v[30:31]
	v_mov_b32_e32 v5, s10
	v_add_co_u32_e64 v4, s[6:7], s12, v6
	v_addc_co_u32_e64 v5, s[6:7], v5, v7, s[6:7]
	v_add_co_u32_e64 v4, s[6:7], v4, v38
	v_addc_co_u32_e64 v5, s[6:7], 0, v5, s[6:7]
	buffer_store_dword v40, off, s[0:3], 0
	buffer_store_dword v40, off, s[0:3], 0 offset:4
	buffer_store_dword v40, off, s[0:3], 0 offset:8
	;; [unrolled: 1-line block ×3, first 2 shown]
	v_cndmask_b32_e32 v5, v28, v5, vcc
	v_cndmask_b32_e32 v4, v23, v4, vcc
	flat_load_dwordx4 v[44:47], v[4:5]
	v_lshlrev_b64 v[4:5], 2, v[48:49]
	v_mov_b32_e32 v30, s10
	v_add_co_u32_e64 v22, s[6:7], s12, v4
	v_addc_co_u32_e64 v30, s[6:7], v30, v5, s[6:7]
	v_add_co_u32_e64 v22, s[6:7], v22, v38
	v_cmp_gt_i32_e32 vcc, s23, v24
	v_addc_co_u32_e64 v30, s[6:7], 0, v30, s[6:7]
	v_cndmask_b32_e32 v31, v28, v30, vcc
	v_cndmask_b32_e32 v30, v23, v22, vcc
	v_lshl_add_u32 v22, v37, 9, v39
	s_or_b32 s6, s18, 32
	s_mul_hi_i32 s7, s6, s8
	s_mul_i32 s6, s6, s8
	s_lshl_b64 s[6:7], s[6:7], 2
	s_add_u32 s10, s16, s6
	s_addc_u32 s8, s17, s7
	v_add_co_u32_e64 v10, s[6:7], s10, v10
	s_sub_i32 s11, s23, 32
	v_cmp_gt_i32_e32 vcc, s11, v1
	s_waitcnt vmcnt(0) lgkmcnt(0)
	ds_write_b128 v25, v[44:47]
	buffer_store_dword v40, off, s[0:3], 0
	buffer_store_dword v40, off, s[0:3], 0 offset:4
	buffer_store_dword v40, off, s[0:3], 0 offset:8
	;; [unrolled: 1-line block ×3, first 2 shown]
	flat_load_dwordx4 v[44:47], v[30:31]
	s_waitcnt vmcnt(0) lgkmcnt(0)
	ds_write_b128 v21, v[44:47]
	s_waitcnt lgkmcnt(0)
	s_barrier
	ds_read2_b64 v[49:52], v22 offset1:32
	ds_read_u16 v53, v20
	ds_read_u16 v54, v20 offset:4
	ds_read_u16 v55, v20 offset:8
	;; [unrolled: 1-line block ×15, first 2 shown]
	s_waitcnt lgkmcnt(14)
	v_mul_u32_u24_e32 v53, 0x10001, v53
	v_pk_mul_f16 v49, v49, v53
	v_pk_fma_f16 v2, v2, v26, v49
	v_pk_mul_f16 v49, v50, v53
	v_pk_fma_f16 v3, v3, v26, v49
	v_pk_fma_f16 v26, v51, v53, v27
	v_pk_fma_f16 v27, v52, v53, v29
	ds_read2_b64 v[49:52], v22 offset0:128 offset1:160
	v_mul_u32_u24_e32 v29, 0x10001, v54
	s_waitcnt lgkmcnt(8)
	v_mul_u32_u24_e32 v48, 0x10001, v48
	s_waitcnt lgkmcnt(7)
	;; [unrolled: 2-line block ×4, first 2 shown]
	v_pk_fma_f16 v53, v49, v29, v2
	v_add_u32_e32 v2, 0x800, v22
	v_pk_fma_f16 v3, v50, v29, v3
	v_pk_fma_f16 v26, v51, v29, v26
	;; [unrolled: 1-line block ×3, first 2 shown]
	ds_read2_b64 v[49:52], v2 offset1:32
	v_mul_u32_u24_e32 v29, 0x10001, v55
	v_mul_u32_u24_e32 v30, 0x10001, v30
	;; [unrolled: 1-line block ×4, first 2 shown]
	s_waitcnt lgkmcnt(0)
	v_pk_fma_f16 v53, v49, v29, v53
	v_pk_fma_f16 v3, v50, v29, v3
	;; [unrolled: 1-line block ×4, first 2 shown]
	ds_read2_b64 v[49:52], v2 offset0:128 offset1:160
	v_mul_u32_u24_e32 v29, 0x10001, v56
	v_mul_u32_u24_e32 v44, 0x10001, v44
	s_waitcnt lgkmcnt(0)
	v_pk_fma_f16 v54, v50, v29, v3
	v_add_u32_e32 v3, 0x1000, v22
	v_pk_fma_f16 v53, v49, v29, v53
	v_pk_fma_f16 v26, v51, v29, v26
	v_pk_fma_f16 v27, v52, v29, v27
	ds_read2_b64 v[49:52], v3 offset1:32
	v_mul_u32_u24_e32 v29, 0x10001, v57
	s_waitcnt lgkmcnt(0)
	v_pk_fma_f16 v53, v49, v29, v53
	v_pk_fma_f16 v54, v50, v29, v54
	;; [unrolled: 1-line block ×4, first 2 shown]
	ds_read2_b64 v[49:52], v3 offset0:128 offset1:160
	v_mul_u32_u24_e32 v29, 0x10001, v58
	s_waitcnt lgkmcnt(0)
	v_pk_fma_f16 v55, v51, v29, v26
	v_add_u32_e32 v26, 0x1800, v22
	v_pk_fma_f16 v53, v49, v29, v53
	v_pk_fma_f16 v54, v50, v29, v54
	;; [unrolled: 1-line block ×3, first 2 shown]
	ds_read2_b64 v[49:52], v26 offset1:32
	v_mul_u32_u24_e32 v29, 0x10001, v59
	s_waitcnt lgkmcnt(0)
	v_pk_fma_f16 v53, v49, v29, v53
	v_pk_fma_f16 v54, v50, v29, v54
	;; [unrolled: 1-line block ×4, first 2 shown]
	ds_read2_b64 v[49:52], v26 offset0:128 offset1:160
	v_mul_u32_u24_e32 v29, 0x10001, v60
	s_waitcnt lgkmcnt(0)
	v_pk_fma_f16 v53, v49, v29, v53
	v_pk_fma_f16 v54, v50, v29, v54
	;; [unrolled: 1-line block ×4, first 2 shown]
	v_add_u32_e32 v27, 0x2000, v22
	ds_read2_b64 v[49:52], v27 offset1:32
	s_waitcnt lgkmcnt(0)
	v_pk_fma_f16 v53, v49, v48, v53
	v_pk_fma_f16 v54, v50, v48, v54
	;; [unrolled: 1-line block ×4, first 2 shown]
	ds_read2_b64 v[48:51], v27 offset0:128 offset1:160
	s_waitcnt lgkmcnt(0)
	v_pk_fma_f16 v51, v51, v47, v29
	v_add_u32_e32 v29, 0x2800, v22
	v_pk_fma_f16 v52, v48, v47, v53
	v_pk_fma_f16 v53, v49, v47, v54
	;; [unrolled: 1-line block ×3, first 2 shown]
	ds_read2_b64 v[47:50], v29 offset1:32
	s_waitcnt lgkmcnt(0)
	v_pk_fma_f16 v52, v47, v46, v52
	v_pk_fma_f16 v53, v48, v46, v53
	;; [unrolled: 1-line block ×4, first 2 shown]
	ds_read2_b64 v[46:49], v29 offset0:128 offset1:160
	s_waitcnt lgkmcnt(0)
	v_pk_fma_f16 v51, v46, v30, v52
	v_pk_fma_f16 v52, v47, v30, v53
	;; [unrolled: 1-line block ×4, first 2 shown]
	v_add_u32_e32 v30, 0x3000, v22
	ds_read2_b64 v[46:49], v30 offset1:32
	s_waitcnt lgkmcnt(0)
	v_pk_fma_f16 v51, v46, v45, v51
	v_pk_fma_f16 v52, v47, v45, v52
	;; [unrolled: 1-line block ×4, first 2 shown]
	ds_read2_b64 v[45:48], v30 offset0:128 offset1:160
	s_waitcnt lgkmcnt(0)
	v_pk_fma_f16 v50, v45, v31, v51
	v_pk_fma_f16 v51, v46, v31, v52
	;; [unrolled: 1-line block ×4, first 2 shown]
	v_add_u32_e32 v31, 0x3800, v22
	ds_read2_b64 v[45:48], v31 offset1:32
	s_waitcnt lgkmcnt(0)
	v_pk_fma_f16 v50, v45, v44, v50
	v_pk_fma_f16 v51, v46, v44, v51
	;; [unrolled: 1-line block ×4, first 2 shown]
	ds_read2_b64 v[44:47], v31 offset0:128 offset1:160
	v_mul_u32_u24_e32 v49, 0x10001, v39
	s_waitcnt lgkmcnt(0)
	s_barrier
	v_pk_fma_f16 v39, v44, v49, v50
	v_pk_fma_f16 v44, v45, v49, v51
	;; [unrolled: 1-line block ×4, first 2 shown]
	v_mov_b32_e32 v47, s8
	v_addc_co_u32_e64 v11, s[6:7], v47, v11, s[6:7]
	v_add_co_u32_e64 v10, s[6:7], v10, v38
	v_addc_co_u32_e64 v11, s[6:7], 0, v11, s[6:7]
	buffer_store_dword v40, off, s[0:3], 0
	buffer_store_dword v40, off, s[0:3], 0 offset:4
	buffer_store_dword v40, off, s[0:3], 0 offset:8
	;; [unrolled: 1-line block ×3, first 2 shown]
	v_cndmask_b32_e32 v11, v28, v11, vcc
	v_cndmask_b32_e32 v10, v23, v10, vcc
	flat_load_dwordx4 v[47:50], v[10:11]
	v_add_co_u32_e64 v8, s[6:7], s10, v8
	v_mov_b32_e32 v10, s8
	v_addc_co_u32_e64 v9, s[6:7], v10, v9, s[6:7]
	v_add_co_u32_e64 v8, s[6:7], v8, v38
	v_cmp_gt_i32_e32 vcc, s11, v43
	v_addc_co_u32_e64 v9, s[6:7], 0, v9, s[6:7]
	v_cndmask_b32_e32 v9, v28, v9, vcc
	v_cndmask_b32_e32 v8, v23, v8, vcc
	v_add_co_u32_e64 v6, s[6:7], s10, v6
	v_cmp_gt_i32_e32 vcc, s11, v41
	s_waitcnt vmcnt(0) lgkmcnt(0)
	ds_write_b128 v42, v[47:50]
	buffer_store_dword v40, off, s[0:3], 0
	buffer_store_dword v40, off, s[0:3], 0 offset:4
	buffer_store_dword v40, off, s[0:3], 0 offset:8
	;; [unrolled: 1-line block ×3, first 2 shown]
	flat_load_dwordx4 v[8:11], v[8:9]
	s_waitcnt vmcnt(0) lgkmcnt(0)
	ds_write_b128 v32, v[8:11]
	v_mov_b32_e32 v8, s8
	v_addc_co_u32_e64 v7, s[6:7], v8, v7, s[6:7]
	v_add_co_u32_e64 v6, s[6:7], v6, v38
	v_addc_co_u32_e64 v7, s[6:7], 0, v7, s[6:7]
	buffer_store_dword v40, off, s[0:3], 0
	buffer_store_dword v40, off, s[0:3], 0 offset:4
	buffer_store_dword v40, off, s[0:3], 0 offset:8
	;; [unrolled: 1-line block ×3, first 2 shown]
	v_cndmask_b32_e32 v7, v28, v7, vcc
	v_cndmask_b32_e32 v6, v23, v6, vcc
	flat_load_dwordx4 v[6:9], v[6:7]
	v_add_co_u32_e64 v4, s[6:7], s10, v4
	v_cmp_gt_i32_e32 vcc, s11, v24
	s_waitcnt vmcnt(0) lgkmcnt(0)
	ds_write_b128 v25, v[6:9]
	v_mov_b32_e32 v6, s8
	v_addc_co_u32_e64 v5, s[6:7], v6, v5, s[6:7]
	v_add_co_u32_e64 v4, s[6:7], v4, v38
	v_addc_co_u32_e64 v5, s[6:7], 0, v5, s[6:7]
	buffer_store_dword v40, off, s[0:3], 0
	buffer_store_dword v40, off, s[0:3], 0 offset:4
	buffer_store_dword v40, off, s[0:3], 0 offset:8
	buffer_store_dword v40, off, s[0:3], 0 offset:12
	v_cndmask_b32_e32 v5, v28, v5, vcc
	v_cndmask_b32_e32 v4, v23, v4, vcc
	flat_load_dwordx4 v[4:7], v[4:5]
	s_waitcnt vmcnt(0) lgkmcnt(0)
	ds_write_b128 v21, v[4:7]
	s_waitcnt lgkmcnt(0)
	s_barrier
	ds_read2_b64 v[8:11], v22 offset1:32
	ds_read_u16 v21, v20 offset:64
	ds_read_u16 v23, v20 offset:68
	;; [unrolled: 1-line block ×16, first 2 shown]
	s_waitcnt lgkmcnt(14)
	v_mul_u32_u24_e32 v20, 0x10001, v21
	v_pk_fma_f16 v21, v8, v20, v39
	v_pk_fma_f16 v39, v9, v20, v44
	v_pk_fma_f16 v44, v10, v20, v45
	v_pk_fma_f16 v20, v11, v20, v46
	ds_read2_b64 v[8:11], v22 offset0:128 offset1:160
	v_mul_u32_u24_e32 v22, 0x10001, v23
	s_waitcnt lgkmcnt(0)
	v_pk_fma_f16 v21, v8, v22, v21
	v_pk_fma_f16 v23, v9, v22, v39
	v_pk_fma_f16 v39, v10, v22, v44
	v_pk_fma_f16 v20, v11, v22, v20
	ds_read2_b64 v[8:11], v2 offset1:32
	v_mul_u32_u24_e32 v22, 0x10001, v24
	s_waitcnt lgkmcnt(0)
	v_pk_fma_f16 v21, v8, v22, v21
	v_pk_fma_f16 v23, v9, v22, v23
	v_pk_fma_f16 v24, v10, v22, v39
	v_pk_fma_f16 v20, v11, v22, v20
	ds_read2_b64 v[8:11], v2 offset0:128 offset1:160
	v_mul_u32_u24_e32 v2, 0x10001, v25
	s_waitcnt lgkmcnt(0)
	v_pk_fma_f16 v21, v8, v2, v21
	v_pk_fma_f16 v22, v9, v2, v23
	v_pk_fma_f16 v23, v10, v2, v24
	v_pk_fma_f16 v2, v11, v2, v20
	ds_read2_b64 v[8:11], v3 offset1:32
	v_mul_u32_u24_e32 v20, 0x10001, v28
	s_waitcnt lgkmcnt(0)
	;; [unrolled: 14-line block ×6, first 2 shown]
	v_pk_fma_f16 v20, v8, v3, v20
	v_pk_fma_f16 v21, v9, v3, v21
	;; [unrolled: 1-line block ×3, first 2 shown]
	ds_read2_b64 v[7:10], v30 offset0:128 offset1:160
	v_pk_fma_f16 v2, v11, v3, v2
	v_mul_u32_u24_e32 v3, 0x10001, v6
	s_waitcnt lgkmcnt(0)
	v_pk_fma_f16 v11, v7, v3, v20
	v_pk_fma_f16 v20, v8, v3, v21
	;; [unrolled: 1-line block ×3, first 2 shown]
	ds_read2_b64 v[6:9], v31 offset1:32
	v_pk_fma_f16 v2, v10, v3, v2
	v_mul_u32_u24_e32 v3, 0x10001, v5
	s_waitcnt lgkmcnt(0)
	v_pk_fma_f16 v10, v6, v3, v11
	v_pk_fma_f16 v11, v7, v3, v20
	v_pk_fma_f16 v20, v8, v3, v21
	ds_read2_b64 v[5:8], v31 offset0:128 offset1:160
	v_pk_fma_f16 v9, v9, v3, v2
	v_mul_u32_u24_e32 v21, 0x10001, v4
	s_waitcnt lgkmcnt(0)
	s_barrier
	v_pk_fma_f16 v2, v5, v21, v10
	v_pk_fma_f16 v3, v6, v21, v11
	v_pk_fma_f16 v4, v7, v21, v20
	v_pk_fma_f16 v5, v8, v21, v9
	v_mov_b32_e32 v7, v19
.LBB73_36:
	v_cmp_lt_i32_e32 vcc, v14, v13
	v_cndmask_b32_e32 v6, v12, v14, vcc
	v_lshlrev_b32_e32 v6, 2, v6
	ds_bpermute_b32 v6, v6, v36
	v_cmp_lt_i32_e32 vcc, v15, v13
	v_cndmask_b32_e32 v8, v12, v15, vcc
	v_lshlrev_b32_e32 v8, 2, v8
	v_cmp_lt_i32_e32 vcc, v16, v13
	s_waitcnt lgkmcnt(0)
	v_add_f32_e32 v6, v36, v6
	ds_bpermute_b32 v8, v8, v6
	v_cndmask_b32_e32 v9, v12, v16, vcc
	v_lshlrev_b32_e32 v9, 2, v9
	v_cmp_lt_i32_e32 vcc, v17, v13
	v_cmp_ne_u32_e64 s[6:7], 0, v37
	s_waitcnt lgkmcnt(0)
	v_add_f32_e32 v6, v6, v8
	ds_bpermute_b32 v8, v9, v6
	v_cndmask_b32_e32 v9, v12, v17, vcc
	v_lshlrev_b32_e32 v9, 2, v9
	v_cmp_lt_i32_e32 vcc, v18, v13
	s_waitcnt lgkmcnt(0)
	v_add_f32_e32 v6, v6, v8
	ds_bpermute_b32 v8, v9, v6
	v_cndmask_b32_e32 v9, v12, v18, vcc
	v_lshlrev_b32_e32 v9, 2, v9
	v_cmp_eq_u32_e32 vcc, 0, v37
	s_waitcnt lgkmcnt(0)
	v_add_f32_e32 v6, v6, v8
	ds_bpermute_b32 v8, v9, v6
	s_waitcnt lgkmcnt(0)
	v_add_f32_e32 v8, v6, v8
	s_and_saveexec_b64 s[10:11], s[6:7]
	s_xor_b64 s[10:11], exec, s[10:11]
	s_cbranch_execnz .LBB73_40
; %bb.37:
	s_andn2_saveexec_b64 s[6:7], s[10:11]
	s_cbranch_execnz .LBB73_43
.LBB73_38:
	s_or_b64 exec, exec, s[6:7]
	s_and_saveexec_b64 s[6:7], vcc
	s_cbranch_execnz .LBB73_44
.LBB73_39:
	s_endpgm
.LBB73_40:
	v_lshl_add_u32 v6, v1, 9, v35
	v_cmp_eq_u32_e64 s[6:7], 0, v0
	ds_write_b128 v6, v[2:5]
	s_and_saveexec_b64 s[12:13], s[6:7]
; %bb.41:
	v_lshlrev_b32_e32 v1, 2, v1
	ds_write_b32 v1, v8 offset:17408
; %bb.42:
	s_or_b64 exec, exec, s[12:13]
                                        ; implicit-def: $vgpr1
                                        ; implicit-def: $vgpr35
	s_andn2_saveexec_b64 s[6:7], s[10:11]
	s_cbranch_execz .LBB73_38
.LBB73_43:
	v_lshl_add_u32 v6, v1, 9, v35
	v_lshlrev_b32_e32 v1, 2, v1
	s_waitcnt lgkmcnt(0)
	s_barrier
	ds_read_b128 v[9:12], v6 offset:512
	ds_read_b32 v1, v1 offset:17412
	s_waitcnt lgkmcnt(1)
	v_pk_add_f16 v2, v9, v2
	v_pk_add_f16 v3, v10, v3
	;; [unrolled: 1-line block ×4, first 2 shown]
	s_waitcnt lgkmcnt(0)
	v_add_f32_e32 v8, v8, v1
	s_or_b64 exec, exec, s[6:7]
	s_and_saveexec_b64 s[6:7], vcc
	s_cbranch_execz .LBB73_39
.LBB73_44:
	s_cmp_eq_u64 s[20:21], 0
	s_cselect_b64 s[6:7], -1, 0
	s_cmp_lg_u32 s9, 0
	s_cselect_b64 s[10:11], -1, 0
	s_or_b64 s[6:7], s[10:11], s[6:7]
	s_and_b64 vcc, exec, s[6:7]
	s_cbranch_vccnz .LBB73_46
; %bb.45:
	s_lshl_b64 s[6:7], s[34:35], 2
	s_add_u32 s6, s20, s6
	s_addc_u32 s7, s21, s7
	v_mov_b32_e32 v1, 0
	global_load_dword v1, v1, s[6:7]
	v_max_f32_e32 v6, v7, v7
	s_mov_b32 s6, 0x3fb8aa3b
	s_mov_b32 s7, 0xc2ce8ed0
	s_waitcnt vmcnt(0)
	v_max_f32_e32 v9, v1, v1
	v_max_f32_e32 v6, v6, v9
	v_sub_f32_e32 v7, v7, v6
	v_sub_f32_e32 v1, v1, v6
	v_mul_f32_e32 v9, 0x3fb8aa3b, v7
	v_mul_f32_e32 v10, 0x3fb8aa3b, v1
	v_fma_f32 v11, v7, s6, -v9
	v_rndne_f32_e32 v12, v9
	v_fma_f32 v13, v1, s6, -v10
	v_rndne_f32_e32 v14, v10
	v_fmac_f32_e32 v11, 0x32a5705f, v7
	v_sub_f32_e32 v9, v9, v12
	v_fmac_f32_e32 v13, 0x32a5705f, v1
	v_sub_f32_e32 v10, v10, v14
	v_add_f32_e32 v9, v9, v11
	v_cvt_i32_f32_e32 v12, v12
	v_add_f32_e32 v10, v10, v13
	v_exp_f32_e32 v9, v9
	v_cvt_i32_f32_e32 v14, v14
	v_exp_f32_e32 v10, v10
	v_cmp_ngt_f32_e32 vcc, s7, v7
	v_ldexp_f32 v9, v9, v12
	s_mov_b32 s6, 0x42b17218
	v_ldexp_f32 v10, v10, v14
	v_cndmask_b32_e32 v9, 0, v9, vcc
	v_cmp_ngt_f32_e32 vcc, s7, v1
	v_mov_b32_e32 v11, 0x7f800000
	v_cndmask_b32_e32 v10, 0, v10, vcc
	v_cmp_nlt_f32_e32 vcc, s6, v7
	v_cndmask_b32_e32 v7, v11, v9, vcc
	v_cvt_f16_f32_e32 v9, v7
	v_cmp_nlt_f32_e32 vcc, s6, v1
	v_cndmask_b32_e32 v1, v11, v10, vcc
	v_fmac_f32_e32 v1, v8, v7
	v_mov_b32_e32 v8, v1
	v_mul_u32_u24_e32 v1, 0x10001, v9
	v_pk_mul_f16 v2, v2, v1
	v_pk_mul_f16 v3, v3, v1
	;; [unrolled: 1-line block ×4, first 2 shown]
	v_mov_b32_e32 v7, v6
.LBB73_46:
	v_cmp_gt_i32_e32 vcc, s30, v33
	s_and_b64 exec, exec, vcc
	s_cbranch_execz .LBB73_39
; %bb.47:
	v_div_scale_f32 v1, s[6:7], v8, v8, 1.0
	v_div_scale_f32 v6, vcc, 1.0, v8, 1.0
	s_load_dword s6, s[4:5], 0xd4
	v_cmp_eq_u32_e64 s[4:5], 0, v0
	s_mul_i32 s33, s33, s30
	v_cvt_f32_f16_sdwa v10, v2 dst_sel:DWORD dst_unused:UNUSED_PAD src0_sel:WORD_1
	v_cvt_f32_f16_e32 v13, v2
	v_add_u32_e32 v2, s33, v33
	v_mul_lo_u32 v2, v2, s31
	v_cvt_f32_f16_sdwa v9, v3 dst_sel:DWORD dst_unused:UNUSED_PAD src0_sel:WORD_1
	v_cvt_f32_f16_e32 v3, v3
	v_cvt_f32_f16_sdwa v14, v5 dst_sel:DWORD dst_unused:UNUSED_PAD src0_sel:WORD_1
	v_cvt_f32_f16_e32 v15, v5
	s_waitcnt lgkmcnt(0)
	s_cmp_lg_u32 s6, 1
	v_rcp_f32_e32 v0, v1
	v_cvt_f32_f16_sdwa v16, v4 dst_sel:DWORD dst_unused:UNUSED_PAD src0_sel:WORD_1
	v_fma_f32 v11, -v1, v0, 1.0
	v_fmac_f32_e32 v0, v11, v0
	v_mul_f32_e32 v11, v6, v0
	v_fma_f32 v12, -v1, v11, v6
	v_fmac_f32_e32 v11, v12, v0
	v_fma_f32 v1, -v1, v11, v6
	v_div_fmas_f32 v11, v1, v0, v11
	v_add_u32_e32 v0, s34, v2
	v_mul_lo_u32 v0, s6, v0
	v_mov_b32_e32 v6, 0
	s_cselect_b64 s[6:7], -1, 0
	v_mov_b32_e32 v12, s25
	v_add_u32_e32 v0, s9, v0
	v_lshl_add_u32 v5, v0, 8, v34
	v_lshlrev_b64 v[1:2], 2, v[5:6]
	v_add_u32_e32 v5, 0x80, v5
	v_add_co_u32_e32 v1, vcc, s24, v1
	v_addc_co_u32_e32 v2, vcc, v12, v2, vcc
	v_lshlrev_b64 v[5:6], 2, v[5:6]
	s_and_b64 s[4:5], s[4:5], s[6:7]
	v_div_fixup_f32 v11, v11, v8, 1.0
	v_cndmask_b32_e64 v17, v11, 1.0, s[6:7]
	v_mul_f32_e32 v12, v17, v9
	v_mul_f32_e32 v11, v17, v3
	;; [unrolled: 1-line block ×4, first 2 shown]
	global_store_dwordx4 v[1:2], v[9:12], off
	v_cvt_f32_f16_e32 v1, v4
	v_mov_b32_e32 v9, s25
	v_add_co_u32_e32 v5, vcc, s24, v5
	v_mul_f32_e32 v4, v17, v14
	v_mul_f32_e32 v3, v17, v15
	;; [unrolled: 1-line block ×4, first 2 shown]
	v_addc_co_u32_e32 v6, vcc, v9, v6, vcc
	global_store_dwordx4 v[5:6], v[1:4], off
	s_and_b64 exec, exec, s[4:5]
	s_cbranch_execz .LBB73_39
; %bb.48:
	v_ashrrev_i32_e32 v1, 31, v0
	v_lshlrev_b64 v[0:1], 3, v[0:1]
	v_mov_b32_e32 v2, s27
	v_add_co_u32_e32 v0, vcc, s26, v0
	v_addc_co_u32_e32 v1, vcc, v2, v1, vcc
	global_store_dwordx2 v[0:1], v[7:8], off
	s_endpgm
	.section	.rodata,"a",@progbits
	.p2align	6, 0x0
	.amdhsa_kernel _ZL15flash_attn_tileILi256ELi256ELi4ELi1ELb1EEvPKcS1_S1_S1_S1_PKiPfP15HIP_vector_typeIfLj2EEffffjfiS5_IjLj3EEiiiiiiiiiiiliiliiiiil
		.amdhsa_group_segment_fixed_size 20032
		.amdhsa_private_segment_fixed_size 32
		.amdhsa_kernarg_size 464
		.amdhsa_user_sgpr_count 8
		.amdhsa_user_sgpr_private_segment_buffer 1
		.amdhsa_user_sgpr_dispatch_ptr 0
		.amdhsa_user_sgpr_queue_ptr 0
		.amdhsa_user_sgpr_kernarg_segment_ptr 1
		.amdhsa_user_sgpr_dispatch_id 0
		.amdhsa_user_sgpr_flat_scratch_init 1
		.amdhsa_user_sgpr_private_segment_size 0
		.amdhsa_uses_dynamic_stack 0
		.amdhsa_system_sgpr_private_segment_wavefront_offset 1
		.amdhsa_system_sgpr_workgroup_id_x 1
		.amdhsa_system_sgpr_workgroup_id_y 1
		.amdhsa_system_sgpr_workgroup_id_z 1
		.amdhsa_system_sgpr_workgroup_info 0
		.amdhsa_system_vgpr_workitem_id 1
		.amdhsa_next_free_vgpr 109
		.amdhsa_next_free_sgpr 96
		.amdhsa_reserve_vcc 1
		.amdhsa_reserve_flat_scratch 1
		.amdhsa_float_round_mode_32 0
		.amdhsa_float_round_mode_16_64 0
		.amdhsa_float_denorm_mode_32 3
		.amdhsa_float_denorm_mode_16_64 3
		.amdhsa_dx10_clamp 1
		.amdhsa_ieee_mode 1
		.amdhsa_fp16_overflow 0
		.amdhsa_exception_fp_ieee_invalid_op 0
		.amdhsa_exception_fp_denorm_src 0
		.amdhsa_exception_fp_ieee_div_zero 0
		.amdhsa_exception_fp_ieee_overflow 0
		.amdhsa_exception_fp_ieee_underflow 0
		.amdhsa_exception_fp_ieee_inexact 0
		.amdhsa_exception_int_div_zero 0
	.end_amdhsa_kernel
	.section	.text._ZL15flash_attn_tileILi256ELi256ELi4ELi1ELb1EEvPKcS1_S1_S1_S1_PKiPfP15HIP_vector_typeIfLj2EEffffjfiS5_IjLj3EEiiiiiiiiiiiliiliiiiil,"axG",@progbits,_ZL15flash_attn_tileILi256ELi256ELi4ELi1ELb1EEvPKcS1_S1_S1_S1_PKiPfP15HIP_vector_typeIfLj2EEffffjfiS5_IjLj3EEiiiiiiiiiiiliiliiiiil,comdat
.Lfunc_end73:
	.size	_ZL15flash_attn_tileILi256ELi256ELi4ELi1ELb1EEvPKcS1_S1_S1_S1_PKiPfP15HIP_vector_typeIfLj2EEffffjfiS5_IjLj3EEiiiiiiiiiiiliiliiiiil, .Lfunc_end73-_ZL15flash_attn_tileILi256ELi256ELi4ELi1ELb1EEvPKcS1_S1_S1_S1_PKiPfP15HIP_vector_typeIfLj2EEffffjfiS5_IjLj3EEiiiiiiiiiiiliiliiiiil
                                        ; -- End function
	.set _ZL15flash_attn_tileILi256ELi256ELi4ELi1ELb1EEvPKcS1_S1_S1_S1_PKiPfP15HIP_vector_typeIfLj2EEffffjfiS5_IjLj3EEiiiiiiiiiiiliiliiiiil.num_vgpr, 109
	.set _ZL15flash_attn_tileILi256ELi256ELi4ELi1ELb1EEvPKcS1_S1_S1_S1_PKiPfP15HIP_vector_typeIfLj2EEffffjfiS5_IjLj3EEiiiiiiiiiiiliiliiiiil.num_agpr, 0
	.set _ZL15flash_attn_tileILi256ELi256ELi4ELi1ELb1EEvPKcS1_S1_S1_S1_PKiPfP15HIP_vector_typeIfLj2EEffffjfiS5_IjLj3EEiiiiiiiiiiiliiliiiiil.numbered_sgpr, 52
	.set _ZL15flash_attn_tileILi256ELi256ELi4ELi1ELb1EEvPKcS1_S1_S1_S1_PKiPfP15HIP_vector_typeIfLj2EEffffjfiS5_IjLj3EEiiiiiiiiiiiliiliiiiil.num_named_barrier, 0
	.set _ZL15flash_attn_tileILi256ELi256ELi4ELi1ELb1EEvPKcS1_S1_S1_S1_PKiPfP15HIP_vector_typeIfLj2EEffffjfiS5_IjLj3EEiiiiiiiiiiiliiliiiiil.private_seg_size, 32
	.set _ZL15flash_attn_tileILi256ELi256ELi4ELi1ELb1EEvPKcS1_S1_S1_S1_PKiPfP15HIP_vector_typeIfLj2EEffffjfiS5_IjLj3EEiiiiiiiiiiiliiliiiiil.uses_vcc, 1
	.set _ZL15flash_attn_tileILi256ELi256ELi4ELi1ELb1EEvPKcS1_S1_S1_S1_PKiPfP15HIP_vector_typeIfLj2EEffffjfiS5_IjLj3EEiiiiiiiiiiiliiliiiiil.uses_flat_scratch, 1
	.set _ZL15flash_attn_tileILi256ELi256ELi4ELi1ELb1EEvPKcS1_S1_S1_S1_PKiPfP15HIP_vector_typeIfLj2EEffffjfiS5_IjLj3EEiiiiiiiiiiiliiliiiiil.has_dyn_sized_stack, 0
	.set _ZL15flash_attn_tileILi256ELi256ELi4ELi1ELb1EEvPKcS1_S1_S1_S1_PKiPfP15HIP_vector_typeIfLj2EEffffjfiS5_IjLj3EEiiiiiiiiiiiliiliiiiil.has_recursion, 0
	.set _ZL15flash_attn_tileILi256ELi256ELi4ELi1ELb1EEvPKcS1_S1_S1_S1_PKiPfP15HIP_vector_typeIfLj2EEffffjfiS5_IjLj3EEiiiiiiiiiiiliiliiiiil.has_indirect_call, 0
	.section	.AMDGPU.csdata,"",@progbits
; Kernel info:
; codeLenInByte = 15316
; TotalNumSgprs: 58
; NumVgprs: 109
; ScratchSize: 32
; MemoryBound: 0
; FloatMode: 240
; IeeeMode: 1
; LDSByteSize: 20032 bytes/workgroup (compile time only)
; SGPRBlocks: 12
; VGPRBlocks: 27
; NumSGPRsForWavesPerEU: 102
; NumVGPRsForWavesPerEU: 109
; Occupancy: 2
; WaveLimiterHint : 1
; COMPUTE_PGM_RSRC2:SCRATCH_EN: 1
; COMPUTE_PGM_RSRC2:USER_SGPR: 8
; COMPUTE_PGM_RSRC2:TRAP_HANDLER: 0
; COMPUTE_PGM_RSRC2:TGID_X_EN: 1
; COMPUTE_PGM_RSRC2:TGID_Y_EN: 1
; COMPUTE_PGM_RSRC2:TGID_Z_EN: 1
; COMPUTE_PGM_RSRC2:TIDIG_COMP_CNT: 1
	.section	.text._ZL15flash_attn_tileILi256ELi256ELi2ELi1ELb1EEvPKcS1_S1_S1_S1_PKiPfP15HIP_vector_typeIfLj2EEffffjfiS5_IjLj3EEiiiiiiiiiiiliiliiiiil,"axG",@progbits,_ZL15flash_attn_tileILi256ELi256ELi2ELi1ELb1EEvPKcS1_S1_S1_S1_PKiPfP15HIP_vector_typeIfLj2EEffffjfiS5_IjLj3EEiiiiiiiiiiiliiliiiiil,comdat
	.globl	_ZL15flash_attn_tileILi256ELi256ELi2ELi1ELb1EEvPKcS1_S1_S1_S1_PKiPfP15HIP_vector_typeIfLj2EEffffjfiS5_IjLj3EEiiiiiiiiiiiliiliiiiil ; -- Begin function _ZL15flash_attn_tileILi256ELi256ELi2ELi1ELb1EEvPKcS1_S1_S1_S1_PKiPfP15HIP_vector_typeIfLj2EEffffjfiS5_IjLj3EEiiiiiiiiiiiliiliiiiil
	.p2align	8
	.type	_ZL15flash_attn_tileILi256ELi256ELi2ELi1ELb1EEvPKcS1_S1_S1_S1_PKiPfP15HIP_vector_typeIfLj2EEffffjfiS5_IjLj3EEiiiiiiiiiiiliiliiiiil,@function
_ZL15flash_attn_tileILi256ELi256ELi2ELi1ELb1EEvPKcS1_S1_S1_S1_PKiPfP15HIP_vector_typeIfLj2EEffffjfiS5_IjLj3EEiiiiiiiiiiiliiliiiiil: ; @_ZL15flash_attn_tileILi256ELi256ELi2ELi1ELb1EEvPKcS1_S1_S1_S1_PKiPfP15HIP_vector_typeIfLj2EEffffjfiS5_IjLj3EEiiiiiiiiiiiliiliiiiil
; %bb.0:
	s_load_dwordx4 s[28:31], s[4:5], 0x5c
	s_load_dwordx2 s[42:43], s[4:5], 0x80
	s_add_u32 flat_scratch_lo, s6, s11
	s_addc_u32 flat_scratch_hi, s7, 0
	s_add_u32 s0, s0, s11
	s_waitcnt lgkmcnt(0)
	v_cvt_f32_u32_e32 v2, s31
	s_addc_u32 s1, s1, 0
	s_sub_i32 s6, 0, s31
	s_load_dwordx2 s[44:45], s[4:5], 0xb8
	v_rcp_iflag_f32_e32 v2, v2
	s_mov_b64 s[40:41], 0
	v_mul_f32_e32 v2, 0x4f7ffffe, v2
	v_cvt_u32_f32_e32 v2, v2
	v_readfirstlane_b32 s7, v2
	s_mul_i32 s6, s6, s7
	s_mul_hi_u32 s6, s7, s6
	s_add_i32 s7, s7, s6
	s_mul_hi_u32 s6, s10, s7
	s_mul_i32 s7, s6, s31
	s_sub_i32 s7, s10, s7
	s_add_i32 s11, s6, 1
	s_sub_i32 s12, s7, s31
	s_cmp_ge_u32 s7, s31
	s_cselect_b32 s6, s11, s6
	s_cselect_b32 s7, s12, s7
	s_add_i32 s11, s6, 1
	s_cmp_ge_u32 s7, s31
	s_cselect_b32 s33, s11, s6
	s_abs_i32 s6, s43
	v_cvt_f32_u32_e32 v2, s6
	s_mul_i32 s12, s33, s31
	s_sub_i32 s13, 0, s6
	s_sub_i32 s34, s10, s12
	v_rcp_iflag_f32_e32 v2, v2
	s_abs_i32 s11, s31
	s_xor_b32 s7, s31, s43
	s_ashr_i32 s7, s7, 31
	v_mul_f32_e32 v2, 0x4f7ffffe, v2
	v_cvt_u32_f32_e32 v2, v2
	v_readfirstlane_b32 s10, v2
	s_mul_i32 s13, s13, s10
	s_mul_hi_u32 s12, s10, s13
	s_add_i32 s10, s10, s12
	s_mul_hi_u32 s10, s11, s10
	s_mul_i32 s12, s10, s6
	s_sub_i32 s11, s11, s12
	s_add_i32 s13, s10, 1
	s_sub_i32 s12, s11, s6
	s_cmp_ge_u32 s11, s6
	s_cselect_b32 s10, s13, s10
	s_cselect_b32 s11, s12, s11
	s_add_i32 s12, s10, 1
	s_cmp_ge_u32 s11, s6
	s_cselect_b32 s6, s12, s10
	s_xor_b32 s6, s6, s7
	s_sub_i32 s46, s6, s7
	s_abs_i32 s43, s46
	v_cvt_f32_u32_e32 v2, s43
	s_load_dwordx16 s[12:27], s[4:5], 0x0
	s_sub_i32 s6, 0, s43
	v_rcp_iflag_f32_e32 v2, v2
	s_waitcnt lgkmcnt(0)
	s_cmp_eq_u64 s[18:19], 0
	v_mul_f32_e32 v2, 0x4f7ffffe, v2
	v_cvt_u32_f32_e32 v2, v2
	v_readfirstlane_b32 s35, v2
	s_mul_i32 s6, s6, s35
	s_mul_hi_u32 s6, s35, s6
	s_cbranch_scc1 .LBB74_2
; %bb.1:
	s_abs_i32 s7, s44
	v_cvt_f32_u32_e32 v2, s7
	s_sub_i32 s38, 0, s7
	s_abs_i32 s37, s33
	s_ashr_i32 s36, s33, 31
	v_rcp_iflag_f32_e32 v2, v2
	s_load_dwordx2 s[10:11], s[4:5], 0xc8
	v_mul_f32_e32 v2, 0x4f7ffffe, v2
	v_cvt_u32_f32_e32 v2, v2
	v_readfirstlane_b32 s39, v2
	s_mul_i32 s38, s38, s39
	s_mul_hi_u32 s38, s39, s38
	s_add_i32 s39, s39, s38
	s_mul_hi_u32 s38, s37, s39
	s_mul_i32 s38, s38, s7
	s_sub_i32 s37, s37, s38
	s_sub_i32 s38, s37, s7
	s_cmp_ge_u32 s37, s7
	s_cselect_b32 s37, s38, s37
	s_sub_i32 s38, s37, s7
	s_cmp_ge_u32 s37, s7
	s_cselect_b32 s7, s38, s37
	s_xor_b32 s7, s7, s36
	s_sub_i32 s7, s7, s36
	s_ashr_i32 s36, s7, 31
	s_waitcnt lgkmcnt(0)
	s_mul_hi_u32 s37, s10, s7
	s_mul_i32 s36, s10, s36
	s_mul_i32 s11, s11, s7
	s_add_i32 s36, s37, s36
	s_add_i32 s36, s36, s11
	s_mul_i32 s7, s10, s7
	s_add_u32 s40, s18, s7
	s_addc_u32 s41, s19, s36
.LBB74_2:
	s_load_dwordx4 s[36:39], s[4:5], 0x40
	s_load_dwordx2 s[18:19], s[4:5], 0x50
	s_add_i32 s35, s35, s6
	s_abs_i32 s44, s34
	v_mov_b32_e32 v40, 1.0
	s_waitcnt lgkmcnt(0)
	v_cmp_le_f32_e64 s[6:7], s37, 0
	s_and_b64 vcc, exec, s[6:7]
	s_cbranch_vccnz .LBB74_4
; %bb.3:
	v_mov_b32_e32 v2, s18
	v_sub_co_u32_e32 v2, vcc, s34, v2
	v_mov_b32_e32 v3, s39
	v_mov_b32_e32 v4, s38
	s_add_i32 s6, s34, 1
	v_lshlrev_b32_e32 v2, 1, v2
	v_cndmask_b32_e32 v3, v3, v4, vcc
	v_or_b32_e32 v2, 1, v2
	v_mov_b32_e32 v4, s6
	v_cndmask_b32_e32 v2, v2, v4, vcc
	v_cvt_f32_i32_e32 v2, v2
	v_cmp_neq_f32_e32 vcc, 1.0, v3
	s_mov_b32 s6, 0x3f2aaaab
	s_movk_i32 s10, 0x204
	v_cndmask_b32_e32 v4, 1.0, v2, vcc
	v_cmp_neq_f32_e32 vcc, 0, v4
	v_cndmask_b32_e32 v5, 1.0, v3, vcc
	v_frexp_mant_f32_e64 v2, |v5|
	v_cmp_gt_f32_e32 vcc, s6, v2
	v_cndmask_b32_e64 v3, 1.0, 2.0, vcc
	v_mul_f32_e32 v2, v2, v3
	v_add_f32_e32 v3, 1.0, v2
	v_rcp_f32_e32 v6, v3
	v_add_f32_e32 v7, -1.0, v2
	v_add_f32_e32 v8, -1.0, v3
	v_sub_f32_e32 v2, v2, v8
	v_mul_f32_e32 v8, v7, v6
	v_mul_f32_e32 v9, v3, v8
	v_fma_f32 v3, v8, v3, -v9
	v_fmac_f32_e32 v3, v8, v2
	v_add_f32_e32 v2, v9, v3
	v_sub_f32_e32 v10, v7, v2
	v_sub_f32_e32 v9, v2, v9
	;; [unrolled: 1-line block ×5, first 2 shown]
	v_add_f32_e32 v2, v3, v2
	v_add_f32_e32 v2, v10, v2
	v_mul_f32_e32 v2, v6, v2
	v_add_f32_e32 v6, v8, v2
	v_sub_f32_e32 v3, v6, v8
	v_sub_f32_e32 v7, v2, v3
	v_mul_f32_e32 v2, v6, v6
	v_fma_f32 v3, v6, v6, -v2
	v_add_f32_e32 v8, v7, v7
	v_fmac_f32_e32 v3, v6, v8
	v_add_f32_e32 v8, v2, v3
	v_mov_b32_e32 v9, 0x3e91f4c4
	v_sub_f32_e32 v2, v8, v2
	v_fmac_f32_e32 v9, 0x3e76c4e1, v8
	v_mov_b32_e32 v10, 0x3ecccdef
	v_sub_f32_e32 v2, v3, v2
	v_mul_f32_e32 v3, v6, v8
	v_fmac_f32_e32 v10, v8, v9
	v_fma_f32 v9, v8, v6, -v3
	v_fmac_f32_e32 v9, v8, v7
	v_fmac_f32_e32 v9, v2, v6
	v_add_f32_e32 v11, v3, v9
	v_sub_f32_e32 v3, v11, v3
	v_sub_f32_e32 v9, v9, v3
	v_mul_f32_e32 v3, v8, v10
	v_fma_f32 v8, v8, v10, -v3
	v_fmac_f32_e32 v8, v2, v10
	v_add_f32_e32 v10, v3, v8
	v_sub_f32_e32 v2, v10, v3
	v_sub_f32_e32 v8, v8, v2
	v_cvt_f64_f32_e64 v[2:3], |v5|
	v_add_f32_e32 v12, 0x3f2aaaaa, v10
	v_add_f32_e32 v13, 0xbf2aaaaa, v12
	;; [unrolled: 1-line block ×3, first 2 shown]
	v_frexp_exp_i32_f64_e32 v2, v[2:3]
	v_sub_f32_e32 v10, v10, v13
	v_add_f32_e32 v3, v8, v10
	v_add_f32_e32 v8, v12, v3
	v_sub_f32_e32 v10, v12, v8
	v_add_f32_e32 v3, v3, v10
	v_mul_f32_e32 v10, v11, v8
	v_fma_f32 v12, v11, v8, -v10
	v_subbrev_co_u32_e32 v2, vcc, 0, v2, vcc
	v_cvt_f32_i32_e32 v2, v2
	v_fmac_f32_e32 v12, v11, v3
	s_mov_b32 s6, 0x3f317218
	v_fmac_f32_e32 v12, v9, v8
	v_mul_f32_e32 v3, 0x3f317218, v2
	v_fma_f32 v8, v2, s6, -v3
	v_fmac_f32_e32 v8, 0xb102e308, v2
	v_ldexp_f32 v2, v7, 1
	v_add_f32_e32 v7, v3, v8
	v_sub_f32_e32 v3, v7, v3
	v_ldexp_f32 v6, v6, 1
	v_sub_f32_e32 v3, v8, v3
	v_add_f32_e32 v8, v10, v12
	v_sub_f32_e32 v9, v8, v10
	v_add_f32_e32 v10, v6, v8
	v_sub_f32_e32 v9, v12, v9
	v_sub_f32_e32 v6, v10, v6
	;; [unrolled: 1-line block ×3, first 2 shown]
	v_add_f32_e32 v2, v2, v9
	v_add_f32_e32 v2, v2, v6
	;; [unrolled: 1-line block ×3, first 2 shown]
	v_sub_f32_e32 v8, v6, v10
	v_sub_f32_e32 v2, v2, v8
	v_add_f32_e32 v8, v7, v6
	v_sub_f32_e32 v9, v8, v7
	v_sub_f32_e32 v10, v8, v9
	;; [unrolled: 1-line block ×4, first 2 shown]
	v_add_f32_e32 v6, v6, v7
	v_add_f32_e32 v7, v3, v2
	v_sub_f32_e32 v9, v7, v3
	v_sub_f32_e32 v10, v7, v9
	;; [unrolled: 1-line block ×4, first 2 shown]
	v_add_f32_e32 v2, v2, v3
	v_add_f32_e32 v3, v7, v6
	;; [unrolled: 1-line block ×3, first 2 shown]
	v_sub_f32_e32 v7, v6, v8
	v_sub_f32_e32 v3, v3, v7
	v_add_f32_e32 v2, v2, v3
	v_add_f32_e32 v3, v6, v2
	v_sub_f32_e32 v6, v3, v6
	v_sub_f32_e32 v2, v2, v6
	v_mul_f32_e32 v6, v4, v3
	v_fma_f32 v3, v4, v3, -v6
	v_fmac_f32_e32 v3, v4, v2
	v_add_f32_e32 v2, v6, v3
	v_cmp_class_f32_e64 vcc, v6, s10
	v_sub_f32_e32 v7, v2, v6
	v_cndmask_b32_e32 v2, v2, v6, vcc
	s_mov_b32 s7, 0x42b17218
	v_mov_b32_e32 v6, 0x37000000
	v_cmp_eq_f32_e32 vcc, s7, v2
	v_cndmask_b32_e32 v6, 0, v6, vcc
	v_sub_f32_e32 v3, v3, v7
	v_sub_f32_e32 v7, v2, v6
	s_mov_b32 s11, 0x3fb8aa3b
	v_mul_f32_e32 v8, 0x3fb8aa3b, v7
	v_fma_f32 v9, v7, s11, -v8
	v_rndne_f32_e32 v10, v8
	v_fmac_f32_e32 v9, 0x32a5705f, v7
	v_sub_f32_e32 v8, v8, v10
	v_add_f32_e32 v8, v8, v9
	v_exp_f32_e32 v8, v8
	v_cvt_i32_f32_e32 v9, v10
	s_mov_b32 s6, 0x7f800000
	v_cmp_neq_f32_e64 vcc, |v2|, s6
	s_mov_b32 s6, 0xc2ce8ed0
	v_cndmask_b32_e32 v2, 0, v3, vcc
	v_ldexp_f32 v3, v8, v9
	v_cmp_ngt_f32_e32 vcc, s6, v7
	v_add_f32_e32 v2, v6, v2
	v_cndmask_b32_e32 v3, 0, v3, vcc
	v_mov_b32_e32 v6, 0x7f800000
	v_cmp_nlt_f32_e32 vcc, s7, v7
	v_cndmask_b32_e32 v3, v6, v3, vcc
	v_fma_f32 v2, v3, v2, v3
	v_cmp_class_f32_e64 vcc, v3, s10
	v_cndmask_b32_e32 v2, v2, v3, vcc
	v_trunc_f32_e32 v3, v4
	v_cmp_eq_f32_e32 vcc, v3, v4
	v_mul_f32_e32 v3, 0.5, v4
	v_trunc_f32_e32 v8, v3
	v_cmp_neq_f32_e64 s[6:7], v8, v3
	s_and_b64 s[6:7], vcc, s[6:7]
	v_cndmask_b32_e64 v3, 1.0, v5, s[6:7]
	s_brev_b32 s18, -2
	v_mov_b32_e32 v7, 0x7fc00000
	v_bfi_b32 v2, s18, v2, v3
	v_cndmask_b32_e32 v3, v7, v2, vcc
	v_cmp_gt_f32_e32 vcc, 0, v5
	v_cndmask_b32_e32 v2, v2, v3, vcc
	v_cmp_class_f32_e64 s[38:39], v5, s10
	v_cmp_eq_f32_e32 vcc, 0, v5
	v_cmp_gt_f32_e64 s[10:11], 0, v4
	s_xor_b64 s[10:11], s[10:11], vcc
	v_cndmask_b32_e64 v3, v6, 0, s[10:11]
	v_cndmask_b32_e64 v4, 0, v5, s[6:7]
	v_bfi_b32 v3, s18, v3, v4
	s_or_b64 vcc, vcc, s[38:39]
	v_cndmask_b32_e32 v2, v2, v3, vcc
	v_cmp_o_f32_e32 vcc, v5, v5
	v_cndmask_b32_e32 v40, v7, v2, vcc
.LBB74_4:
	v_lshlrev_b32_e32 v3, 7, v1
	v_and_b32_e32 v3, 0x180, v3
	v_lshlrev_b32_e32 v33, 2, v0
	s_lshl_b32 s6, s8, 1
	v_lshrrev_b32_e32 v2, 2, v1
	v_add_u32_e32 v4, v3, v33
	s_movk_i32 s7, 0x100
	s_mul_hi_u32 s10, s44, s35
	v_cmp_gt_u32_e32 vcc, s7, v4
	v_lshlrev_b32_e32 v39, 3, v0
	v_add_u32_e32 v34, s6, v2
	v_lshlrev_b32_e32 v37, 2, v33
	s_and_saveexec_b64 s[6:7], vcc
	s_cbranch_execz .LBB74_6
; %bb.5:
	s_load_dwordx4 s[48:51], s[4:5], 0x70
	v_mul_hi_u32 v4, s28, v34
	v_lshlrev_b32_e32 v3, 2, v3
	v_lshlrev_b32_e32 v7, 8, v1
	;; [unrolled: 1-line block ×3, first 2 shown]
	v_add_u32_e32 v4, v34, v4
	s_waitcnt lgkmcnt(0)
	s_mul_i32 s11, s33, s50
	s_ashr_i32 s35, s11, 31
	v_lshrrev_b32_e32 v4, s29, v4
	s_mul_i32 s18, s34, s49
	s_add_u32 s11, s12, s11
	v_mul_lo_u32 v4, v4, s30
	s_addc_u32 s12, s13, s35
	s_ashr_i32 s13, s18, 31
	s_add_u32 s11, s11, s18
	s_addc_u32 s18, s12, s13
	s_ashr_i32 s49, s48, 31
	s_lshr_b64 s[12:13], s[48:49], 2
	v_sub_u32_e32 v6, v34, v4
	v_mad_u64_u32 v[4:5], s[12:13], s12, v6, 0
	s_lshr_b32 s12, s49, 2
	v_and_b32_e32 v7, 0x300, v7
	v_mad_u64_u32 v[5:6], s[12:13], s12, v6, v[5:6]
	v_mov_b32_e32 v6, s18
	v_add3_u32 v7, v2, v7, v39
	v_lshlrev_b64 v[4:5], 2, v[4:5]
	v_add_co_u32_e32 v4, vcc, s11, v4
	v_addc_co_u32_e32 v5, vcc, v6, v5, vcc
	v_add_co_u32_e32 v3, vcc, v4, v3
	v_addc_co_u32_e32 v4, vcc, 0, v5, vcc
	;; [unrolled: 2-line block ×3, first 2 shown]
	global_load_dwordx4 v[3:6], v[3:4], off
	s_waitcnt vmcnt(0)
	v_fma_mixlo_f16 v2, s36, v3, 0
	v_fma_mixlo_f16 v3, s36, v4, 0
	v_fma_mixlo_f16 v4, s36, v5, 0
	v_fma_mixlo_f16 v5, s36, v6, 0
	v_lshlrev_b32_e32 v3, 16, v3
	v_and_b32_e32 v2, 0xffff, v2
	v_lshlrev_b32_e32 v5, 16, v5
	v_and_b32_e32 v4, 0xffff, v4
	v_or_b32_e32 v2, v3, v2
	v_or3_b32 v3, v5, v4, 0
	v_or3_b32 v2, 0, 0, v2
	ds_write_b64 v7, v[2:3] offset:18432
.LBB74_6:
	s_or_b64 exec, exec, s[6:7]
	s_ashr_i32 s35, s34, 31
	s_ashr_i32 s6, s46, 31
	s_cmp_eq_u64 s[22:23], 0
	s_waitcnt lgkmcnt(0)
	s_barrier
	s_cbranch_scc1 .LBB74_8
; %bb.7:
	s_load_dword s7, s[4:5], 0xd0
	s_mov_b32 s13, 0
	s_waitcnt lgkmcnt(0)
	s_mul_i32 s7, s7, s33
	s_add_i32 s12, s7, s8
	s_lshl_b64 s[12:13], s[12:13], 2
	s_add_u32 s12, s22, s12
	s_addc_u32 s13, s23, s13
	s_load_dword s42, s[12:13], 0x0
.LBB74_8:
	s_nop 0
	s_load_dwordx2 s[12:13], s[4:5], 0x8c
	s_load_dwordx4 s[48:51], s[4:5], 0x98
	s_load_dwordx2 s[46:47], s[4:5], 0xa8
	s_ashr_i32 s7, s33, 31
	s_ashr_i32 s22, s45, 1
	s_waitcnt lgkmcnt(0)
	s_ashr_i32 s36, s12, 2
	s_mul_hi_u32 s11, s48, s33
	s_mul_i32 s12, s48, s7
	s_add_i32 s11, s11, s12
	s_mul_i32 s12, s49, s33
	s_ashr_i32 s8, s50, 2
	s_add_i32 s11, s11, s12
	s_mul_i32 s12, s48, s33
	s_add_u32 s12, s14, s12
	s_mul_i32 s14, s10, s43
	s_addc_u32 s11, s15, s11
	s_sub_i32 s14, s44, s14
	s_xor_b32 s6, s35, s6
	s_add_i32 s15, s10, 1
	s_sub_i32 s18, s14, s43
	s_cmp_ge_u32 s14, s43
	s_cselect_b32 s10, s15, s10
	s_cselect_b32 s14, s18, s14
	s_add_i32 s15, s10, 1
	s_cmp_ge_u32 s14, s43
	s_cselect_b32 s10, s15, s10
	s_xor_b32 s10, s10, s6
	s_sub_i32 s6, s10, s6
	s_mul_i32 s10, s6, s13
	s_ashr_i32 s13, s10, 31
	s_add_u32 s37, s12, s10
	s_mul_hi_u32 s10, s46, s33
	s_mul_i32 s7, s46, s7
	s_addc_u32 s38, s11, s13
	s_add_i32 s7, s10, s7
	s_mul_i32 s10, s47, s33
	s_add_i32 s7, s7, s10
	s_mul_i32 s10, s46, s33
	s_add_u32 s10, s16, s10
	s_mul_i32 s6, s6, s51
	s_addc_u32 s7, s17, s7
	s_ashr_i32 s11, s6, 31
	v_mul_lo_u32 v6, s8, v1
	s_add_u32 s16, s10, s6
	s_addc_u32 s17, s7, s11
	s_lshl_b32 s18, s9, 7
	s_add_i32 s23, s42, 0xffffff80
	s_cmp_ge_i32 s18, s23
	v_lshlrev_b32_e32 v35, 2, v1
	v_lshrrev_b32_e32 v45, 3, v0
	v_and_b32_e32 v44, 28, v33
	v_lshlrev_b32_e32 v43, 5, v1
	v_and_b32_e32 v41, 3, v0
	v_and_b32_e32 v36, 3, v1
	v_mbcnt_lo_u32_b32 v42, -1, 0
	s_cbranch_scc1 .LBB74_21
; %bb.9:
	v_mul_hi_u32 v7, s28, v34
	v_add_u32_e32 v2, v45, v35
	v_mul_lo_u32 v4, s36, v2
	v_lshlrev_b32_e32 v5, 2, v44
	v_add_u32_e32 v7, v34, v7
	v_lshrrev_b32_e32 v7, s29, v7
	v_mul_lo_u32 v7, v7, s30
	s_movk_i32 s6, 0x90
	v_mad_u32_u24 v46, v2, s6, v5
	s_lshl_b32 s6, s36, 5
	v_add_u32_e32 v11, s6, v4
	v_and_b32_e32 v10, 0x60, v43
	v_mov_b32_e32 v3, 0
	v_add_u32_e32 v13, s6, v11
	v_add_u32_e32 v2, v10, v0
	v_and_b32_e32 v17, 0x1f80, v43
	v_mov_b32_e32 v8, 0x4800
	v_sub_u32_e32 v7, v34, v7
	s_cmp_lg_u64 s[40:41], 0
	s_movk_i32 s12, 0xfc
	v_add_u32_e32 v15, s6, v13
	v_mul_u32_u24_e32 v50, 0x90, v2
	v_lshl_add_u32 v51, v17, 2, v8
	s_cselect_b64 s[10:11], -1, 0
	v_mad_u64_u32 v[8:9], s[6:7], v7, s22, v[2:3]
	v_and_or_b32 v2, v1, s12, v41
	v_mov_b32_e32 v7, 0x4e00
	s_lshl_b32 s12, s8, 3
	v_lshl_add_u32 v53, v2, 2, v7
	v_mov_b32_e32 v2, 0x4c00
	v_add_u32_e32 v19, s12, v6
	v_lshl_add_u32 v2, v17, 1, v2
	v_add_u32_e32 v21, s12, v19
	v_lshl_or_b32 v7, v10, 1, v2
	v_add_u32_e32 v23, s12, v21
	v_ashrrev_i32_e32 v5, 31, v4
	v_ashrrev_i32_e32 v12, 31, v11
	;; [unrolled: 1-line block ×4, first 2 shown]
	v_lshl_add_u32 v54, v0, 1, v7
	v_ashrrev_i32_e32 v7, 31, v6
	v_ashrrev_i32_e32 v20, 31, v19
	;; [unrolled: 1-line block ×4, first 2 shown]
	v_and_b32_e32 v9, 3, v1
	v_lshl_add_u32 v55, v1, 9, v37
	v_lshl_or_b32 v59, v9, 1, v2
	v_lshl_add_u32 v60, v9, 9, v39
	s_add_u32 s12, s4, 0xd0
	v_lshlrev_b64 v[9:10], 2, v[4:5]
	v_lshlrev_b64 v[11:12], 2, v[11:12]
	;; [unrolled: 1-line block ×8, first 2 shown]
	v_add_u32_e32 v47, 0x1200, v46
	v_add_u32_e32 v48, 0x2400, v46
	;; [unrolled: 1-line block ×3, first 2 shown]
	v_cmp_eq_u32_e64 s[6:7], 0, v0
	v_add_u32_e32 v52, 0x4e00, v35
	v_add_u32_e32 v56, 0x1000, v55
	;; [unrolled: 1-line block ×4, first 2 shown]
	s_addc_u32 s13, s5, 0
	v_mov_b32_e32 v68, 0xfeffffff
	v_lshlrev_b32_e32 v61, 2, v44
	s_mov_b32 s39, 0x3f200000
	s_mov_b32 s43, 0x3fb8aa3b
	;; [unrolled: 1-line block ×4, first 2 shown]
	v_mov_b32_e32 v62, 0xbd5c1c4e
	v_mov_b32_e32 v63, 0x3e088382
	;; [unrolled: 1-line block ×3, first 2 shown]
	s_brev_b32 s46, -2
	v_mbcnt_hi_u32_b32 v65, -1, v42
	v_lshlrev_b32_e32 v66, 2, v33
	v_mov_b32_e32 v67, 0x7f800000
	v_mov_b32_e32 v2, v3
	;; [unrolled: 1-line block ×5, first 2 shown]
.LBB74_10:                              ; =>This Inner Loop Header: Depth=1
	s_mul_hi_i32 s15, s18, s36
	s_mul_i32 s14, s18, s36
	s_lshl_b64 s[14:15], s[14:15], 2
	s_add_u32 s14, s37, s14
	s_addc_u32 s15, s38, s15
	v_add_co_u32_e32 v7, vcc, s14, v9
	v_mov_b32_e32 v25, s15
	v_addc_co_u32_e32 v26, vcc, v25, v10, vcc
	v_add_co_u32_e32 v25, vcc, v7, v61
	v_addc_co_u32_e32 v26, vcc, 0, v26, vcc
	global_load_dwordx4 v[27:30], v[25:26], off
	v_add_co_u32_e32 v7, vcc, s14, v11
	s_waitcnt vmcnt(0)
	ds_write_b128 v46, v[27:30]
	v_mov_b32_e32 v27, s15
	v_addc_co_u32_e32 v28, vcc, v27, v12, vcc
	v_add_co_u32_e32 v27, vcc, v7, v61
	v_addc_co_u32_e32 v28, vcc, 0, v28, vcc
	global_load_dwordx4 v[29:32], v[27:28], off
	v_add_co_u32_e32 v7, vcc, s14, v13
	s_waitcnt vmcnt(0)
	ds_write_b128 v47, v[29:32]
	v_mov_b32_e32 v29, s15
	v_addc_co_u32_e32 v30, vcc, v29, v14, vcc
	v_add_co_u32_e32 v29, vcc, v7, v61
	v_addc_co_u32_e32 v30, vcc, 0, v30, vcc
	global_load_dwordx4 v[69:72], v[29:30], off
	v_add_co_u32_e32 v7, vcc, s14, v15
	v_mov_b32_e32 v31, s15
	v_addc_co_u32_e32 v32, vcc, v31, v16, vcc
	v_add_co_u32_e32 v31, vcc, v7, v61
	v_addc_co_u32_e32 v32, vcc, 0, v32, vcc
	v_mov_b32_e32 v7, 0
	s_waitcnt vmcnt(0)
	ds_write_b128 v48, v[69:72]
	global_load_dwordx4 v[69:72], v[31:32], off
	s_waitcnt vmcnt(0)
	ds_write_b128 v49, v[69:72]
	s_waitcnt lgkmcnt(0)
	s_barrier
	ds_read_b128 v[69:72], v50
	ds_read_b128 v[73:76], v51
	s_waitcnt lgkmcnt(0)
	;;#ASMSTART
	v_dot2_f32_f16 v7, v69, v73, v7
	;;#ASMEND
	;;#ASMSTART
	v_dot2_f32_f16 v7, v70, v74, v7
	;;#ASMEND
	;;#ASMSTART
	v_dot2_f32_f16 v7, v71, v75, v7
	;;#ASMEND
	;;#ASMSTART
	v_dot2_f32_f16 v7, v72, v76, v7
	;;#ASMEND
	ds_read_b128 v[69:72], v50 offset:16
	ds_read_b128 v[73:76], v51 offset:16
	s_waitcnt lgkmcnt(0)
	;;#ASMSTART
	v_dot2_f32_f16 v7, v69, v73, v7
	;;#ASMEND
	;;#ASMSTART
	v_dot2_f32_f16 v7, v70, v74, v7
	;;#ASMEND
	;;#ASMSTART
	v_dot2_f32_f16 v7, v71, v75, v7
	;;#ASMEND
	;;#ASMSTART
	v_dot2_f32_f16 v7, v72, v76, v7
	;;#ASMEND
	ds_read_b128 v[69:72], v50 offset:32
	ds_read_b128 v[73:76], v51 offset:32
	s_waitcnt lgkmcnt(0)
	;;#ASMSTART
	v_dot2_f32_f16 v7, v69, v73, v7
	;;#ASMEND
	;;#ASMSTART
	v_dot2_f32_f16 v7, v70, v74, v7
	;;#ASMEND
	;;#ASMSTART
	v_dot2_f32_f16 v7, v71, v75, v7
	;;#ASMEND
	;;#ASMSTART
	v_dot2_f32_f16 v7, v72, v76, v7
	;;#ASMEND
	ds_read_b128 v[69:72], v50 offset:48
	ds_read_b128 v[73:76], v51 offset:48
	s_waitcnt lgkmcnt(0)
	;;#ASMSTART
	v_dot2_f32_f16 v7, v69, v73, v7
	;;#ASMEND
	;;#ASMSTART
	v_dot2_f32_f16 v7, v70, v74, v7
	;;#ASMEND
	;;#ASMSTART
	v_dot2_f32_f16 v7, v71, v75, v7
	;;#ASMEND
	;;#ASMSTART
	v_dot2_f32_f16 v7, v72, v76, v7
	;;#ASMEND
	ds_read_b128 v[69:72], v50 offset:64
	ds_read_b128 v[73:76], v51 offset:64
	s_waitcnt lgkmcnt(0)
	;;#ASMSTART
	v_dot2_f32_f16 v7, v69, v73, v7
	;;#ASMEND
	;;#ASMSTART
	v_dot2_f32_f16 v7, v70, v74, v7
	;;#ASMEND
	;;#ASMSTART
	v_dot2_f32_f16 v7, v71, v75, v7
	;;#ASMEND
	;;#ASMSTART
	v_dot2_f32_f16 v7, v72, v76, v7
	;;#ASMEND
	ds_read_b128 v[69:72], v50 offset:80
	ds_read_b128 v[73:76], v51 offset:80
	s_waitcnt lgkmcnt(0)
	;;#ASMSTART
	v_dot2_f32_f16 v7, v69, v73, v7
	;;#ASMEND
	;;#ASMSTART
	v_dot2_f32_f16 v7, v70, v74, v7
	;;#ASMEND
	;;#ASMSTART
	v_dot2_f32_f16 v7, v71, v75, v7
	;;#ASMEND
	;;#ASMSTART
	v_dot2_f32_f16 v7, v72, v76, v7
	;;#ASMEND
	ds_read_b128 v[69:72], v50 offset:96
	ds_read_b128 v[73:76], v51 offset:96
	s_waitcnt lgkmcnt(0)
	;;#ASMSTART
	v_dot2_f32_f16 v7, v69, v73, v7
	;;#ASMEND
	;;#ASMSTART
	v_dot2_f32_f16 v7, v70, v74, v7
	;;#ASMEND
	;;#ASMSTART
	v_dot2_f32_f16 v7, v71, v75, v7
	;;#ASMEND
	;;#ASMSTART
	v_dot2_f32_f16 v7, v72, v76, v7
	;;#ASMEND
	ds_read_b128 v[69:72], v50 offset:112
	ds_read_b128 v[73:76], v51 offset:112
	s_waitcnt lgkmcnt(0)
	;;#ASMSTART
	v_dot2_f32_f16 v7, v69, v73, v7
	;;#ASMEND
	;;#ASMSTART
	v_dot2_f32_f16 v7, v70, v74, v7
	;;#ASMEND
	;;#ASMSTART
	v_dot2_f32_f16 v7, v71, v75, v7
	;;#ASMEND
	;;#ASMSTART
	v_dot2_f32_f16 v7, v72, v76, v7
	;;#ASMEND
	s_barrier
	global_load_dwordx4 v[69:72], v[25:26], off offset:128
	s_waitcnt vmcnt(0)
	ds_write_b128 v46, v[69:72]
	global_load_dwordx4 v[69:72], v[27:28], off offset:128
	s_waitcnt vmcnt(0)
	ds_write_b128 v47, v[69:72]
	;; [unrolled: 3-line block ×4, first 2 shown]
	s_waitcnt lgkmcnt(0)
	s_barrier
	ds_read_b128 v[69:72], v50
	ds_read_b128 v[73:76], v51 offset:128
	s_waitcnt lgkmcnt(0)
	;;#ASMSTART
	v_dot2_f32_f16 v7, v69, v73, v7
	;;#ASMEND
	;;#ASMSTART
	v_dot2_f32_f16 v7, v70, v74, v7
	;;#ASMEND
	;;#ASMSTART
	v_dot2_f32_f16 v7, v71, v75, v7
	;;#ASMEND
	;;#ASMSTART
	v_dot2_f32_f16 v7, v72, v76, v7
	;;#ASMEND
	ds_read_b128 v[69:72], v50 offset:16
	ds_read_b128 v[73:76], v51 offset:144
	s_waitcnt lgkmcnt(0)
	;;#ASMSTART
	v_dot2_f32_f16 v7, v69, v73, v7
	;;#ASMEND
	;;#ASMSTART
	v_dot2_f32_f16 v7, v70, v74, v7
	;;#ASMEND
	;;#ASMSTART
	v_dot2_f32_f16 v7, v71, v75, v7
	;;#ASMEND
	;;#ASMSTART
	v_dot2_f32_f16 v7, v72, v76, v7
	;;#ASMEND
	ds_read_b128 v[69:72], v50 offset:32
	;; [unrolled: 15-line block ×7, first 2 shown]
	ds_read_b128 v[73:76], v51 offset:240
	s_waitcnt lgkmcnt(0)
	;;#ASMSTART
	v_dot2_f32_f16 v7, v69, v73, v7
	;;#ASMEND
	;;#ASMSTART
	v_dot2_f32_f16 v7, v70, v74, v7
	;;#ASMEND
	;; [unrolled: 3-line block ×4, first 2 shown]
	s_barrier
	global_load_dwordx4 v[69:72], v[25:26], off offset:256
	s_waitcnt vmcnt(0)
	ds_write_b128 v46, v[69:72]
	global_load_dwordx4 v[69:72], v[27:28], off offset:256
	s_waitcnt vmcnt(0)
	ds_write_b128 v47, v[69:72]
	;; [unrolled: 3-line block ×4, first 2 shown]
	s_waitcnt lgkmcnt(0)
	s_barrier
	ds_read_b128 v[69:72], v50
	ds_read_b128 v[73:76], v51 offset:256
	s_waitcnt lgkmcnt(0)
	;;#ASMSTART
	v_dot2_f32_f16 v7, v69, v73, v7
	;;#ASMEND
	;;#ASMSTART
	v_dot2_f32_f16 v7, v70, v74, v7
	;;#ASMEND
	;;#ASMSTART
	v_dot2_f32_f16 v7, v71, v75, v7
	;;#ASMEND
	;;#ASMSTART
	v_dot2_f32_f16 v7, v72, v76, v7
	;;#ASMEND
	ds_read_b128 v[69:72], v50 offset:16
	ds_read_b128 v[73:76], v51 offset:272
	s_waitcnt lgkmcnt(0)
	;;#ASMSTART
	v_dot2_f32_f16 v7, v69, v73, v7
	;;#ASMEND
	;;#ASMSTART
	v_dot2_f32_f16 v7, v70, v74, v7
	;;#ASMEND
	;;#ASMSTART
	v_dot2_f32_f16 v7, v71, v75, v7
	;;#ASMEND
	;;#ASMSTART
	v_dot2_f32_f16 v7, v72, v76, v7
	;;#ASMEND
	ds_read_b128 v[69:72], v50 offset:32
	ds_read_b128 v[73:76], v51 offset:288
	s_waitcnt lgkmcnt(0)
	;;#ASMSTART
	v_dot2_f32_f16 v7, v69, v73, v7
	;;#ASMEND
	;;#ASMSTART
	v_dot2_f32_f16 v7, v70, v74, v7
	;;#ASMEND
	;;#ASMSTART
	v_dot2_f32_f16 v7, v71, v75, v7
	;;#ASMEND
	;;#ASMSTART
	v_dot2_f32_f16 v7, v72, v76, v7
	;;#ASMEND
	ds_read_b128 v[69:72], v50 offset:48
	ds_read_b128 v[73:76], v51 offset:304
	s_waitcnt lgkmcnt(0)
	;;#ASMSTART
	v_dot2_f32_f16 v7, v69, v73, v7
	;;#ASMEND
	;;#ASMSTART
	v_dot2_f32_f16 v7, v70, v74, v7
	;;#ASMEND
	;;#ASMSTART
	v_dot2_f32_f16 v7, v71, v75, v7
	;;#ASMEND
	;;#ASMSTART
	v_dot2_f32_f16 v7, v72, v76, v7
	;;#ASMEND
	ds_read_b128 v[69:72], v50 offset:64
	ds_read_b128 v[73:76], v51 offset:320
	s_waitcnt lgkmcnt(0)
	;;#ASMSTART
	v_dot2_f32_f16 v7, v69, v73, v7
	;;#ASMEND
	;;#ASMSTART
	v_dot2_f32_f16 v7, v70, v74, v7
	;;#ASMEND
	;;#ASMSTART
	v_dot2_f32_f16 v7, v71, v75, v7
	;;#ASMEND
	;;#ASMSTART
	v_dot2_f32_f16 v7, v72, v76, v7
	;;#ASMEND
	ds_read_b128 v[69:72], v50 offset:80
	ds_read_b128 v[73:76], v51 offset:336
	s_waitcnt lgkmcnt(0)
	;;#ASMSTART
	v_dot2_f32_f16 v7, v69, v73, v7
	;;#ASMEND
	;;#ASMSTART
	v_dot2_f32_f16 v7, v70, v74, v7
	;;#ASMEND
	;;#ASMSTART
	v_dot2_f32_f16 v7, v71, v75, v7
	;;#ASMEND
	;;#ASMSTART
	v_dot2_f32_f16 v7, v72, v76, v7
	;;#ASMEND
	ds_read_b128 v[69:72], v50 offset:96
	ds_read_b128 v[73:76], v51 offset:352
	s_waitcnt lgkmcnt(0)
	;;#ASMSTART
	v_dot2_f32_f16 v7, v69, v73, v7
	;;#ASMEND
	;;#ASMSTART
	v_dot2_f32_f16 v7, v70, v74, v7
	;;#ASMEND
	;;#ASMSTART
	v_dot2_f32_f16 v7, v71, v75, v7
	;;#ASMEND
	;;#ASMSTART
	v_dot2_f32_f16 v7, v72, v76, v7
	;;#ASMEND
	ds_read_b128 v[69:72], v50 offset:112
	ds_read_b128 v[73:76], v51 offset:368
	s_waitcnt lgkmcnt(0)
	;;#ASMSTART
	v_dot2_f32_f16 v7, v69, v73, v7
	;;#ASMEND
	;;#ASMSTART
	v_dot2_f32_f16 v7, v70, v74, v7
	;;#ASMEND
	;; [unrolled: 3-line block ×4, first 2 shown]
	s_barrier
	global_load_dwordx4 v[69:72], v[25:26], off offset:384
	s_waitcnt vmcnt(0)
	ds_write_b128 v46, v[69:72]
	global_load_dwordx4 v[25:28], v[27:28], off offset:384
	s_waitcnt vmcnt(0)
	ds_write_b128 v47, v[25:28]
	;; [unrolled: 3-line block ×4, first 2 shown]
	s_waitcnt lgkmcnt(0)
	s_barrier
	ds_read_b128 v[25:28], v50
	ds_read_b128 v[29:32], v51 offset:384
	s_waitcnt lgkmcnt(0)
	;;#ASMSTART
	v_dot2_f32_f16 v7, v25, v29, v7
	;;#ASMEND
	;;#ASMSTART
	v_dot2_f32_f16 v7, v26, v30, v7
	;;#ASMEND
	;;#ASMSTART
	v_dot2_f32_f16 v7, v27, v31, v7
	;;#ASMEND
	;;#ASMSTART
	v_dot2_f32_f16 v7, v28, v32, v7
	;;#ASMEND
	ds_read_b128 v[25:28], v50 offset:16
	ds_read_b128 v[29:32], v51 offset:400
	s_waitcnt lgkmcnt(0)
	;;#ASMSTART
	v_dot2_f32_f16 v7, v25, v29, v7
	;;#ASMEND
	;;#ASMSTART
	v_dot2_f32_f16 v7, v26, v30, v7
	;;#ASMEND
	;;#ASMSTART
	v_dot2_f32_f16 v7, v27, v31, v7
	;;#ASMEND
	;;#ASMSTART
	v_dot2_f32_f16 v7, v28, v32, v7
	;;#ASMEND
	ds_read_b128 v[25:28], v50 offset:32
	;; [unrolled: 15-line block ×7, first 2 shown]
	ds_read_b128 v[29:32], v51 offset:496
	s_waitcnt lgkmcnt(0)
	;;#ASMSTART
	v_dot2_f32_f16 v7, v25, v29, v7
	;;#ASMEND
	;;#ASMSTART
	v_dot2_f32_f16 v7, v26, v30, v7
	;;#ASMEND
	;; [unrolled: 3-line block ×4, first 2 shown]
	v_cmp_nlt_f32_e64 s[14:15], |v7|, s39
                                        ; implicit-def: $vgpr26
	s_and_saveexec_b64 s[48:49], s[14:15]
	s_xor_b64 s[14:15], exec, s[48:49]
	s_cbranch_execnz .LBB74_14
; %bb.11:                               ;   in Loop: Header=BB74_10 Depth=1
	s_andn2_saveexec_b64 s[14:15], s[14:15]
	s_cbranch_execnz .LBB74_15
.LBB74_12:                              ;   in Loop: Header=BB74_10 Depth=1
	s_or_b64 exec, exec, s[14:15]
	s_andn2_b64 vcc, exec, s[10:11]
	s_cbranch_vccnz .LBB74_16
.LBB74_13:                              ;   in Loop: Header=BB74_10 Depth=1
	v_add_u32_e32 v27, s18, v8
	v_ashrrev_i32_e32 v28, 31, v27
	v_lshlrev_b64 v[27:28], 1, v[27:28]
	v_mov_b32_e32 v25, s41
	v_add_co_u32_e32 v27, vcc, s40, v27
	v_addc_co_u32_e32 v28, vcc, v25, v28, vcc
	global_load_ushort v25, v[27:28], off
	s_waitcnt vmcnt(0)
	v_cvt_f32_f16_e32 v25, v25
	v_mul_f32_e32 v25, v40, v25
	s_branch .LBB74_17
.LBB74_14:                              ;   in Loop: Header=BB74_10 Depth=1
	v_add_f32_e64 v25, |v7|, |v7|
	v_mul_f32_e32 v26, 0x3fb8aa3b, v25
	v_rndne_f32_e32 v27, v26
	v_sub_f32_e32 v28, v26, v27
	v_fma_f32 v26, v25, s43, -v26
	v_fmac_f32_e32 v26, 0x32a5705f, v25
	v_add_f32_e32 v26, v28, v26
	v_cvt_i32_f32_e32 v27, v27
	v_exp_f32_e32 v26, v26
	v_cmp_ngt_f32_e32 vcc, s44, v25
	v_ldexp_f32 v26, v26, v27
	v_cndmask_b32_e32 v26, 0, v26, vcc
	v_cmp_nlt_f32_e32 vcc, s45, v25
	v_cndmask_b32_e32 v25, v67, v26, vcc
	v_add_f32_e32 v25, 1.0, v25
	v_rcp_f32_e32 v25, v25
	v_fma_f32 v26, v25, -2.0, 1.0
	s_andn2_saveexec_b64 s[14:15], s[14:15]
	s_cbranch_execz .LBB74_12
.LBB74_15:                              ;   in Loop: Header=BB74_10 Depth=1
	v_mul_f32_e32 v25, v7, v7
	v_mov_b32_e32 v26, 0x3ca908c9
	v_fmac_f32_e32 v26, 0xbbbac73d, v25
	v_fma_f32 v26, v25, v26, v62
	v_fma_f32 v26, v25, v26, v63
	v_fma_f32 v26, v25, v26, v64
	v_mul_f32_e64 v26, |v7|, v26
	v_fma_f32 v26, v25, v26, |v7|
	s_or_b64 exec, exec, s[14:15]
	s_andn2_b64 vcc, exec, s[10:11]
	s_cbranch_vccz .LBB74_13
.LBB74_16:                              ;   in Loop: Header=BB74_10 Depth=1
	v_mov_b32_e32 v25, 0
.LBB74_17:                              ;   in Loop: Header=BB74_10 Depth=1
	v_bfi_b32 v7, s46, v26, v7
	v_and_b32_e32 v26, 0x60, v65
	v_add_u32_e32 v27, 32, v26
	v_xor_b32_e32 v26, 16, v65
	v_cmp_lt_i32_e32 vcc, v26, v27
	v_fmac_f32_e32 v25, s19, v7
	v_cndmask_b32_e32 v26, v65, v26, vcc
	v_add_f32_e32 v7, 0x40051340, v25
	v_max_f32_e32 v28, v68, v68
	v_lshlrev_b32_e32 v26, 2, v26
	v_max_f32_e32 v7, v28, v7
	ds_bpermute_b32 v26, v26, v7
	v_xor_b32_e32 v28, 8, v65
	v_cmp_lt_i32_e32 vcc, v28, v27
	v_cndmask_b32_e32 v28, v65, v28, vcc
	v_lshlrev_b32_e32 v28, 2, v28
	s_waitcnt lgkmcnt(0)
	v_max_f32_e32 v26, v26, v26
	v_max_f32_e32 v7, v7, v26
	ds_bpermute_b32 v26, v28, v7
	v_xor_b32_e32 v28, 4, v65
	v_cmp_lt_i32_e32 vcc, v28, v27
	v_cndmask_b32_e32 v28, v65, v28, vcc
	v_lshlrev_b32_e32 v28, 2, v28
	s_waitcnt lgkmcnt(0)
	v_max_f32_e32 v26, v26, v26
	;; [unrolled: 8-line block ×4, first 2 shown]
	v_max_f32_e32 v27, v28, v27
	ds_bpermute_b32 v28, v30, v27
	s_and_saveexec_b64 s[14:15], s[6:7]
	s_cbranch_execz .LBB74_19
; %bb.18:                               ;   in Loop: Header=BB74_10 Depth=1
	s_waitcnt lgkmcnt(0)
	v_max_f32_e32 v28, v28, v28
	v_max_f32_e32 v27, v27, v27
	;; [unrolled: 1-line block ×3, first 2 shown]
	ds_write_b32 v52, v27
.LBB74_19:                              ;   in Loop: Header=BB74_10 Depth=1
	s_or_b64 exec, exec, s[14:15]
	s_waitcnt lgkmcnt(0)
	s_barrier
	ds_read_b32 v27, v53
	v_and_b32_e32 v28, 0x7c, v65
	v_add_u32_e32 v28, 4, v28
	v_cmp_lt_i32_e32 vcc, v7, v28
	v_cndmask_b32_e32 v7, v65, v7, vcc
	v_lshlrev_b32_e32 v7, 2, v7
	s_waitcnt lgkmcnt(0)
	ds_bpermute_b32 v7, v7, v27
	v_cmp_lt_i32_e32 vcc, v26, v28
	v_max_f32_e32 v27, v27, v27
	v_cndmask_b32_e32 v26, v65, v26, vcc
	v_lshlrev_b32_e32 v26, 2, v26
	s_waitcnt lgkmcnt(0)
	v_max_f32_e32 v7, v7, v7
	v_max_f32_e32 v7, v27, v7
	ds_bpermute_b32 v26, v26, v7
	s_mul_hi_i32 s15, s18, s8
	s_mul_i32 s14, s18, s8
	s_lshl_b64 s[14:15], s[14:15], 2
	s_add_u32 s14, s16, s14
	s_waitcnt lgkmcnt(0)
	v_max_f32_e32 v26, v26, v26
	v_max_f32_e32 v7, v7, v26
	v_sub_f32_e32 v25, v25, v7
	v_mul_f32_e32 v26, 0x3fb8aa3b, v25
	v_fma_f32 v27, v25, s43, -v26
	v_rndne_f32_e32 v28, v26
	v_fmac_f32_e32 v27, 0x32a5705f, v25
	v_sub_f32_e32 v26, v26, v28
	v_add_f32_e32 v26, v26, v27
	v_exp_f32_e32 v26, v26
	v_cvt_i32_f32_e32 v27, v28
	v_cmp_ngt_f32_e32 vcc, s44, v25
	s_addc_u32 s15, s17, s15
	v_ldexp_f32 v26, v26, v27
	v_cndmask_b32_e32 v26, 0, v26, vcc
	v_cmp_nlt_f32_e32 vcc, s45, v25
	v_cndmask_b32_e32 v25, v67, v26, vcc
	v_sub_f32_e32 v26, v68, v7
	v_mul_f32_e32 v27, 0x3fb8aa3b, v26
	v_fma_f32 v28, v26, s43, -v27
	v_rndne_f32_e32 v29, v27
	v_fmac_f32_e32 v28, 0x32a5705f, v26
	v_sub_f32_e32 v27, v27, v29
	v_add_f32_e32 v27, v27, v28
	v_exp_f32_e32 v27, v27
	v_cvt_i32_f32_e32 v28, v29
	v_cmp_ngt_f32_e32 vcc, s44, v26
	v_ldexp_f32 v27, v27, v28
	v_cndmask_b32_e32 v27, 0, v27, vcc
	v_cmp_nlt_f32_e32 vcc, s45, v26
	v_cndmask_b32_e32 v26, v67, v27, vcc
	v_fma_f32 v38, v38, v26, v25
	v_cvt_f16_f32_e32 v26, v26
	v_mul_u32_u24_e32 v29, 0x10001, v26
	v_pk_mul_f16 v30, v4, v29
	v_cvt_f16_f32_e32 v4, v25
	v_pk_mul_f16 v31, v5, v29
	v_mov_b32_e32 v5, s15
	ds_write_b16 v54, v4
	v_add_co_u32_e32 v4, vcc, s14, v17
	v_addc_co_u32_e32 v5, vcc, v5, v18, vcc
	v_add_co_u32_e32 v4, vcc, v4, v66
	v_addc_co_u32_e32 v5, vcc, 0, v5, vcc
	global_load_dwordx4 v[25:28], v[4:5], off
	v_add_co_u32_e32 v4, vcc, s14, v19
	v_mov_b32_e32 v5, s15
	v_addc_co_u32_e32 v5, vcc, v5, v20, vcc
	v_add_co_u32_e32 v4, vcc, v4, v66
	v_addc_co_u32_e32 v5, vcc, 0, v5, vcc
	s_waitcnt vmcnt(0)
	ds_write_b128 v55, v[25:28]
	global_load_dwordx4 v[25:28], v[4:5], off
	v_add_co_u32_e32 v4, vcc, s14, v21
	v_mov_b32_e32 v5, s15
	v_addc_co_u32_e32 v5, vcc, v5, v22, vcc
	v_add_co_u32_e32 v4, vcc, v4, v66
	v_addc_co_u32_e32 v5, vcc, 0, v5, vcc
	s_waitcnt vmcnt(0)
	ds_write_b128 v56, v[25:28]
	global_load_dwordx4 v[25:28], v[4:5], off
	v_add_co_u32_e32 v4, vcc, s14, v23
	v_mov_b32_e32 v5, s15
	v_addc_co_u32_e32 v5, vcc, v5, v24, vcc
	v_add_co_u32_e32 v4, vcc, v4, v66
	v_addc_co_u32_e32 v5, vcc, 0, v5, vcc
	s_or_b32 s14, s18, 32
	s_mul_hi_i32 s15, s14, s8
	s_mul_i32 s14, s14, s8
	s_lshl_b64 s[14:15], s[14:15], 2
	s_add_u32 s14, s16, s14
	s_addc_u32 s15, s17, s15
	s_waitcnt vmcnt(0)
	ds_write_b128 v57, v[25:28]
	global_load_dwordx4 v[25:28], v[4:5], off
	s_waitcnt vmcnt(0)
	ds_write_b128 v58, v[25:28]
	s_waitcnt lgkmcnt(0)
	s_barrier
	ds_read2_b64 v[25:28], v60 offset1:32
	ds_read_u16 v4, v59
	ds_read_u16 v32, v59 offset:8
	ds_read_u16 v68, v59 offset:16
	;; [unrolled: 1-line block ×7, first 2 shown]
	s_waitcnt lgkmcnt(7)
	v_mul_u32_u24_e32 v4, 0x10001, v4
	v_pk_mul_f16 v5, v25, v4
	v_pk_fma_f16 v25, v2, v29, v5
	v_pk_mul_f16 v2, v26, v4
	v_add_u32_e32 v26, 0x800, v60
	v_pk_fma_f16 v29, v3, v29, v2
	v_pk_fma_f16 v27, v27, v4, v30
	;; [unrolled: 1-line block ×3, first 2 shown]
	ds_read2_b64 v[2:5], v26 offset1:32
	s_waitcnt lgkmcnt(7)
	v_mul_u32_u24_e32 v30, 0x10001, v32
	s_waitcnt lgkmcnt(6)
	v_mul_u32_u24_e32 v31, 0x10001, v68
	s_waitcnt lgkmcnt(0)
	v_pk_fma_f16 v25, v2, v30, v25
	v_add_u32_e32 v2, 0x1000, v60
	v_pk_fma_f16 v3, v3, v30, v29
	v_pk_fma_f16 v4, v4, v30, v27
	;; [unrolled: 1-line block ×3, first 2 shown]
	ds_read2_b64 v[27:30], v2 offset1:32
	s_waitcnt lgkmcnt(0)
	v_pk_fma_f16 v32, v28, v31, v3
	v_add_u32_e32 v3, 0x1800, v60
	v_pk_fma_f16 v25, v27, v31, v25
	v_pk_fma_f16 v4, v29, v31, v4
	;; [unrolled: 1-line block ×3, first 2 shown]
	ds_read2_b64 v[27:30], v3 offset1:32
	v_mul_u32_u24_e32 v31, 0x10001, v69
	v_mul_u32_u24_e32 v69, 0x10001, v71
	;; [unrolled: 1-line block ×3, first 2 shown]
	s_waitcnt lgkmcnt(0)
	v_pk_fma_f16 v68, v29, v31, v4
	v_add_u32_e32 v4, 0x2000, v60
	v_pk_fma_f16 v25, v27, v31, v25
	v_pk_fma_f16 v32, v28, v31, v32
	;; [unrolled: 1-line block ×3, first 2 shown]
	ds_read2_b64 v[27:30], v4 offset1:32
	v_mul_u32_u24_e32 v31, 0x10001, v70
	s_waitcnt lgkmcnt(0)
	v_pk_fma_f16 v25, v27, v31, v25
	v_pk_fma_f16 v32, v28, v31, v32
	;; [unrolled: 1-line block ×4, first 2 shown]
	v_add_u32_e32 v5, 0x2800, v60
	ds_read2_b64 v[27:30], v5 offset1:32
	s_waitcnt lgkmcnt(0)
	v_pk_fma_f16 v70, v27, v69, v25
	v_add_u32_e32 v25, 0x3000, v60
	v_pk_fma_f16 v32, v28, v69, v32
	v_pk_fma_f16 v68, v29, v69, v68
	;; [unrolled: 1-line block ×3, first 2 shown]
	ds_read2_b64 v[27:30], v25 offset1:32
	v_mul_u32_u24_e32 v69, 0x10001, v72
	s_waitcnt lgkmcnt(0)
	v_pk_fma_f16 v70, v27, v69, v70
	v_add_u32_e32 v27, 0x3800, v60
	v_pk_fma_f16 v32, v28, v69, v32
	v_pk_fma_f16 v68, v29, v69, v68
	;; [unrolled: 1-line block ×3, first 2 shown]
	ds_read2_b64 v[28:31], v27 offset1:32
	s_waitcnt lgkmcnt(0)
	s_barrier
	v_pk_fma_f16 v70, v28, v71, v70
	v_pk_fma_f16 v32, v29, v71, v32
	v_add_co_u32_e32 v28, vcc, s14, v17
	v_mov_b32_e32 v29, s15
	v_addc_co_u32_e32 v29, vcc, v29, v18, vcc
	v_add_co_u32_e32 v28, vcc, v28, v66
	v_addc_co_u32_e32 v29, vcc, 0, v29, vcc
	v_pk_fma_f16 v68, v30, v71, v68
	v_pk_fma_f16 v69, v31, v71, v69
	global_load_dwordx4 v[28:31], v[28:29], off
	s_waitcnt vmcnt(0)
	ds_write_b128 v55, v[28:31]
	v_add_co_u32_e32 v28, vcc, s14, v19
	v_mov_b32_e32 v29, s15
	v_addc_co_u32_e32 v29, vcc, v29, v20, vcc
	v_add_co_u32_e32 v28, vcc, v28, v66
	v_addc_co_u32_e32 v29, vcc, 0, v29, vcc
	global_load_dwordx4 v[28:31], v[28:29], off
	s_waitcnt vmcnt(0)
	ds_write_b128 v56, v[28:31]
	v_add_co_u32_e32 v28, vcc, s14, v21
	v_mov_b32_e32 v29, s15
	v_addc_co_u32_e32 v29, vcc, v29, v22, vcc
	v_add_co_u32_e32 v28, vcc, v28, v66
	v_addc_co_u32_e32 v29, vcc, 0, v29, vcc
	;; [unrolled: 8-line block ×3, first 2 shown]
	global_load_dwordx4 v[28:31], v[28:29], off
	s_or_b32 s14, s18, 64
	s_mul_hi_i32 s15, s14, s8
	s_mul_i32 s14, s14, s8
	s_lshl_b64 s[14:15], s[14:15], 2
	s_add_u32 s14, s16, s14
	s_addc_u32 s15, s17, s15
	s_waitcnt vmcnt(0)
	ds_write_b128 v58, v[28:31]
	s_waitcnt lgkmcnt(0)
	s_barrier
	ds_read2_b64 v[28:31], v60 offset1:32
	ds_read_u16 v71, v59 offset:64
	ds_read_u16 v72, v59 offset:72
	;; [unrolled: 1-line block ×8, first 2 shown]
	s_waitcnt lgkmcnt(7)
	v_mul_u32_u24_e32 v71, 0x10001, v71
	v_pk_fma_f16 v70, v28, v71, v70
	v_pk_fma_f16 v32, v29, v71, v32
	;; [unrolled: 1-line block ×4, first 2 shown]
	ds_read2_b64 v[28:31], v26 offset1:32
	s_waitcnt lgkmcnt(7)
	v_mul_u32_u24_e32 v71, 0x10001, v72
	s_waitcnt lgkmcnt(0)
	v_pk_fma_f16 v70, v28, v71, v70
	v_pk_fma_f16 v32, v29, v71, v32
	v_pk_fma_f16 v68, v30, v71, v68
	v_pk_fma_f16 v69, v31, v71, v69
	ds_read2_b64 v[28:31], v2 offset1:32
	v_mul_u32_u24_e32 v71, 0x10001, v73
	s_waitcnt lgkmcnt(0)
	v_pk_fma_f16 v70, v28, v71, v70
	v_pk_fma_f16 v32, v29, v71, v32
	v_pk_fma_f16 v68, v30, v71, v68
	v_pk_fma_f16 v69, v31, v71, v69
	ds_read2_b64 v[28:31], v3 offset1:32
	v_mul_u32_u24_e32 v71, 0x10001, v74
	s_waitcnt lgkmcnt(0)
	v_pk_fma_f16 v70, v28, v71, v70
	v_pk_fma_f16 v32, v29, v71, v32
	v_pk_fma_f16 v68, v30, v71, v68
	v_pk_fma_f16 v69, v31, v71, v69
	ds_read2_b64 v[28:31], v4 offset1:32
	v_mul_u32_u24_e32 v71, 0x10001, v75
	s_waitcnt lgkmcnt(0)
	v_pk_fma_f16 v70, v28, v71, v70
	v_pk_fma_f16 v32, v29, v71, v32
	v_pk_fma_f16 v68, v30, v71, v68
	v_pk_fma_f16 v69, v31, v71, v69
	ds_read2_b64 v[28:31], v5 offset1:32
	v_mul_u32_u24_e32 v71, 0x10001, v76
	s_waitcnt lgkmcnt(0)
	v_pk_fma_f16 v70, v28, v71, v70
	v_pk_fma_f16 v32, v29, v71, v32
	v_pk_fma_f16 v68, v30, v71, v68
	v_pk_fma_f16 v69, v31, v71, v69
	ds_read2_b64 v[28:31], v25 offset1:32
	v_mul_u32_u24_e32 v71, 0x10001, v77
	s_waitcnt lgkmcnt(0)
	v_pk_fma_f16 v70, v28, v71, v70
	v_pk_fma_f16 v32, v29, v71, v32
	v_pk_fma_f16 v68, v30, v71, v68
	v_pk_fma_f16 v69, v31, v71, v69
	ds_read2_b64 v[28:31], v27 offset1:32
	v_mul_u32_u24_e32 v71, 0x10001, v78
	s_waitcnt lgkmcnt(0)
	s_barrier
	v_pk_fma_f16 v70, v28, v71, v70
	v_pk_fma_f16 v32, v29, v71, v32
	v_add_co_u32_e32 v28, vcc, s14, v17
	v_mov_b32_e32 v29, s15
	v_addc_co_u32_e32 v29, vcc, v29, v18, vcc
	v_add_co_u32_e32 v28, vcc, v28, v66
	v_addc_co_u32_e32 v29, vcc, 0, v29, vcc
	v_pk_fma_f16 v68, v30, v71, v68
	v_pk_fma_f16 v69, v31, v71, v69
	global_load_dwordx4 v[28:31], v[28:29], off
	s_waitcnt vmcnt(0)
	ds_write_b128 v55, v[28:31]
	v_add_co_u32_e32 v28, vcc, s14, v19
	v_mov_b32_e32 v29, s15
	v_addc_co_u32_e32 v29, vcc, v29, v20, vcc
	v_add_co_u32_e32 v28, vcc, v28, v66
	v_addc_co_u32_e32 v29, vcc, 0, v29, vcc
	global_load_dwordx4 v[28:31], v[28:29], off
	s_waitcnt vmcnt(0)
	ds_write_b128 v56, v[28:31]
	v_add_co_u32_e32 v28, vcc, s14, v21
	v_mov_b32_e32 v29, s15
	v_addc_co_u32_e32 v29, vcc, v29, v22, vcc
	v_add_co_u32_e32 v28, vcc, v28, v66
	v_addc_co_u32_e32 v29, vcc, 0, v29, vcc
	;; [unrolled: 8-line block ×3, first 2 shown]
	global_load_dwordx4 v[28:31], v[28:29], off
	s_or_b32 s14, s18, 0x60
	s_mul_hi_i32 s15, s14, s8
	s_mul_i32 s14, s14, s8
	s_lshl_b64 s[14:15], s[14:15], 2
	s_add_u32 s14, s16, s14
	s_addc_u32 s15, s17, s15
	s_waitcnt vmcnt(0)
	ds_write_b128 v58, v[28:31]
	s_waitcnt lgkmcnt(0)
	s_barrier
	ds_read2_b64 v[28:31], v60 offset1:32
	ds_read_u16 v71, v59 offset:128
	ds_read_u16 v72, v59 offset:136
	;; [unrolled: 1-line block ×8, first 2 shown]
	s_waitcnt lgkmcnt(7)
	v_mul_u32_u24_e32 v71, 0x10001, v71
	v_pk_fma_f16 v70, v28, v71, v70
	v_pk_fma_f16 v32, v29, v71, v32
	v_pk_fma_f16 v68, v30, v71, v68
	v_pk_fma_f16 v69, v31, v71, v69
	ds_read2_b64 v[28:31], v26 offset1:32
	s_waitcnt lgkmcnt(7)
	v_mul_u32_u24_e32 v71, 0x10001, v72
	s_waitcnt lgkmcnt(0)
	v_pk_fma_f16 v70, v28, v71, v70
	v_pk_fma_f16 v32, v29, v71, v32
	v_pk_fma_f16 v68, v30, v71, v68
	v_pk_fma_f16 v69, v31, v71, v69
	ds_read2_b64 v[28:31], v2 offset1:32
	v_mul_u32_u24_e32 v71, 0x10001, v73
	s_waitcnt lgkmcnt(0)
	v_pk_fma_f16 v70, v28, v71, v70
	v_pk_fma_f16 v32, v29, v71, v32
	v_pk_fma_f16 v68, v30, v71, v68
	v_pk_fma_f16 v69, v31, v71, v69
	ds_read2_b64 v[28:31], v3 offset1:32
	;; [unrolled: 7-line block ×6, first 2 shown]
	v_mul_u32_u24_e32 v71, 0x10001, v78
	s_waitcnt lgkmcnt(0)
	s_barrier
	v_pk_fma_f16 v70, v28, v71, v70
	v_pk_fma_f16 v32, v29, v71, v32
	v_add_co_u32_e32 v28, vcc, s14, v17
	v_mov_b32_e32 v29, s15
	v_addc_co_u32_e32 v29, vcc, v29, v18, vcc
	v_add_co_u32_e32 v28, vcc, v28, v66
	v_addc_co_u32_e32 v29, vcc, 0, v29, vcc
	v_pk_fma_f16 v68, v30, v71, v68
	v_pk_fma_f16 v69, v31, v71, v69
	global_load_dwordx4 v[28:31], v[28:29], off
	s_waitcnt vmcnt(0)
	ds_write_b128 v55, v[28:31]
	v_add_co_u32_e32 v28, vcc, s14, v19
	v_mov_b32_e32 v29, s15
	v_addc_co_u32_e32 v29, vcc, v29, v20, vcc
	v_add_co_u32_e32 v28, vcc, v28, v66
	v_addc_co_u32_e32 v29, vcc, 0, v29, vcc
	global_load_dwordx4 v[28:31], v[28:29], off
	s_waitcnt vmcnt(0)
	ds_write_b128 v56, v[28:31]
	v_add_co_u32_e32 v28, vcc, s14, v21
	v_mov_b32_e32 v29, s15
	v_addc_co_u32_e32 v29, vcc, v29, v22, vcc
	v_add_co_u32_e32 v28, vcc, v28, v66
	v_addc_co_u32_e32 v29, vcc, 0, v29, vcc
	;; [unrolled: 8-line block ×3, first 2 shown]
	global_load_dwordx4 v[28:31], v[28:29], off
	s_waitcnt vmcnt(0)
	ds_write_b128 v58, v[28:31]
	s_waitcnt lgkmcnt(0)
	s_barrier
	ds_read2_b64 v[28:31], v60 offset1:32
	ds_read_u16 v71, v59 offset:192
	ds_read_u16 v72, v59 offset:200
	;; [unrolled: 1-line block ×8, first 2 shown]
	s_waitcnt lgkmcnt(7)
	v_mul_u32_u24_e32 v71, 0x10001, v71
	v_pk_fma_f16 v70, v28, v71, v70
	v_pk_fma_f16 v32, v29, v71, v32
	;; [unrolled: 1-line block ×4, first 2 shown]
	ds_read2_b64 v[28:31], v26 offset1:32
	s_waitcnt lgkmcnt(7)
	v_mul_u32_u24_e32 v26, 0x10001, v72
	s_waitcnt lgkmcnt(0)
	v_pk_fma_f16 v70, v28, v26, v70
	v_pk_fma_f16 v32, v29, v26, v32
	v_pk_fma_f16 v68, v30, v26, v68
	v_pk_fma_f16 v26, v31, v26, v69
	ds_read2_b64 v[28:31], v2 offset1:32
	v_mul_u32_u24_e32 v2, 0x10001, v73
	s_waitcnt lgkmcnt(0)
	v_pk_fma_f16 v69, v28, v2, v70
	v_pk_fma_f16 v32, v29, v2, v32
	v_pk_fma_f16 v68, v30, v2, v68
	v_pk_fma_f16 v2, v31, v2, v26
	ds_read2_b64 v[28:31], v3 offset1:32
	v_mul_u32_u24_e32 v3, 0x10001, v74
	s_waitcnt lgkmcnt(0)
	v_pk_fma_f16 v26, v28, v3, v69
	v_pk_fma_f16 v32, v29, v3, v32
	v_pk_fma_f16 v68, v30, v3, v68
	v_pk_fma_f16 v2, v31, v3, v2
	ds_read2_b64 v[28:31], v4 offset1:32
	v_mul_u32_u24_e32 v3, 0x10001, v75
	s_waitcnt lgkmcnt(0)
	v_pk_fma_f16 v26, v28, v3, v26
	v_pk_fma_f16 v28, v29, v3, v32
	v_pk_fma_f16 v29, v30, v3, v68
	v_pk_fma_f16 v30, v31, v3, v2
	ds_read2_b64 v[2:5], v5 offset1:32
	v_mul_u32_u24_e32 v31, 0x10001, v76
	s_waitcnt lgkmcnt(0)
	v_pk_fma_f16 v26, v2, v31, v26
	v_pk_fma_f16 v28, v3, v31, v28
	v_pk_fma_f16 v29, v4, v31, v29
	v_pk_fma_f16 v30, v5, v31, v30
	ds_read2_b64 v[2:5], v25 offset1:32
	v_mul_u32_u24_e32 v25, 0x10001, v77
	s_waitcnt lgkmcnt(0)
	v_pk_fma_f16 v26, v2, v25, v26
	v_pk_fma_f16 v28, v3, v25, v28
	v_pk_fma_f16 v29, v4, v25, v29
	v_pk_fma_f16 v25, v5, v25, v30
	ds_read2_b64 v[2:5], v27 offset1:32
	s_waitcnt lgkmcnt(0)
	s_barrier
	s_load_dword s14, s[12:13], 0x4
	v_mul_u32_u24_e32 v27, 0x10001, v78
	v_pk_fma_f16 v2, v2, v27, v26
	v_pk_fma_f16 v3, v3, v27, v28
	;; [unrolled: 1-line block ×3, first 2 shown]
	s_waitcnt lgkmcnt(0)
	s_lshl_b32 s14, s14, 7
	s_add_i32 s18, s14, s18
	v_pk_fma_f16 v5, v5, v27, v25
	s_cmp_lt_i32 s18, s23
	s_cbranch_scc0 .LBB74_22
; %bb.20:                               ;   in Loop: Header=BB74_10 Depth=1
	v_mov_b32_e32 v68, v7
	s_branch .LBB74_10
.LBB74_21:
	v_mov_b32_e32 v5, 0
	v_mov_b32_e32 v38, 0
	;; [unrolled: 1-line block ×6, first 2 shown]
.LBB74_22:
	s_cmp_gt_i32 s42, s18
	s_cbranch_scc1 .LBB74_25
; %bb.23:
	v_mbcnt_hi_u32_b32 v12, -1, v42
	v_and_b32_e32 v8, 0x60, v12
	v_add_u32_e32 v13, 32, v8
	v_xor_b32_e32 v14, 16, v12
	v_xor_b32_e32 v15, 8, v12
	;; [unrolled: 1-line block ×5, first 2 shown]
	v_and_b32_e32 v8, 3, v1
	s_cbranch_execz .LBB74_26
; %bb.24:
	v_mov_b32_e32 v36, v8
	s_branch .LBB74_38
.LBB74_25:
                                        ; implicit-def: $vgpr12
                                        ; implicit-def: $vgpr13
                                        ; implicit-def: $vgpr14
                                        ; implicit-def: $vgpr15
                                        ; implicit-def: $vgpr16
                                        ; implicit-def: $vgpr17
                                        ; implicit-def: $vgpr18
                                        ; implicit-def: $vgpr8
.LBB74_26:
	v_lshl_add_u32 v26, v1, 2, v45
	v_mul_lo_u32 v12, s36, v26
	s_mul_hi_i32 s11, s18, s36
	s_mul_i32 s10, s18, s36
	s_sub_i32 s23, s42, s18
	s_lshl_b64 s[10:11], s[10:11], 2
	v_ashrrev_i32_e32 v13, 31, v12
	s_add_u32 s14, s37, s10
	v_lshlrev_b64 v[8:9], 2, v[12:13]
	s_addc_u32 s15, s38, s11
	v_mov_b32_e32 v10, s15
	v_add_co_u32_e32 v8, vcc, s14, v8
	v_lshlrev_b32_e32 v27, 2, v44
	v_addc_co_u32_e32 v9, vcc, v10, v9, vcc
	v_add_co_u32_e32 v18, vcc, v8, v27
	s_mov_b64 s[6:7], src_private_base
	v_addc_co_u32_e32 v19, vcc, 0, v9, vcc
	v_mov_b32_e32 v14, 0
	v_mov_b32_e32 v16, s7
	v_cmp_gt_i32_e32 vcc, s23, v26
	v_mov_b32_e32 v17, 0
	buffer_store_dword v14, off, s[0:3], 0
	buffer_store_dword v14, off, s[0:3], 0 offset:4
	buffer_store_dword v14, off, s[0:3], 0 offset:8
	;; [unrolled: 1-line block ×3, first 2 shown]
	v_cndmask_b32_e32 v9, v16, v19, vcc
	v_cndmask_b32_e32 v8, v17, v18, vcc
	flat_load_dwordx4 v[8:11], v[8:9]
	s_lshl_b32 s36, s36, 5
	v_add_u32_e32 v12, s36, v12
	v_ashrrev_i32_e32 v13, 31, v12
	v_lshlrev_b64 v[20:21], 2, v[12:13]
	s_movk_i32 s6, 0x90
	v_mad_u32_u24 v15, v26, s6, v27
	v_mov_b32_e32 v23, s15
	v_add_co_u32_e64 v13, s[6:7], s14, v20
	v_addc_co_u32_e64 v21, s[6:7], v23, v21, s[6:7]
	v_add_co_u32_e64 v20, s[6:7], v13, v27
	v_add_u32_e32 v22, 32, v26
	v_addc_co_u32_e64 v21, s[6:7], 0, v21, s[6:7]
	v_cmp_gt_i32_e64 s[6:7], s23, v22
	buffer_store_dword v14, off, s[0:3], 0
	buffer_store_dword v14, off, s[0:3], 0 offset:4
	buffer_store_dword v14, off, s[0:3], 0 offset:8
	;; [unrolled: 1-line block ×3, first 2 shown]
	v_cndmask_b32_e64 v23, v16, v21, s[6:7]
	v_cndmask_b32_e64 v22, v17, v20, s[6:7]
	v_add_u32_e32 v12, s36, v12
	v_ashrrev_i32_e32 v13, 31, v12
	v_mov_b32_e32 v25, s15
	v_add_u32_e32 v24, 64, v26
	v_cmp_gt_i32_e64 s[12:13], s23, v24
	v_add_u32_e32 v26, 0x60, v26
	s_waitcnt vmcnt(0) lgkmcnt(0)
	ds_write_b128 v15, v[8:11]
	flat_load_dwordx4 v[8:11], v[22:23]
	v_lshlrev_b64 v[22:23], 2, v[12:13]
	buffer_store_dword v14, off, s[0:3], 0
	buffer_store_dword v14, off, s[0:3], 0 offset:4
	buffer_store_dword v14, off, s[0:3], 0 offset:8
	;; [unrolled: 1-line block ×3, first 2 shown]
	v_add_co_u32_e64 v13, s[10:11], s14, v22
	v_addc_co_u32_e64 v23, s[10:11], v25, v23, s[10:11]
	v_add_co_u32_e64 v22, s[10:11], v13, v27
	v_addc_co_u32_e64 v23, s[10:11], 0, v23, s[10:11]
	v_cndmask_b32_e64 v25, v16, v23, s[12:13]
	v_cndmask_b32_e64 v24, v17, v22, s[12:13]
	v_add_u32_e32 v12, s36, v12
	v_ashrrev_i32_e32 v13, 31, v12
	v_lshlrev_b64 v[12:13], 2, v[12:13]
	s_movk_i32 s36, 0x80
	v_add_co_u32_e64 v12, s[10:11], s14, v12
	s_waitcnt vmcnt(0) lgkmcnt(0)
	ds_write_b128 v15, v[8:11] offset:4608
	flat_load_dwordx4 v[8:11], v[24:25]
	v_mov_b32_e32 v24, s15
	v_addc_co_u32_e64 v13, s[10:11], v24, v13, s[10:11]
	v_add_co_u32_e64 v24, s[10:11], v12, v27
	v_addc_co_u32_e64 v25, s[10:11], 0, v13, s[10:11]
	v_cmp_gt_i32_e64 s[10:11], s23, v26
	v_cndmask_b32_e64 v13, v16, v25, s[10:11]
	v_cndmask_b32_e64 v12, v17, v24, s[10:11]
	buffer_store_dword v14, off, s[0:3], 0
	buffer_store_dword v14, off, s[0:3], 0 offset:4
	buffer_store_dword v14, off, s[0:3], 0 offset:8
	;; [unrolled: 1-line block ×3, first 2 shown]
	v_add_co_u32_e64 v30, s[14:15], s36, v18
	v_addc_co_u32_e64 v31, s[14:15], 0, v19, s[14:15]
	v_cndmask_b32_e32 v31, v16, v31, vcc
	v_cndmask_b32_e32 v30, v17, v30, vcc
	s_waitcnt vmcnt(0) lgkmcnt(0)
	ds_write_b128 v15, v[8:11] offset:9216
	flat_load_dwordx4 v[26:29], v[12:13]
	v_and_b32_e32 v8, 0x60, v43
	v_add_u32_e32 v10, v8, v0
	v_and_b32_e32 v9, 0x1f80, v43
	v_mul_u32_u24_e32 v13, 0x90, v10
	v_lshlrev_b32_e32 v12, 2, v9
	v_mov_b32_e32 v11, 0
	s_waitcnt vmcnt(0) lgkmcnt(0)
	ds_write_b128 v15, v[26:29] offset:13824
	s_waitcnt lgkmcnt(0)
	s_barrier
	ds_read_b128 v[26:29], v13
	ds_read_b128 v[43:46], v12 offset:18432
	s_waitcnt lgkmcnt(0)
	;;#ASMSTART
	v_dot2_f32_f16 v11, v26, v43, v11
	;;#ASMEND
	;;#ASMSTART
	v_dot2_f32_f16 v11, v27, v44, v11
	;;#ASMEND
	;;#ASMSTART
	v_dot2_f32_f16 v11, v28, v45, v11
	;;#ASMEND
	;;#ASMSTART
	v_dot2_f32_f16 v11, v29, v46, v11
	;;#ASMEND
	ds_read_b128 v[26:29], v13 offset:16
	ds_read_b128 v[43:46], v12 offset:18448
	s_waitcnt lgkmcnt(0)
	;;#ASMSTART
	v_dot2_f32_f16 v11, v26, v43, v11
	;;#ASMEND
	;;#ASMSTART
	v_dot2_f32_f16 v11, v27, v44, v11
	;;#ASMEND
	;;#ASMSTART
	v_dot2_f32_f16 v11, v28, v45, v11
	;;#ASMEND
	;;#ASMSTART
	v_dot2_f32_f16 v11, v29, v46, v11
	;;#ASMEND
	ds_read_b128 v[26:29], v13 offset:32
	;; [unrolled: 15-line block ×7, first 2 shown]
	ds_read_b128 v[43:46], v12 offset:18544
	s_waitcnt lgkmcnt(0)
	;;#ASMSTART
	v_dot2_f32_f16 v11, v26, v43, v11
	;;#ASMEND
	;;#ASMSTART
	v_dot2_f32_f16 v11, v27, v44, v11
	;;#ASMEND
	;; [unrolled: 3-line block ×4, first 2 shown]
	s_barrier
	buffer_store_dword v14, off, s[0:3], 0
	buffer_store_dword v14, off, s[0:3], 0 offset:4
	buffer_store_dword v14, off, s[0:3], 0 offset:8
	buffer_store_dword v14, off, s[0:3], 0 offset:12
	flat_load_dwordx4 v[26:29], v[30:31]
	v_add_co_u32_e64 v30, s[14:15], s36, v20
	v_addc_co_u32_e64 v31, s[14:15], 0, v21, s[14:15]
	v_cndmask_b32_e64 v31, v16, v31, s[6:7]
	v_cndmask_b32_e64 v30, v17, v30, s[6:7]
	buffer_store_dword v14, off, s[0:3], 0
	buffer_store_dword v14, off, s[0:3], 0 offset:4
	buffer_store_dword v14, off, s[0:3], 0 offset:8
	;; [unrolled: 1-line block ×3, first 2 shown]
	s_waitcnt vmcnt(0) lgkmcnt(0)
	ds_write_b128 v15, v[26:29]
	flat_load_dwordx4 v[26:29], v[30:31]
	v_add_co_u32_e64 v30, s[14:15], s36, v22
	v_addc_co_u32_e64 v31, s[14:15], 0, v23, s[14:15]
	v_cndmask_b32_e64 v31, v16, v31, s[12:13]
	v_cndmask_b32_e64 v30, v17, v30, s[12:13]
	buffer_store_dword v14, off, s[0:3], 0
	buffer_store_dword v14, off, s[0:3], 0 offset:4
	buffer_store_dword v14, off, s[0:3], 0 offset:8
	;; [unrolled: 1-line block ×3, first 2 shown]
	s_waitcnt vmcnt(0) lgkmcnt(0)
	ds_write_b128 v15, v[26:29] offset:4608
	flat_load_dwordx4 v[26:29], v[30:31]
	v_add_co_u32_e64 v30, s[14:15], s36, v24
	v_addc_co_u32_e64 v31, s[14:15], 0, v25, s[14:15]
	v_cndmask_b32_e64 v31, v16, v31, s[10:11]
	v_cndmask_b32_e64 v30, v17, v30, s[10:11]
	buffer_store_dword v14, off, s[0:3], 0
	buffer_store_dword v14, off, s[0:3], 0 offset:4
	buffer_store_dword v14, off, s[0:3], 0 offset:8
	;; [unrolled: 1-line block ×3, first 2 shown]
	s_movk_i32 s36, 0x100
	s_waitcnt vmcnt(0) lgkmcnt(0)
	ds_write_b128 v15, v[26:29] offset:9216
	flat_load_dwordx4 v[26:29], v[30:31]
	v_add_co_u32_e64 v30, s[14:15], s36, v18
	v_addc_co_u32_e64 v31, s[14:15], 0, v19, s[14:15]
	v_cndmask_b32_e32 v31, v16, v31, vcc
	v_cndmask_b32_e32 v30, v17, v30, vcc
	s_waitcnt vmcnt(0) lgkmcnt(0)
	ds_write_b128 v15, v[26:29] offset:13824
	s_waitcnt lgkmcnt(0)
	s_barrier
	ds_read_b128 v[26:29], v13
	ds_read_b128 v[43:46], v12 offset:18560
	s_waitcnt lgkmcnt(0)
	;;#ASMSTART
	v_dot2_f32_f16 v11, v26, v43, v11
	;;#ASMEND
	;;#ASMSTART
	v_dot2_f32_f16 v11, v27, v44, v11
	;;#ASMEND
	;;#ASMSTART
	v_dot2_f32_f16 v11, v28, v45, v11
	;;#ASMEND
	;;#ASMSTART
	v_dot2_f32_f16 v11, v29, v46, v11
	;;#ASMEND
	ds_read_b128 v[26:29], v13 offset:16
	ds_read_b128 v[43:46], v12 offset:18576
	s_waitcnt lgkmcnt(0)
	;;#ASMSTART
	v_dot2_f32_f16 v11, v26, v43, v11
	;;#ASMEND
	;;#ASMSTART
	v_dot2_f32_f16 v11, v27, v44, v11
	;;#ASMEND
	;;#ASMSTART
	v_dot2_f32_f16 v11, v28, v45, v11
	;;#ASMEND
	;;#ASMSTART
	v_dot2_f32_f16 v11, v29, v46, v11
	;;#ASMEND
	ds_read_b128 v[26:29], v13 offset:32
	ds_read_b128 v[43:46], v12 offset:18592
	s_waitcnt lgkmcnt(0)
	;;#ASMSTART
	v_dot2_f32_f16 v11, v26, v43, v11
	;;#ASMEND
	;;#ASMSTART
	v_dot2_f32_f16 v11, v27, v44, v11
	;;#ASMEND
	;;#ASMSTART
	v_dot2_f32_f16 v11, v28, v45, v11
	;;#ASMEND
	;;#ASMSTART
	v_dot2_f32_f16 v11, v29, v46, v11
	;;#ASMEND
	ds_read_b128 v[26:29], v13 offset:48
	ds_read_b128 v[43:46], v12 offset:18608
	s_waitcnt lgkmcnt(0)
	;;#ASMSTART
	v_dot2_f32_f16 v11, v26, v43, v11
	;;#ASMEND
	;;#ASMSTART
	v_dot2_f32_f16 v11, v27, v44, v11
	;;#ASMEND
	;;#ASMSTART
	v_dot2_f32_f16 v11, v28, v45, v11
	;;#ASMEND
	;;#ASMSTART
	v_dot2_f32_f16 v11, v29, v46, v11
	;;#ASMEND
	ds_read_b128 v[26:29], v13 offset:64
	ds_read_b128 v[43:46], v12 offset:18624
	s_waitcnt lgkmcnt(0)
	;;#ASMSTART
	v_dot2_f32_f16 v11, v26, v43, v11
	;;#ASMEND
	;;#ASMSTART
	v_dot2_f32_f16 v11, v27, v44, v11
	;;#ASMEND
	;;#ASMSTART
	v_dot2_f32_f16 v11, v28, v45, v11
	;;#ASMEND
	;;#ASMSTART
	v_dot2_f32_f16 v11, v29, v46, v11
	;;#ASMEND
	ds_read_b128 v[26:29], v13 offset:80
	ds_read_b128 v[43:46], v12 offset:18640
	s_waitcnt lgkmcnt(0)
	;;#ASMSTART
	v_dot2_f32_f16 v11, v26, v43, v11
	;;#ASMEND
	;;#ASMSTART
	v_dot2_f32_f16 v11, v27, v44, v11
	;;#ASMEND
	;;#ASMSTART
	v_dot2_f32_f16 v11, v28, v45, v11
	;;#ASMEND
	;;#ASMSTART
	v_dot2_f32_f16 v11, v29, v46, v11
	;;#ASMEND
	ds_read_b128 v[26:29], v13 offset:96
	ds_read_b128 v[43:46], v12 offset:18656
	s_waitcnt lgkmcnt(0)
	;;#ASMSTART
	v_dot2_f32_f16 v11, v26, v43, v11
	;;#ASMEND
	;;#ASMSTART
	v_dot2_f32_f16 v11, v27, v44, v11
	;;#ASMEND
	;;#ASMSTART
	v_dot2_f32_f16 v11, v28, v45, v11
	;;#ASMEND
	;;#ASMSTART
	v_dot2_f32_f16 v11, v29, v46, v11
	;;#ASMEND
	ds_read_b128 v[26:29], v13 offset:112
	ds_read_b128 v[43:46], v12 offset:18672
	s_waitcnt lgkmcnt(0)
	;;#ASMSTART
	v_dot2_f32_f16 v11, v26, v43, v11
	;;#ASMEND
	;;#ASMSTART
	v_dot2_f32_f16 v11, v27, v44, v11
	;;#ASMEND
	;; [unrolled: 3-line block ×4, first 2 shown]
	s_barrier
	buffer_store_dword v14, off, s[0:3], 0
	buffer_store_dword v14, off, s[0:3], 0 offset:4
	buffer_store_dword v14, off, s[0:3], 0 offset:8
	;; [unrolled: 1-line block ×3, first 2 shown]
	flat_load_dwordx4 v[26:29], v[30:31]
	v_add_co_u32_e64 v30, s[14:15], s36, v20
	v_addc_co_u32_e64 v31, s[14:15], 0, v21, s[14:15]
	v_cndmask_b32_e64 v31, v16, v31, s[6:7]
	v_cndmask_b32_e64 v30, v17, v30, s[6:7]
	buffer_store_dword v14, off, s[0:3], 0
	buffer_store_dword v14, off, s[0:3], 0 offset:4
	buffer_store_dword v14, off, s[0:3], 0 offset:8
	;; [unrolled: 1-line block ×3, first 2 shown]
	s_waitcnt vmcnt(0) lgkmcnt(0)
	ds_write_b128 v15, v[26:29]
	flat_load_dwordx4 v[26:29], v[30:31]
	v_add_co_u32_e64 v30, s[14:15], s36, v22
	v_addc_co_u32_e64 v31, s[14:15], 0, v23, s[14:15]
	v_cndmask_b32_e64 v31, v16, v31, s[12:13]
	v_cndmask_b32_e64 v30, v17, v30, s[12:13]
	buffer_store_dword v14, off, s[0:3], 0
	buffer_store_dword v14, off, s[0:3], 0 offset:4
	buffer_store_dword v14, off, s[0:3], 0 offset:8
	;; [unrolled: 1-line block ×3, first 2 shown]
	s_waitcnt vmcnt(0) lgkmcnt(0)
	ds_write_b128 v15, v[26:29] offset:4608
	flat_load_dwordx4 v[26:29], v[30:31]
	v_add_co_u32_e64 v30, s[14:15], s36, v24
	v_addc_co_u32_e64 v31, s[14:15], 0, v25, s[14:15]
	v_cndmask_b32_e64 v31, v16, v31, s[10:11]
	v_cndmask_b32_e64 v30, v17, v30, s[10:11]
	buffer_store_dword v14, off, s[0:3], 0
	buffer_store_dword v14, off, s[0:3], 0 offset:4
	buffer_store_dword v14, off, s[0:3], 0 offset:8
	;; [unrolled: 1-line block ×3, first 2 shown]
	s_movk_i32 s36, 0x180
	v_add_co_u32_e64 v18, s[14:15], s36, v18
	v_addc_co_u32_e64 v19, s[14:15], 0, v19, s[14:15]
	v_cndmask_b32_e32 v19, v16, v19, vcc
	v_cndmask_b32_e32 v18, v17, v18, vcc
	s_waitcnt vmcnt(0) lgkmcnt(0)
	ds_write_b128 v15, v[26:29] offset:9216
	flat_load_dwordx4 v[26:29], v[30:31]
	s_waitcnt vmcnt(0) lgkmcnt(0)
	ds_write_b128 v15, v[26:29] offset:13824
	s_waitcnt lgkmcnt(0)
	s_barrier
	ds_read_b128 v[26:29], v13
	ds_read_b128 v[43:46], v12 offset:18688
	s_waitcnt lgkmcnt(0)
	;;#ASMSTART
	v_dot2_f32_f16 v11, v26, v43, v11
	;;#ASMEND
	;;#ASMSTART
	v_dot2_f32_f16 v11, v27, v44, v11
	;;#ASMEND
	;;#ASMSTART
	v_dot2_f32_f16 v11, v28, v45, v11
	;;#ASMEND
	;;#ASMSTART
	v_dot2_f32_f16 v11, v29, v46, v11
	;;#ASMEND
	ds_read_b128 v[26:29], v13 offset:16
	ds_read_b128 v[43:46], v12 offset:18704
	s_waitcnt lgkmcnt(0)
	;;#ASMSTART
	v_dot2_f32_f16 v11, v26, v43, v11
	;;#ASMEND
	;;#ASMSTART
	v_dot2_f32_f16 v11, v27, v44, v11
	;;#ASMEND
	;;#ASMSTART
	v_dot2_f32_f16 v11, v28, v45, v11
	;;#ASMEND
	;;#ASMSTART
	v_dot2_f32_f16 v11, v29, v46, v11
	;;#ASMEND
	ds_read_b128 v[26:29], v13 offset:32
	;; [unrolled: 15-line block ×7, first 2 shown]
	ds_read_b128 v[43:46], v12 offset:18800
	s_waitcnt lgkmcnt(0)
	;;#ASMSTART
	v_dot2_f32_f16 v11, v26, v43, v11
	;;#ASMEND
	;;#ASMSTART
	v_dot2_f32_f16 v11, v27, v44, v11
	;;#ASMEND
	;; [unrolled: 3-line block ×4, first 2 shown]
	s_barrier
	buffer_store_dword v14, off, s[0:3], 0
	buffer_store_dword v14, off, s[0:3], 0 offset:4
	buffer_store_dword v14, off, s[0:3], 0 offset:8
	;; [unrolled: 1-line block ×3, first 2 shown]
	flat_load_dwordx4 v[26:29], v[18:19]
	v_add_co_u32_e32 v18, vcc, s36, v20
	v_addc_co_u32_e32 v19, vcc, 0, v21, vcc
	v_cndmask_b32_e64 v19, v16, v19, s[6:7]
	v_cndmask_b32_e64 v18, v17, v18, s[6:7]
	buffer_store_dword v14, off, s[0:3], 0
	buffer_store_dword v14, off, s[0:3], 0 offset:4
	buffer_store_dword v14, off, s[0:3], 0 offset:8
	;; [unrolled: 1-line block ×3, first 2 shown]
	v_add_co_u32_e32 v22, vcc, s36, v22
	v_addc_co_u32_e32 v23, vcc, 0, v23, vcc
	v_cndmask_b32_e64 v23, v16, v23, s[12:13]
	v_cndmask_b32_e64 v22, v17, v22, s[12:13]
	s_mov_b32 s6, 0x3f200000
	s_waitcnt vmcnt(0) lgkmcnt(0)
	ds_write_b128 v15, v[26:29]
	flat_load_dwordx4 v[18:21], v[18:19]
	s_nop 0
	buffer_store_dword v14, off, s[0:3], 0
	buffer_store_dword v14, off, s[0:3], 0 offset:4
	buffer_store_dword v14, off, s[0:3], 0 offset:8
	;; [unrolled: 1-line block ×3, first 2 shown]
	s_waitcnt vmcnt(0) lgkmcnt(0)
	ds_write_b128 v15, v[18:21] offset:4608
	flat_load_dwordx4 v[18:21], v[22:23]
	v_add_co_u32_e32 v22, vcc, s36, v24
	v_addc_co_u32_e32 v23, vcc, 0, v25, vcc
	v_cndmask_b32_e64 v23, v16, v23, s[10:11]
	v_cndmask_b32_e64 v22, v17, v22, s[10:11]
	buffer_store_dword v14, off, s[0:3], 0
	buffer_store_dword v14, off, s[0:3], 0 offset:4
	buffer_store_dword v14, off, s[0:3], 0 offset:8
	;; [unrolled: 1-line block ×3, first 2 shown]
	s_waitcnt vmcnt(0) lgkmcnt(0)
	ds_write_b128 v15, v[18:21] offset:9216
	flat_load_dwordx4 v[16:19], v[22:23]
	s_waitcnt vmcnt(0) lgkmcnt(0)
	ds_write_b128 v15, v[16:19] offset:13824
	s_waitcnt lgkmcnt(0)
	s_barrier
	ds_read_b128 v[14:17], v13
	ds_read_b128 v[18:21], v12 offset:18816
	s_waitcnt lgkmcnt(0)
	;;#ASMSTART
	v_dot2_f32_f16 v11, v14, v18, v11
	;;#ASMEND
	;;#ASMSTART
	v_dot2_f32_f16 v11, v15, v19, v11
	;;#ASMEND
	;;#ASMSTART
	v_dot2_f32_f16 v11, v16, v20, v11
	;;#ASMEND
	;;#ASMSTART
	v_dot2_f32_f16 v11, v17, v21, v11
	;;#ASMEND
	ds_read_b128 v[14:17], v13 offset:16
	ds_read_b128 v[18:21], v12 offset:18832
	s_waitcnt lgkmcnt(0)
	;;#ASMSTART
	v_dot2_f32_f16 v11, v14, v18, v11
	;;#ASMEND
	;;#ASMSTART
	v_dot2_f32_f16 v11, v15, v19, v11
	;;#ASMEND
	;;#ASMSTART
	v_dot2_f32_f16 v11, v16, v20, v11
	;;#ASMEND
	;;#ASMSTART
	v_dot2_f32_f16 v11, v17, v21, v11
	;;#ASMEND
	ds_read_b128 v[14:17], v13 offset:32
	;; [unrolled: 15-line block ×7, first 2 shown]
	ds_read_b128 v[17:20], v12 offset:18928
	s_waitcnt lgkmcnt(0)
	;;#ASMSTART
	v_dot2_f32_f16 v11, v13, v17, v11
	;;#ASMEND
	;;#ASMSTART
	v_dot2_f32_f16 v11, v14, v18, v11
	;;#ASMEND
	;; [unrolled: 3-line block ×4, first 2 shown]
	v_cmp_nlt_f32_e64 s[6:7], |v11|, s6
                                        ; implicit-def: $vgpr12
	s_and_saveexec_b64 s[10:11], s[6:7]
	s_xor_b64 s[6:7], exec, s[10:11]
	s_cbranch_execz .LBB74_28
; %bb.27:
	v_add_f32_e64 v12, |v11|, |v11|
	v_mul_f32_e32 v13, 0x3fb8aa3b, v12
	s_mov_b32 s10, 0x3fb8aa3b
	v_rndne_f32_e32 v14, v13
	v_sub_f32_e32 v15, v13, v14
	v_fma_f32 v13, v12, s10, -v13
	v_fmac_f32_e32 v13, 0x32a5705f, v12
	v_add_f32_e32 v13, v15, v13
	v_exp_f32_e32 v13, v13
	v_cvt_i32_f32_e32 v14, v14
	s_mov_b32 s10, 0xc2ce8ed0
	v_cmp_ngt_f32_e32 vcc, s10, v12
	s_mov_b32 s10, 0x42b17218
	v_ldexp_f32 v13, v13, v14
	v_cndmask_b32_e32 v13, 0, v13, vcc
	v_mov_b32_e32 v14, 0x7f800000
	v_cmp_nlt_f32_e32 vcc, s10, v12
	v_cndmask_b32_e32 v12, v14, v13, vcc
	v_add_f32_e32 v12, 1.0, v12
	v_rcp_f32_e32 v12, v12
	v_fma_f32 v12, v12, -2.0, 1.0
.LBB74_28:
	s_andn2_saveexec_b64 s[6:7], s[6:7]
	s_cbranch_execz .LBB74_30
; %bb.29:
	v_mul_f32_e32 v12, v11, v11
	v_mov_b32_e32 v13, 0x3ca908c9
	v_fmac_f32_e32 v13, 0xbbbac73d, v12
	v_mov_b32_e32 v14, 0xbd5c1c4e
	v_fmac_f32_e32 v14, v12, v13
	;; [unrolled: 2-line block ×4, first 2 shown]
	v_mul_f32_e64 v13, |v11|, v14
	v_fma_f32 v12, v12, v13, |v11|
.LBB74_30:
	s_or_b64 exec, exec, s[6:7]
	s_brev_b32 s6, -2
	v_bfi_b32 v11, s6, v12, v11
	v_cmp_gt_i32_e32 vcc, s23, v10
	v_mul_f32_e32 v11, s19, v11
	v_mov_b32_e32 v16, v7
	s_and_saveexec_b64 s[6:7], vcc
	s_cbranch_execz .LBB74_35
; %bb.31:
	s_cmp_eq_u64 s[40:41], 0
	s_cbranch_scc1 .LBB74_33
; %bb.32:
	v_mul_hi_u32 v12, s28, v34
	v_mov_b32_e32 v14, s41
	v_add_u32_e32 v12, v34, v12
	v_lshrrev_b32_e32 v12, s29, v12
	v_mul_lo_u32 v12, v12, s30
	v_sub_u32_e32 v12, v34, v12
	v_mul_lo_u32 v12, v12, s22
	v_add3_u32 v12, v12, v10, s18
	v_ashrrev_i32_e32 v13, 31, v12
	v_lshlrev_b64 v[12:13], 1, v[12:13]
	v_add_co_u32_e32 v12, vcc, s40, v12
	v_addc_co_u32_e32 v13, vcc, v14, v13, vcc
	global_load_ushort v12, v[12:13], off
	s_waitcnt vmcnt(0)
	v_cvt_f32_f16_e32 v12, v12
	v_mul_f32_e32 v12, v40, v12
	s_branch .LBB74_34
.LBB74_33:
	v_mov_b32_e32 v12, 0
.LBB74_34:
	v_add_f32_e32 v11, v11, v12
	v_add_f32_e32 v12, 0x40051340, v11
	v_max_f32_e32 v13, v7, v7
	v_max_f32_e32 v16, v13, v12
.LBB74_35:
	s_or_b64 exec, exec, s[6:7]
	v_mbcnt_hi_u32_b32 v12, -1, v42
	v_and_b32_e32 v13, 0x60, v12
	v_add_u32_e32 v13, 32, v13
	v_xor_b32_e32 v14, 16, v12
	v_cmp_lt_i32_e32 vcc, v14, v13
	v_cndmask_b32_e32 v15, v12, v14, vcc
	v_lshlrev_b32_e32 v15, 2, v15
	ds_bpermute_b32 v17, v15, v16
	v_xor_b32_e32 v15, 8, v12
	v_cmp_lt_i32_e32 vcc, v15, v13
	v_cndmask_b32_e32 v18, v12, v15, vcc
	v_max_f32_e32 v16, v16, v16
	s_waitcnt lgkmcnt(0)
	v_max_f32_e32 v17, v17, v17
	v_lshlrev_b32_e32 v18, 2, v18
	v_max_f32_e32 v17, v16, v17
	ds_bpermute_b32 v18, v18, v17
	v_xor_b32_e32 v16, 4, v12
	v_cmp_lt_i32_e32 vcc, v16, v13
	v_cndmask_b32_e32 v19, v12, v16, vcc
	v_lshlrev_b32_e32 v19, 2, v19
	s_waitcnt lgkmcnt(0)
	v_max_f32_e32 v18, v18, v18
	v_max_f32_e32 v18, v17, v18
	ds_bpermute_b32 v19, v19, v18
	v_xor_b32_e32 v17, 2, v12
	v_cmp_lt_i32_e32 vcc, v17, v13
	v_cndmask_b32_e32 v20, v12, v17, vcc
	v_lshlrev_b32_e32 v20, 2, v20
	s_waitcnt lgkmcnt(0)
	v_max_f32_e32 v19, v19, v19
	;; [unrolled: 8-line block ×3, first 2 shown]
	v_max_f32_e32 v19, v19, v20
	ds_bpermute_b32 v20, v21, v19
	v_cmp_eq_u32_e32 vcc, 0, v0
	s_and_saveexec_b64 s[6:7], vcc
	s_cbranch_execz .LBB74_37
; %bb.36:
	s_waitcnt lgkmcnt(0)
	v_max_f32_e32 v20, v20, v20
	v_max_f32_e32 v19, v19, v19
	v_max_f32_e32 v19, v19, v20
	ds_write_b32 v35, v19 offset:20000
.LBB74_37:
	s_or_b64 exec, exec, s[6:7]
	s_movk_i32 s6, 0xfc
	v_and_or_b32 v19, v1, s6, v41
	v_lshlrev_b32_e32 v19, 2, v19
	s_waitcnt lgkmcnt(0)
	s_barrier
	ds_read_b32 v19, v19 offset:20000
	v_and_b32_e32 v20, 0x7c, v12
	v_add_u32_e32 v20, 4, v20
	v_cmp_lt_i32_e32 vcc, v17, v20
	v_cndmask_b32_e32 v21, v12, v17, vcc
	v_lshlrev_b32_e32 v21, 2, v21
	s_waitcnt lgkmcnt(0)
	ds_bpermute_b32 v21, v21, v19
	v_cmp_lt_i32_e32 vcc, v18, v20
	v_max_f32_e32 v19, v19, v19
	v_cndmask_b32_e32 v20, v12, v18, vcc
	v_lshlrev_b32_e32 v20, 2, v20
	s_waitcnt lgkmcnt(0)
	v_max_f32_e32 v21, v21, v21
	v_max_f32_e32 v19, v19, v21
	ds_bpermute_b32 v20, v20, v19
	v_cmp_gt_u32_e32 vcc, s23, v10
	s_mov_b32 s10, 0x3fb8aa3b
	s_mov_b32 s11, 0xc2ce8ed0
	;; [unrolled: 1-line block ×3, first 2 shown]
	s_waitcnt lgkmcnt(0)
	v_max_f32_e32 v20, v20, v20
	v_max_f32_e32 v19, v19, v20
	v_sub_f32_e32 v10, v11, v19
	v_mul_f32_e32 v11, 0x3fb8aa3b, v10
	v_fma_f32 v20, v10, s10, -v11
	v_rndne_f32_e32 v21, v11
	v_fmac_f32_e32 v20, 0x32a5705f, v10
	v_sub_f32_e32 v11, v11, v21
	v_add_f32_e32 v11, v11, v20
	v_exp_f32_e32 v11, v11
	v_cvt_i32_f32_e32 v20, v21
	v_sub_f32_e32 v7, v7, v19
	v_cmp_ngt_f32_e64 s[6:7], s11, v10
	v_lshlrev_b32_e32 v8, 1, v8
	v_ldexp_f32 v11, v11, v20
	v_mov_b32_e32 v20, 0x4c00
	v_lshl_add_u32 v20, v9, 1, v20
	v_mul_f32_e32 v9, 0x3fb8aa3b, v7
	v_fma_f32 v21, v7, s10, -v9
	v_rndne_f32_e32 v22, v9
	v_fmac_f32_e32 v21, 0x32a5705f, v7
	v_sub_f32_e32 v9, v9, v22
	v_add_f32_e32 v9, v9, v21
	v_exp_f32_e32 v9, v9
	v_cvt_i32_f32_e32 v21, v22
	v_cndmask_b32_e64 v11, 0, v11, s[6:7]
	v_cmp_nlt_f32_e64 s[6:7], s12, v10
	v_mov_b32_e32 v10, 0x7f800000
	v_cndmask_b32_e64 v11, v10, v11, s[6:7]
	v_cndmask_b32_e32 v11, 0, v11, vcc
	v_ldexp_f32 v9, v9, v21
	v_cmp_ngt_f32_e32 vcc, s11, v7
	v_cndmask_b32_e32 v9, 0, v9, vcc
	v_cmp_nlt_f32_e32 vcc, s12, v7
	v_cndmask_b32_e32 v7, v10, v9, vcc
	v_fma_f32 v38, v38, v7, v11
	v_cvt_f16_f32_e32 v7, v7
	s_lshl_b32 s6, s8, 3
	s_mul_hi_i32 s7, s18, s8
	s_mov_b64 s[10:11], src_private_base
	v_mul_u32_u24_e32 v32, 0x10001, v7
	v_pk_mul_f16 v41, v5, v32
	v_lshlrev_b32_e32 v5, 1, v0
	v_add3_u32 v5, v20, v8, v5
	v_add_u32_e32 v8, s6, v6
	v_add_u32_e32 v42, s6, v8
	v_pk_mul_f16 v40, v4, v32
	v_cvt_f16_f32_e32 v4, v11
	v_add_u32_e32 v46, s6, v42
	s_mul_i32 s6, s18, s8
	v_ashrrev_i32_e32 v7, 31, v6
	s_lshl_b64 s[6:7], s[6:7], 2
	s_add_u32 s10, s16, s6
	v_lshlrev_b64 v[10:11], 2, v[6:7]
	s_addc_u32 s12, s17, s7
	ds_write_b16 v5, v4
	v_add_co_u32_e64 v4, s[6:7], s10, v10
	v_mov_b32_e32 v5, s12
	v_addc_co_u32_e64 v5, s[6:7], v5, v11, s[6:7]
	v_add_co_u32_e64 v4, s[6:7], v4, v37
	v_mov_b32_e32 v27, 0
	v_cmp_gt_i32_e32 vcc, s23, v1
	v_addc_co_u32_e64 v5, s[6:7], 0, v5, s[6:7]
	v_mov_b32_e32 v28, s11
	v_mov_b32_e32 v29, 0
	buffer_store_dword v27, off, s[0:3], 0
	buffer_store_dword v27, off, s[0:3], 0 offset:4
	buffer_store_dword v27, off, s[0:3], 0 offset:8
	;; [unrolled: 1-line block ×3, first 2 shown]
	v_cndmask_b32_e32 v5, v28, v5, vcc
	v_cndmask_b32_e32 v4, v29, v4, vcc
	flat_load_dwordx4 v[4:7], v[4:5]
	v_lshl_add_u32 v22, v1, 9, v37
	v_ashrrev_i32_e32 v9, 31, v8
	v_add_u32_e32 v30, 8, v1
	v_cmp_gt_i32_e32 vcc, s23, v30
	v_lshl_add_u32 v25, v30, 9, v37
	v_ashrrev_i32_e32 v43, 31, v42
	v_add_u32_e32 v26, 16, v1
	v_ashrrev_i32_e32 v47, 31, v46
	v_lshl_add_u32 v24, v26, 9, v37
	v_add_u32_e32 v23, 24, v1
	v_lshl_add_u32 v21, v23, 9, v37
	v_lshl_add_u32 v20, v36, 1, v20
	s_waitcnt vmcnt(0) lgkmcnt(0)
	ds_write_b128 v22, v[4:7]
	v_lshlrev_b64 v[4:5], 2, v[8:9]
	v_mov_b32_e32 v7, s12
	v_add_co_u32_e64 v6, s[6:7], s10, v4
	v_addc_co_u32_e64 v7, s[6:7], v7, v5, s[6:7]
	v_add_co_u32_e64 v6, s[6:7], v6, v37
	v_addc_co_u32_e64 v7, s[6:7], 0, v7, s[6:7]
	buffer_store_dword v27, off, s[0:3], 0
	buffer_store_dword v27, off, s[0:3], 0 offset:4
	buffer_store_dword v27, off, s[0:3], 0 offset:8
	;; [unrolled: 1-line block ×3, first 2 shown]
	v_cndmask_b32_e32 v7, v28, v7, vcc
	v_cndmask_b32_e32 v6, v29, v6, vcc
	flat_load_dwordx4 v[6:9], v[6:7]
	v_cmp_gt_i32_e32 vcc, s23, v26
	s_waitcnt vmcnt(0) lgkmcnt(0)
	ds_write_b128 v25, v[6:9]
	v_lshlrev_b64 v[8:9], 2, v[42:43]
	v_mov_b32_e32 v7, s12
	v_add_co_u32_e64 v6, s[6:7], s10, v8
	v_addc_co_u32_e64 v7, s[6:7], v7, v9, s[6:7]
	v_add_co_u32_e64 v6, s[6:7], v6, v37
	v_addc_co_u32_e64 v7, s[6:7], 0, v7, s[6:7]
	buffer_store_dword v27, off, s[0:3], 0
	buffer_store_dword v27, off, s[0:3], 0 offset:4
	buffer_store_dword v27, off, s[0:3], 0 offset:8
	buffer_store_dword v27, off, s[0:3], 0 offset:12
	v_cndmask_b32_e32 v7, v28, v7, vcc
	v_cndmask_b32_e32 v6, v29, v6, vcc
	flat_load_dwordx4 v[42:45], v[6:7]
	v_lshlrev_b64 v[6:7], 2, v[46:47]
	v_cmp_gt_i32_e32 vcc, s23, v23
	v_add_co_u32_e64 v31, s[6:7], s10, v6
	s_waitcnt vmcnt(0) lgkmcnt(0)
	ds_write_b128 v24, v[42:45]
	v_mov_b32_e32 v42, s12
	v_addc_co_u32_e64 v42, s[6:7], v42, v7, s[6:7]
	v_add_co_u32_e64 v31, s[6:7], v31, v37
	v_addc_co_u32_e64 v42, s[6:7], 0, v42, s[6:7]
	buffer_store_dword v27, off, s[0:3], 0
	buffer_store_dword v27, off, s[0:3], 0 offset:4
	buffer_store_dword v27, off, s[0:3], 0 offset:8
	buffer_store_dword v27, off, s[0:3], 0 offset:12
	v_cndmask_b32_e32 v43, v28, v42, vcc
	v_cndmask_b32_e32 v42, v29, v31, vcc
	flat_load_dwordx4 v[42:45], v[42:43]
	v_lshl_add_u32 v31, v36, 9, v39
	s_or_b32 s6, s18, 32
	s_mul_hi_i32 s7, s6, s8
	s_mul_i32 s6, s6, s8
	s_lshl_b64 s[6:7], s[6:7], 2
	s_add_u32 s10, s16, s6
	s_addc_u32 s11, s17, s7
	s_sub_i32 s12, s23, 32
	v_cmp_gt_i32_e32 vcc, s12, v1
	s_waitcnt vmcnt(0) lgkmcnt(0)
	ds_write_b128 v21, v[42:45]
	s_waitcnt lgkmcnt(0)
	s_barrier
	ds_read2_b64 v[42:45], v31 offset1:32
	ds_read_u16 v39, v20
	ds_read_u16 v46, v20 offset:8
	ds_read_u16 v47, v20 offset:16
	;; [unrolled: 1-line block ×7, first 2 shown]
	s_waitcnt lgkmcnt(7)
	v_mul_u32_u24_e32 v39, 0x10001, v39
	v_pk_mul_f16 v42, v42, v39
	v_pk_fma_f16 v53, v2, v32, v42
	v_pk_mul_f16 v2, v43, v39
	v_pk_fma_f16 v3, v3, v32, v2
	v_add_u32_e32 v2, 0x800, v31
	v_pk_fma_f16 v32, v44, v39, v40
	v_pk_fma_f16 v43, v45, v39, v41
	ds_read2_b64 v[39:42], v2 offset1:32
	s_waitcnt lgkmcnt(7)
	v_mul_u32_u24_e32 v44, 0x10001, v46
	s_waitcnt lgkmcnt(0)
	v_pk_fma_f16 v46, v40, v44, v3
	v_add_u32_e32 v3, 0x1000, v31
	v_pk_fma_f16 v45, v39, v44, v53
	v_pk_fma_f16 v32, v41, v44, v32
	;; [unrolled: 1-line block ×3, first 2 shown]
	ds_read2_b64 v[39:42], v3 offset1:32
	v_mul_u32_u24_e32 v44, 0x10001, v47
	s_waitcnt lgkmcnt(0)
	v_pk_fma_f16 v47, v41, v44, v32
	v_add_u32_e32 v32, 0x1800, v31
	v_pk_fma_f16 v45, v39, v44, v45
	v_pk_fma_f16 v46, v40, v44, v46
	;; [unrolled: 1-line block ×3, first 2 shown]
	ds_read2_b64 v[39:42], v32 offset1:32
	v_mul_u32_u24_e32 v44, 0x10001, v48
	v_mul_u32_u24_e32 v48, 0x10001, v49
	;; [unrolled: 1-line block ×3, first 2 shown]
	s_waitcnt lgkmcnt(0)
	v_pk_fma_f16 v45, v39, v44, v45
	v_add_u32_e32 v39, 0x2000, v31
	v_pk_fma_f16 v46, v40, v44, v46
	v_pk_fma_f16 v47, v41, v44, v47
	v_pk_fma_f16 v44, v42, v44, v43
	ds_read2_b64 v[40:43], v39 offset1:32
	s_waitcnt lgkmcnt(0)
	v_pk_fma_f16 v45, v40, v48, v45
	v_add_u32_e32 v40, 0x2800, v31
	v_pk_fma_f16 v46, v41, v48, v46
	v_pk_fma_f16 v47, v42, v48, v47
	v_pk_fma_f16 v48, v43, v48, v44
	ds_read2_b64 v[41:44], v40 offset1:32
	s_waitcnt lgkmcnt(0)
	v_pk_fma_f16 v50, v41, v49, v45
	v_add_u32_e32 v41, 0x3000, v31
	v_pk_fma_f16 v46, v42, v49, v46
	v_pk_fma_f16 v47, v43, v49, v47
	v_pk_fma_f16 v48, v44, v49, v48
	ds_read2_b64 v[42:45], v41 offset1:32
	v_mul_u32_u24_e32 v49, 0x10001, v51
	s_waitcnt lgkmcnt(0)
	v_pk_fma_f16 v50, v42, v49, v50
	v_add_u32_e32 v42, 0x3800, v31
	v_pk_fma_f16 v51, v43, v49, v46
	v_pk_fma_f16 v47, v44, v49, v47
	;; [unrolled: 1-line block ×3, first 2 shown]
	ds_read2_b64 v[43:46], v42 offset1:32
	v_mul_u32_u24_e32 v49, 0x10001, v52
	s_waitcnt lgkmcnt(0)
	s_barrier
	v_pk_fma_f16 v50, v43, v49, v50
	v_pk_fma_f16 v51, v44, v49, v51
	v_add_co_u32_e64 v43, s[6:7], s10, v10
	v_mov_b32_e32 v44, s11
	v_addc_co_u32_e64 v44, s[6:7], v44, v11, s[6:7]
	v_add_co_u32_e64 v43, s[6:7], v43, v37
	v_addc_co_u32_e64 v44, s[6:7], 0, v44, s[6:7]
	buffer_store_dword v27, off, s[0:3], 0
	buffer_store_dword v27, off, s[0:3], 0 offset:4
	buffer_store_dword v27, off, s[0:3], 0 offset:8
	;; [unrolled: 1-line block ×3, first 2 shown]
	v_cndmask_b32_e32 v44, v28, v44, vcc
	v_cndmask_b32_e32 v43, v29, v43, vcc
	v_pk_fma_f16 v47, v45, v49, v47
	v_pk_fma_f16 v48, v46, v49, v48
	flat_load_dwordx4 v[43:46], v[43:44]
	v_cmp_gt_i32_e32 vcc, s12, v30
	s_waitcnt vmcnt(0) lgkmcnt(0)
	ds_write_b128 v22, v[43:46]
	v_add_co_u32_e64 v43, s[6:7], s10, v4
	v_mov_b32_e32 v44, s11
	v_addc_co_u32_e64 v44, s[6:7], v44, v5, s[6:7]
	v_add_co_u32_e64 v43, s[6:7], v43, v37
	v_addc_co_u32_e64 v44, s[6:7], 0, v44, s[6:7]
	buffer_store_dword v27, off, s[0:3], 0
	buffer_store_dword v27, off, s[0:3], 0 offset:4
	buffer_store_dword v27, off, s[0:3], 0 offset:8
	buffer_store_dword v27, off, s[0:3], 0 offset:12
	v_cndmask_b32_e32 v44, v28, v44, vcc
	v_cndmask_b32_e32 v43, v29, v43, vcc
	flat_load_dwordx4 v[43:46], v[43:44]
	v_cmp_gt_i32_e32 vcc, s12, v26
	s_waitcnt vmcnt(0) lgkmcnt(0)
	ds_write_b128 v25, v[43:46]
	v_add_co_u32_e64 v43, s[6:7], s10, v8
	v_mov_b32_e32 v44, s11
	v_addc_co_u32_e64 v44, s[6:7], v44, v9, s[6:7]
	v_add_co_u32_e64 v43, s[6:7], v43, v37
	v_addc_co_u32_e64 v44, s[6:7], 0, v44, s[6:7]
	buffer_store_dword v27, off, s[0:3], 0
	buffer_store_dword v27, off, s[0:3], 0 offset:4
	buffer_store_dword v27, off, s[0:3], 0 offset:8
	buffer_store_dword v27, off, s[0:3], 0 offset:12
	v_cndmask_b32_e32 v44, v28, v44, vcc
	v_cndmask_b32_e32 v43, v29, v43, vcc
	;; [unrolled: 15-line block ×3, first 2 shown]
	flat_load_dwordx4 v[43:46], v[43:44]
	s_or_b32 s6, s18, 64
	s_mul_hi_i32 s7, s6, s8
	s_mul_i32 s6, s6, s8
	s_lshl_b64 s[6:7], s[6:7], 2
	s_add_u32 s10, s16, s6
	s_addc_u32 s11, s17, s7
	s_sub_i32 s12, s23, 64
	v_cmp_gt_i32_e32 vcc, s12, v1
	s_waitcnt vmcnt(0) lgkmcnt(0)
	ds_write_b128 v21, v[43:46]
	s_waitcnt lgkmcnt(0)
	s_barrier
	ds_read2_b64 v[43:46], v31 offset1:32
	ds_read_u16 v49, v20 offset:64
	ds_read_u16 v52, v20 offset:72
	;; [unrolled: 1-line block ×8, first 2 shown]
	s_waitcnt lgkmcnt(7)
	v_mul_u32_u24_e32 v49, 0x10001, v49
	v_pk_fma_f16 v50, v43, v49, v50
	v_pk_fma_f16 v51, v44, v49, v51
	;; [unrolled: 1-line block ×4, first 2 shown]
	ds_read2_b64 v[43:46], v2 offset1:32
	s_waitcnt lgkmcnt(7)
	v_mul_u32_u24_e32 v49, 0x10001, v52
	s_waitcnt lgkmcnt(0)
	v_pk_fma_f16 v50, v43, v49, v50
	v_pk_fma_f16 v51, v44, v49, v51
	v_pk_fma_f16 v47, v45, v49, v47
	v_pk_fma_f16 v48, v46, v49, v48
	ds_read2_b64 v[43:46], v3 offset1:32
	v_mul_u32_u24_e32 v49, 0x10001, v53
	s_waitcnt lgkmcnt(0)
	v_pk_fma_f16 v50, v43, v49, v50
	v_pk_fma_f16 v51, v44, v49, v51
	v_pk_fma_f16 v47, v45, v49, v47
	v_pk_fma_f16 v48, v46, v49, v48
	ds_read2_b64 v[43:46], v32 offset1:32
	;; [unrolled: 7-line block ×6, first 2 shown]
	v_mul_u32_u24_e32 v49, 0x10001, v58
	s_waitcnt lgkmcnt(0)
	s_barrier
	v_pk_fma_f16 v45, v45, v49, v47
	v_pk_fma_f16 v46, v46, v49, v48
	v_add_co_u32_e64 v47, s[6:7], s10, v10
	v_mov_b32_e32 v48, s11
	v_addc_co_u32_e64 v48, s[6:7], v48, v11, s[6:7]
	v_add_co_u32_e64 v47, s[6:7], v47, v37
	v_addc_co_u32_e64 v48, s[6:7], 0, v48, s[6:7]
	buffer_store_dword v27, off, s[0:3], 0
	buffer_store_dword v27, off, s[0:3], 0 offset:4
	buffer_store_dword v27, off, s[0:3], 0 offset:8
	;; [unrolled: 1-line block ×3, first 2 shown]
	v_cndmask_b32_e32 v48, v28, v48, vcc
	v_cndmask_b32_e32 v47, v29, v47, vcc
	v_pk_fma_f16 v43, v43, v49, v50
	v_pk_fma_f16 v44, v44, v49, v51
	flat_load_dwordx4 v[47:50], v[47:48]
	v_cmp_gt_i32_e32 vcc, s12, v30
	s_waitcnt vmcnt(0) lgkmcnt(0)
	ds_write_b128 v22, v[47:50]
	v_add_co_u32_e64 v47, s[6:7], s10, v4
	v_mov_b32_e32 v48, s11
	v_addc_co_u32_e64 v48, s[6:7], v48, v5, s[6:7]
	v_add_co_u32_e64 v47, s[6:7], v47, v37
	v_addc_co_u32_e64 v48, s[6:7], 0, v48, s[6:7]
	buffer_store_dword v27, off, s[0:3], 0
	buffer_store_dword v27, off, s[0:3], 0 offset:4
	buffer_store_dword v27, off, s[0:3], 0 offset:8
	buffer_store_dword v27, off, s[0:3], 0 offset:12
	v_cndmask_b32_e32 v48, v28, v48, vcc
	v_cndmask_b32_e32 v47, v29, v47, vcc
	flat_load_dwordx4 v[47:50], v[47:48]
	v_cmp_gt_i32_e32 vcc, s12, v26
	s_waitcnt vmcnt(0) lgkmcnt(0)
	ds_write_b128 v25, v[47:50]
	v_add_co_u32_e64 v47, s[6:7], s10, v8
	v_mov_b32_e32 v48, s11
	v_addc_co_u32_e64 v48, s[6:7], v48, v9, s[6:7]
	v_add_co_u32_e64 v47, s[6:7], v47, v37
	v_addc_co_u32_e64 v48, s[6:7], 0, v48, s[6:7]
	buffer_store_dword v27, off, s[0:3], 0
	buffer_store_dword v27, off, s[0:3], 0 offset:4
	buffer_store_dword v27, off, s[0:3], 0 offset:8
	buffer_store_dword v27, off, s[0:3], 0 offset:12
	v_cndmask_b32_e32 v48, v28, v48, vcc
	v_cndmask_b32_e32 v47, v29, v47, vcc
	;; [unrolled: 15-line block ×3, first 2 shown]
	flat_load_dwordx4 v[47:50], v[47:48]
	s_or_b32 s6, s18, 0x60
	s_mul_hi_i32 s7, s6, s8
	s_mul_i32 s6, s6, s8
	s_lshl_b64 s[6:7], s[6:7], 2
	s_add_u32 s8, s16, s6
	s_addc_u32 s10, s17, s7
	v_add_co_u32_e64 v10, s[6:7], s8, v10
	s_addk_i32 s23, 0xffa0
	v_cmp_gt_i32_e32 vcc, s23, v1
	s_waitcnt vmcnt(0) lgkmcnt(0)
	ds_write_b128 v21, v[47:50]
	s_waitcnt lgkmcnt(0)
	s_barrier
	ds_read2_b64 v[47:50], v31 offset1:32
	ds_read_u16 v51, v20 offset:128
	ds_read_u16 v52, v20 offset:136
	;; [unrolled: 1-line block ×8, first 2 shown]
	s_waitcnt lgkmcnt(7)
	v_mul_u32_u24_e32 v51, 0x10001, v51
	v_pk_fma_f16 v47, v47, v51, v43
	v_pk_fma_f16 v48, v48, v51, v44
	;; [unrolled: 1-line block ×4, first 2 shown]
	ds_read2_b64 v[43:46], v2 offset1:32
	s_waitcnt lgkmcnt(7)
	v_mul_u32_u24_e32 v51, 0x10001, v52
	s_waitcnt lgkmcnt(0)
	v_pk_fma_f16 v47, v43, v51, v47
	v_pk_fma_f16 v48, v44, v51, v48
	v_pk_fma_f16 v49, v45, v51, v49
	v_pk_fma_f16 v50, v46, v51, v50
	ds_read2_b64 v[43:46], v3 offset1:32
	v_mul_u32_u24_e32 v51, 0x10001, v53
	s_waitcnt lgkmcnt(0)
	v_pk_fma_f16 v47, v43, v51, v47
	v_pk_fma_f16 v48, v44, v51, v48
	v_pk_fma_f16 v49, v45, v51, v49
	v_pk_fma_f16 v50, v46, v51, v50
	ds_read2_b64 v[43:46], v32 offset1:32
	;; [unrolled: 7-line block ×6, first 2 shown]
	v_mul_u32_u24_e32 v51, 0x10001, v58
	s_waitcnt lgkmcnt(0)
	s_barrier
	v_pk_fma_f16 v43, v43, v51, v47
	v_mov_b32_e32 v47, s10
	v_addc_co_u32_e64 v11, s[6:7], v47, v11, s[6:7]
	v_add_co_u32_e64 v10, s[6:7], v10, v37
	v_addc_co_u32_e64 v11, s[6:7], 0, v11, s[6:7]
	buffer_store_dword v27, off, s[0:3], 0
	buffer_store_dword v27, off, s[0:3], 0 offset:4
	buffer_store_dword v27, off, s[0:3], 0 offset:8
	;; [unrolled: 1-line block ×3, first 2 shown]
	v_cndmask_b32_e32 v11, v28, v11, vcc
	v_cndmask_b32_e32 v10, v29, v10, vcc
	v_pk_fma_f16 v44, v44, v51, v48
	v_pk_fma_f16 v45, v45, v51, v49
	;; [unrolled: 1-line block ×3, first 2 shown]
	flat_load_dwordx4 v[47:50], v[10:11]
	v_add_co_u32_e64 v4, s[6:7], s8, v4
	v_mov_b32_e32 v10, s10
	v_addc_co_u32_e64 v5, s[6:7], v10, v5, s[6:7]
	v_add_co_u32_e64 v4, s[6:7], v4, v37
	v_cmp_gt_i32_e32 vcc, s23, v30
	v_addc_co_u32_e64 v5, s[6:7], 0, v5, s[6:7]
	v_cndmask_b32_e32 v5, v28, v5, vcc
	v_cndmask_b32_e32 v4, v29, v4, vcc
	v_cmp_gt_i32_e32 vcc, s23, v26
	s_waitcnt vmcnt(0) lgkmcnt(0)
	ds_write_b128 v22, v[47:50]
	buffer_store_dword v27, off, s[0:3], 0
	buffer_store_dword v27, off, s[0:3], 0 offset:4
	buffer_store_dword v27, off, s[0:3], 0 offset:8
	buffer_store_dword v27, off, s[0:3], 0 offset:12
	flat_load_dwordx4 v[47:50], v[4:5]
	v_add_co_u32_e64 v4, s[6:7], s8, v8
	v_mov_b32_e32 v5, s10
	v_addc_co_u32_e64 v5, s[6:7], v5, v9, s[6:7]
	v_add_co_u32_e64 v4, s[6:7], v4, v37
	v_addc_co_u32_e64 v5, s[6:7], 0, v5, s[6:7]
	v_cndmask_b32_e32 v5, v28, v5, vcc
	v_cndmask_b32_e32 v4, v29, v4, vcc
	v_cmp_gt_i32_e32 vcc, s23, v23
	s_waitcnt vmcnt(0) lgkmcnt(0)
	ds_write_b128 v25, v[47:50]
	buffer_store_dword v27, off, s[0:3], 0
	buffer_store_dword v27, off, s[0:3], 0 offset:4
	buffer_store_dword v27, off, s[0:3], 0 offset:8
	;; [unrolled: 1-line block ×3, first 2 shown]
	flat_load_dwordx4 v[8:11], v[4:5]
	v_add_co_u32_e64 v4, s[6:7], s8, v6
	v_mov_b32_e32 v5, s10
	v_addc_co_u32_e64 v5, s[6:7], v5, v7, s[6:7]
	v_add_co_u32_e64 v4, s[6:7], v4, v37
	v_addc_co_u32_e64 v5, s[6:7], 0, v5, s[6:7]
	v_cndmask_b32_e32 v5, v28, v5, vcc
	v_cndmask_b32_e32 v4, v29, v4, vcc
	s_waitcnt vmcnt(0) lgkmcnt(0)
	ds_write_b128 v24, v[8:11]
	buffer_store_dword v27, off, s[0:3], 0
	buffer_store_dword v27, off, s[0:3], 0 offset:4
	buffer_store_dword v27, off, s[0:3], 0 offset:8
	;; [unrolled: 1-line block ×3, first 2 shown]
	flat_load_dwordx4 v[4:7], v[4:5]
	s_waitcnt vmcnt(0) lgkmcnt(0)
	ds_write_b128 v21, v[4:7]
	s_waitcnt lgkmcnt(0)
	s_barrier
	ds_read2_b64 v[4:7], v31 offset1:32
	ds_read_u16 v8, v20 offset:192
	ds_read_u16 v9, v20 offset:200
	;; [unrolled: 1-line block ×8, first 2 shown]
	s_waitcnt lgkmcnt(7)
	v_mul_u32_u24_e32 v8, 0x10001, v8
	v_pk_fma_f16 v24, v4, v8, v43
	v_pk_fma_f16 v25, v5, v8, v44
	;; [unrolled: 1-line block ×4, first 2 shown]
	ds_read2_b64 v[4:7], v2 offset1:32
	s_waitcnt lgkmcnt(7)
	v_mul_u32_u24_e32 v2, 0x10001, v9
	s_waitcnt lgkmcnt(0)
	v_pk_fma_f16 v9, v4, v2, v24
	v_pk_fma_f16 v24, v5, v2, v25
	v_pk_fma_f16 v6, v6, v2, v26
	v_pk_fma_f16 v7, v7, v2, v8
	ds_read2_b64 v[2:5], v3 offset1:32
	v_mul_u32_u24_e32 v8, 0x10001, v10
	s_waitcnt lgkmcnt(0)
	v_pk_fma_f16 v9, v2, v8, v9
	v_pk_fma_f16 v10, v3, v8, v24
	v_pk_fma_f16 v6, v4, v8, v6
	v_pk_fma_f16 v7, v5, v8, v7
	ds_read2_b64 v[2:5], v32 offset1:32
	;; [unrolled: 7-line block ×6, first 2 shown]
	v_mul_u32_u24_e32 v8, 0x10001, v20
	s_waitcnt lgkmcnt(0)
	s_barrier
	v_pk_fma_f16 v2, v2, v8, v9
	v_pk_fma_f16 v3, v3, v8, v10
	;; [unrolled: 1-line block ×4, first 2 shown]
	v_mov_b32_e32 v7, v19
.LBB74_38:
	v_cmp_lt_i32_e32 vcc, v14, v13
	v_cndmask_b32_e32 v6, v12, v14, vcc
	v_lshlrev_b32_e32 v6, 2, v6
	ds_bpermute_b32 v6, v6, v38
	v_cmp_lt_i32_e32 vcc, v15, v13
	v_cndmask_b32_e32 v8, v12, v15, vcc
	v_lshlrev_b32_e32 v8, 2, v8
	v_cmp_lt_i32_e32 vcc, v16, v13
	s_waitcnt lgkmcnt(0)
	v_add_f32_e32 v6, v38, v6
	ds_bpermute_b32 v8, v8, v6
	v_cndmask_b32_e32 v9, v12, v16, vcc
	v_lshlrev_b32_e32 v9, 2, v9
	v_cmp_lt_i32_e32 vcc, v17, v13
	v_cmp_ne_u32_e64 s[6:7], 0, v36
	s_waitcnt lgkmcnt(0)
	v_add_f32_e32 v6, v6, v8
	ds_bpermute_b32 v8, v9, v6
	v_cndmask_b32_e32 v9, v12, v17, vcc
	v_lshlrev_b32_e32 v9, 2, v9
	v_cmp_lt_i32_e32 vcc, v18, v13
	s_waitcnt lgkmcnt(0)
	v_add_f32_e32 v6, v6, v8
	ds_bpermute_b32 v8, v9, v6
	v_cndmask_b32_e32 v9, v12, v18, vcc
	v_lshlrev_b32_e32 v9, 2, v9
	v_cmp_eq_u32_e32 vcc, 0, v36
	s_waitcnt lgkmcnt(0)
	v_add_f32_e32 v6, v6, v8
	ds_bpermute_b32 v8, v9, v6
	s_waitcnt lgkmcnt(0)
	v_add_f32_e32 v8, v6, v8
	s_and_saveexec_b64 s[10:11], s[6:7]
	s_xor_b64 s[10:11], exec, s[10:11]
	s_cbranch_execnz .LBB74_42
; %bb.39:
	s_andn2_saveexec_b64 s[6:7], s[10:11]
	s_cbranch_execnz .LBB74_45
.LBB74_40:
	s_or_b64 exec, exec, s[6:7]
	s_and_saveexec_b64 s[6:7], vcc
	s_cbranch_execnz .LBB74_46
.LBB74_41:
	s_endpgm
.LBB74_42:
	v_lshlrev_b32_e32 v6, 4, v0
	v_lshl_add_u32 v1, v1, 9, v6
	v_cmp_eq_u32_e64 s[6:7], 0, v0
	ds_write_b128 v1, v[2:5]
	s_and_saveexec_b64 s[12:13], s[6:7]
; %bb.43:
	ds_write_b32 v35, v8 offset:18432
; %bb.44:
	s_or_b64 exec, exec, s[12:13]
                                        ; implicit-def: $vgpr1
                                        ; implicit-def: $vgpr35
	s_andn2_saveexec_b64 s[6:7], s[10:11]
	s_cbranch_execz .LBB74_40
.LBB74_45:
	v_lshlrev_b32_e32 v1, 9, v1
	v_lshl_add_u32 v1, v0, 4, v1
	s_waitcnt lgkmcnt(0)
	s_barrier
	ds_read_b128 v[9:12], v1 offset:512
	ds_read_b128 v[13:16], v1 offset:1024
	s_waitcnt lgkmcnt(1)
	v_pk_add_f16 v6, v9, v2
	v_add_u32_e32 v2, 0x4804, v35
	ds_read2_b32 v[17:18], v2 offset1:1
	v_pk_add_f16 v9, v10, v3
	v_pk_add_f16 v10, v11, v4
	;; [unrolled: 1-line block ×3, first 2 shown]
	ds_read_b128 v[2:5], v1 offset:1536
	s_waitcnt lgkmcnt(1)
	v_add_f32_e32 v1, v8, v17
	v_pk_add_f16 v8, v14, v9
	v_pk_add_f16 v9, v15, v10
	;; [unrolled: 1-line block ×3, first 2 shown]
	ds_read_b32 v11, v35 offset:18444
	v_pk_add_f16 v6, v13, v6
	v_add_f32_e32 v1, v1, v18
	s_waitcnt lgkmcnt(1)
	v_pk_add_f16 v2, v2, v6
	v_pk_add_f16 v3, v3, v8
	;; [unrolled: 1-line block ×4, first 2 shown]
	s_waitcnt lgkmcnt(0)
	v_add_f32_e32 v8, v1, v11
	s_or_b64 exec, exec, s[6:7]
	s_and_saveexec_b64 s[6:7], vcc
	s_cbranch_execz .LBB74_41
.LBB74_46:
	s_cmp_eq_u64 s[20:21], 0
	s_cselect_b64 s[6:7], -1, 0
	s_cmp_lg_u32 s9, 0
	s_cselect_b64 s[10:11], -1, 0
	s_or_b64 s[6:7], s[10:11], s[6:7]
	s_and_b64 vcc, exec, s[6:7]
	s_cbranch_vccnz .LBB74_48
; %bb.47:
	s_lshl_b64 s[6:7], s[34:35], 2
	s_add_u32 s6, s20, s6
	s_addc_u32 s7, s21, s7
	v_mov_b32_e32 v1, 0
	global_load_dword v1, v1, s[6:7]
	v_max_f32_e32 v6, v7, v7
	s_mov_b32 s6, 0x3fb8aa3b
	s_mov_b32 s7, 0xc2ce8ed0
	s_waitcnt vmcnt(0)
	v_max_f32_e32 v9, v1, v1
	v_max_f32_e32 v6, v6, v9
	v_sub_f32_e32 v7, v7, v6
	v_sub_f32_e32 v1, v1, v6
	v_mul_f32_e32 v9, 0x3fb8aa3b, v7
	v_mul_f32_e32 v10, 0x3fb8aa3b, v1
	v_fma_f32 v11, v7, s6, -v9
	v_rndne_f32_e32 v12, v9
	v_fma_f32 v13, v1, s6, -v10
	v_rndne_f32_e32 v14, v10
	v_fmac_f32_e32 v11, 0x32a5705f, v7
	v_sub_f32_e32 v9, v9, v12
	v_fmac_f32_e32 v13, 0x32a5705f, v1
	v_sub_f32_e32 v10, v10, v14
	v_add_f32_e32 v9, v9, v11
	v_cvt_i32_f32_e32 v12, v12
	v_add_f32_e32 v10, v10, v13
	v_exp_f32_e32 v9, v9
	v_cvt_i32_f32_e32 v14, v14
	v_exp_f32_e32 v10, v10
	v_cmp_ngt_f32_e32 vcc, s7, v7
	v_ldexp_f32 v9, v9, v12
	s_mov_b32 s6, 0x42b17218
	v_ldexp_f32 v10, v10, v14
	v_cndmask_b32_e32 v9, 0, v9, vcc
	v_cmp_ngt_f32_e32 vcc, s7, v1
	v_mov_b32_e32 v11, 0x7f800000
	v_cndmask_b32_e32 v10, 0, v10, vcc
	v_cmp_nlt_f32_e32 vcc, s6, v7
	v_cndmask_b32_e32 v7, v11, v9, vcc
	v_cvt_f16_f32_e32 v9, v7
	v_cmp_nlt_f32_e32 vcc, s6, v1
	v_cndmask_b32_e32 v1, v11, v10, vcc
	v_fmac_f32_e32 v1, v8, v7
	v_mov_b32_e32 v8, v1
	v_mul_u32_u24_e32 v1, 0x10001, v9
	v_pk_mul_f16 v2, v2, v1
	v_pk_mul_f16 v3, v3, v1
	;; [unrolled: 1-line block ×4, first 2 shown]
	v_mov_b32_e32 v7, v6
.LBB74_48:
	v_cmp_gt_i32_e32 vcc, s30, v34
	s_and_b64 exec, exec, vcc
	s_cbranch_execz .LBB74_41
; %bb.49:
	v_div_scale_f32 v1, s[6:7], v8, v8, 1.0
	v_div_scale_f32 v6, vcc, 1.0, v8, 1.0
	s_load_dword s6, s[4:5], 0xd4
	v_cmp_eq_u32_e64 s[4:5], 0, v0
	s_mul_i32 s33, s33, s30
	v_cvt_f32_f16_sdwa v10, v2 dst_sel:DWORD dst_unused:UNUSED_PAD src0_sel:WORD_1
	v_cvt_f32_f16_e32 v13, v2
	v_add_u32_e32 v2, s33, v34
	v_mul_lo_u32 v2, v2, s31
	v_cvt_f32_f16_sdwa v9, v3 dst_sel:DWORD dst_unused:UNUSED_PAD src0_sel:WORD_1
	v_cvt_f32_f16_e32 v3, v3
	v_cvt_f32_f16_sdwa v14, v5 dst_sel:DWORD dst_unused:UNUSED_PAD src0_sel:WORD_1
	v_cvt_f32_f16_e32 v15, v5
	s_waitcnt lgkmcnt(0)
	s_cmp_lg_u32 s6, 1
	v_rcp_f32_e32 v0, v1
	v_cvt_f32_f16_sdwa v16, v4 dst_sel:DWORD dst_unused:UNUSED_PAD src0_sel:WORD_1
	v_fma_f32 v11, -v1, v0, 1.0
	v_fmac_f32_e32 v0, v11, v0
	v_mul_f32_e32 v11, v6, v0
	v_fma_f32 v12, -v1, v11, v6
	v_fmac_f32_e32 v11, v12, v0
	v_fma_f32 v1, -v1, v11, v6
	v_div_fmas_f32 v11, v1, v0, v11
	v_add_u32_e32 v0, s34, v2
	v_mul_lo_u32 v0, s6, v0
	v_mov_b32_e32 v6, 0
	s_cselect_b64 s[6:7], -1, 0
	v_mov_b32_e32 v12, s25
	v_add_u32_e32 v0, s9, v0
	v_lshl_add_u32 v5, v0, 8, v33
	v_lshlrev_b64 v[1:2], 2, v[5:6]
	v_add_u32_e32 v5, 0x80, v5
	v_add_co_u32_e32 v1, vcc, s24, v1
	v_addc_co_u32_e32 v2, vcc, v12, v2, vcc
	v_lshlrev_b64 v[5:6], 2, v[5:6]
	s_and_b64 s[4:5], s[4:5], s[6:7]
	v_div_fixup_f32 v11, v11, v8, 1.0
	v_cndmask_b32_e64 v17, v11, 1.0, s[6:7]
	v_mul_f32_e32 v12, v17, v9
	v_mul_f32_e32 v11, v17, v3
	;; [unrolled: 1-line block ×4, first 2 shown]
	global_store_dwordx4 v[1:2], v[9:12], off
	v_cvt_f32_f16_e32 v1, v4
	v_mov_b32_e32 v9, s25
	v_add_co_u32_e32 v5, vcc, s24, v5
	v_mul_f32_e32 v4, v17, v14
	v_mul_f32_e32 v3, v17, v15
	;; [unrolled: 1-line block ×4, first 2 shown]
	v_addc_co_u32_e32 v6, vcc, v9, v6, vcc
	global_store_dwordx4 v[5:6], v[1:4], off
	s_and_b64 exec, exec, s[4:5]
	s_cbranch_execz .LBB74_41
; %bb.50:
	v_ashrrev_i32_e32 v1, 31, v0
	v_lshlrev_b64 v[0:1], 3, v[0:1]
	v_mov_b32_e32 v2, s27
	v_add_co_u32_e32 v0, vcc, s26, v0
	v_addc_co_u32_e32 v1, vcc, v2, v1, vcc
	global_store_dwordx2 v[0:1], v[7:8], off
	s_endpgm
	.section	.rodata,"a",@progbits
	.p2align	6, 0x0
	.amdhsa_kernel _ZL15flash_attn_tileILi256ELi256ELi2ELi1ELb1EEvPKcS1_S1_S1_S1_PKiPfP15HIP_vector_typeIfLj2EEffffjfiS5_IjLj3EEiiiiiiiiiiiliiliiiiil
		.amdhsa_group_segment_fixed_size 20032
		.amdhsa_private_segment_fixed_size 32
		.amdhsa_kernarg_size 464
		.amdhsa_user_sgpr_count 8
		.amdhsa_user_sgpr_private_segment_buffer 1
		.amdhsa_user_sgpr_dispatch_ptr 0
		.amdhsa_user_sgpr_queue_ptr 0
		.amdhsa_user_sgpr_kernarg_segment_ptr 1
		.amdhsa_user_sgpr_dispatch_id 0
		.amdhsa_user_sgpr_flat_scratch_init 1
		.amdhsa_user_sgpr_private_segment_size 0
		.amdhsa_uses_dynamic_stack 0
		.amdhsa_system_sgpr_private_segment_wavefront_offset 1
		.amdhsa_system_sgpr_workgroup_id_x 1
		.amdhsa_system_sgpr_workgroup_id_y 1
		.amdhsa_system_sgpr_workgroup_id_z 1
		.amdhsa_system_sgpr_workgroup_info 0
		.amdhsa_system_vgpr_workitem_id 1
		.amdhsa_next_free_vgpr 79
		.amdhsa_next_free_sgpr 96
		.amdhsa_reserve_vcc 1
		.amdhsa_reserve_flat_scratch 1
		.amdhsa_float_round_mode_32 0
		.amdhsa_float_round_mode_16_64 0
		.amdhsa_float_denorm_mode_32 3
		.amdhsa_float_denorm_mode_16_64 3
		.amdhsa_dx10_clamp 1
		.amdhsa_ieee_mode 1
		.amdhsa_fp16_overflow 0
		.amdhsa_exception_fp_ieee_invalid_op 0
		.amdhsa_exception_fp_denorm_src 0
		.amdhsa_exception_fp_ieee_div_zero 0
		.amdhsa_exception_fp_ieee_overflow 0
		.amdhsa_exception_fp_ieee_underflow 0
		.amdhsa_exception_fp_ieee_inexact 0
		.amdhsa_exception_int_div_zero 0
	.end_amdhsa_kernel
	.section	.text._ZL15flash_attn_tileILi256ELi256ELi2ELi1ELb1EEvPKcS1_S1_S1_S1_PKiPfP15HIP_vector_typeIfLj2EEffffjfiS5_IjLj3EEiiiiiiiiiiiliiliiiiil,"axG",@progbits,_ZL15flash_attn_tileILi256ELi256ELi2ELi1ELb1EEvPKcS1_S1_S1_S1_PKiPfP15HIP_vector_typeIfLj2EEffffjfiS5_IjLj3EEiiiiiiiiiiiliiliiiiil,comdat
.Lfunc_end74:
	.size	_ZL15flash_attn_tileILi256ELi256ELi2ELi1ELb1EEvPKcS1_S1_S1_S1_PKiPfP15HIP_vector_typeIfLj2EEffffjfiS5_IjLj3EEiiiiiiiiiiiliiliiiiil, .Lfunc_end74-_ZL15flash_attn_tileILi256ELi256ELi2ELi1ELb1EEvPKcS1_S1_S1_S1_PKiPfP15HIP_vector_typeIfLj2EEffffjfiS5_IjLj3EEiiiiiiiiiiiliiliiiiil
                                        ; -- End function
	.set _ZL15flash_attn_tileILi256ELi256ELi2ELi1ELb1EEvPKcS1_S1_S1_S1_PKiPfP15HIP_vector_typeIfLj2EEffffjfiS5_IjLj3EEiiiiiiiiiiiliiliiiiil.num_vgpr, 79
	.set _ZL15flash_attn_tileILi256ELi256ELi2ELi1ELb1EEvPKcS1_S1_S1_S1_PKiPfP15HIP_vector_typeIfLj2EEffffjfiS5_IjLj3EEiiiiiiiiiiiliiliiiiil.num_agpr, 0
	.set _ZL15flash_attn_tileILi256ELi256ELi2ELi1ELb1EEvPKcS1_S1_S1_S1_PKiPfP15HIP_vector_typeIfLj2EEffffjfiS5_IjLj3EEiiiiiiiiiiiliiliiiiil.numbered_sgpr, 52
	.set _ZL15flash_attn_tileILi256ELi256ELi2ELi1ELb1EEvPKcS1_S1_S1_S1_PKiPfP15HIP_vector_typeIfLj2EEffffjfiS5_IjLj3EEiiiiiiiiiiiliiliiiiil.num_named_barrier, 0
	.set _ZL15flash_attn_tileILi256ELi256ELi2ELi1ELb1EEvPKcS1_S1_S1_S1_PKiPfP15HIP_vector_typeIfLj2EEffffjfiS5_IjLj3EEiiiiiiiiiiiliiliiiiil.private_seg_size, 32
	.set _ZL15flash_attn_tileILi256ELi256ELi2ELi1ELb1EEvPKcS1_S1_S1_S1_PKiPfP15HIP_vector_typeIfLj2EEffffjfiS5_IjLj3EEiiiiiiiiiiiliiliiiiil.uses_vcc, 1
	.set _ZL15flash_attn_tileILi256ELi256ELi2ELi1ELb1EEvPKcS1_S1_S1_S1_PKiPfP15HIP_vector_typeIfLj2EEffffjfiS5_IjLj3EEiiiiiiiiiiiliiliiiiil.uses_flat_scratch, 1
	.set _ZL15flash_attn_tileILi256ELi256ELi2ELi1ELb1EEvPKcS1_S1_S1_S1_PKiPfP15HIP_vector_typeIfLj2EEffffjfiS5_IjLj3EEiiiiiiiiiiiliiliiiiil.has_dyn_sized_stack, 0
	.set _ZL15flash_attn_tileILi256ELi256ELi2ELi1ELb1EEvPKcS1_S1_S1_S1_PKiPfP15HIP_vector_typeIfLj2EEffffjfiS5_IjLj3EEiiiiiiiiiiiliiliiiiil.has_recursion, 0
	.set _ZL15flash_attn_tileILi256ELi256ELi2ELi1ELb1EEvPKcS1_S1_S1_S1_PKiPfP15HIP_vector_typeIfLj2EEffffjfiS5_IjLj3EEiiiiiiiiiiiliiliiiiil.has_indirect_call, 0
	.section	.AMDGPU.csdata,"",@progbits
; Kernel info:
; codeLenInByte = 17760
; TotalNumSgprs: 58
; NumVgprs: 79
; ScratchSize: 32
; MemoryBound: 0
; FloatMode: 240
; IeeeMode: 1
; LDSByteSize: 20032 bytes/workgroup (compile time only)
; SGPRBlocks: 12
; VGPRBlocks: 19
; NumSGPRsForWavesPerEU: 102
; NumVGPRsForWavesPerEU: 79
; Occupancy: 3
; WaveLimiterHint : 1
; COMPUTE_PGM_RSRC2:SCRATCH_EN: 1
; COMPUTE_PGM_RSRC2:USER_SGPR: 8
; COMPUTE_PGM_RSRC2:TRAP_HANDLER: 0
; COMPUTE_PGM_RSRC2:TGID_X_EN: 1
; COMPUTE_PGM_RSRC2:TGID_Y_EN: 1
; COMPUTE_PGM_RSRC2:TGID_Z_EN: 1
; COMPUTE_PGM_RSRC2:TIDIG_COMP_CNT: 1
	.section	.AMDGPU.gpr_maximums,"",@progbits
	.set amdgpu.max_num_vgpr, 0
	.set amdgpu.max_num_agpr, 0
	.set amdgpu.max_num_sgpr, 0
	.section	.AMDGPU.csdata,"",@progbits
	.type	__hip_cuid_aeefa1321c1b829f,@object ; @__hip_cuid_aeefa1321c1b829f
	.section	.bss,"aw",@nobits
	.globl	__hip_cuid_aeefa1321c1b829f
__hip_cuid_aeefa1321c1b829f:
	.byte	0                               ; 0x0
	.size	__hip_cuid_aeefa1321c1b829f, 1

	.ident	"AMD clang version 22.0.0git (https://github.com/RadeonOpenCompute/llvm-project roc-7.2.4 26084 f58b06dce1f9c15707c5f808fd002e18c2accf7e)"
	.section	".note.GNU-stack","",@progbits
	.addrsig
	.addrsig_sym __hip_cuid_aeefa1321c1b829f
	.amdgpu_metadata
---
amdhsa.kernels:
  - .args:
      - .address_space:  global
        .offset:         0
        .size:           8
        .value_kind:     global_buffer
      - .address_space:  global
        .offset:         8
        .size:           8
        .value_kind:     global_buffer
      - .address_space:  global
        .offset:         16
        .size:           8
        .value_kind:     global_buffer
      - .address_space:  global
        .offset:         24
        .size:           8
        .value_kind:     global_buffer
      - .address_space:  global
        .offset:         32
        .size:           8
        .value_kind:     global_buffer
      - .address_space:  global
        .offset:         40
        .size:           8
        .value_kind:     global_buffer
      - .address_space:  global
        .offset:         48
        .size:           8
        .value_kind:     global_buffer
      - .address_space:  global
        .offset:         56
        .size:           8
        .value_kind:     global_buffer
      - .offset:         64
        .size:           4
        .value_kind:     by_value
      - .offset:         68
        .size:           4
        .value_kind:     by_value
      - .offset:         72
        .size:           4
        .value_kind:     by_value
      - .offset:         76
        .size:           4
        .value_kind:     by_value
      - .offset:         80
        .size:           4
        .value_kind:     by_value
      - .offset:         84
        .size:           4
        .value_kind:     by_value
      - .offset:         88
        .size:           4
        .value_kind:     by_value
      - .offset:         92
        .size:           12
        .value_kind:     by_value
      - .offset:         104
        .size:           4
        .value_kind:     by_value
      - .offset:         108
        .size:           4
        .value_kind:     by_value
      - .offset:         112
        .size:           4
        .value_kind:     by_value
      - .offset:         116
        .size:           4
        .value_kind:     by_value
      - .offset:         120
        .size:           4
        .value_kind:     by_value
      - .offset:         124
        .size:           4
        .value_kind:     by_value
      - .offset:         128
        .size:           4
        .value_kind:     by_value
      - .offset:         132
        .size:           4
        .value_kind:     by_value
      - .offset:         136
        .size:           4
        .value_kind:     by_value
      - .offset:         140
        .size:           4
        .value_kind:     by_value
      - .offset:         144
        .size:           4
        .value_kind:     by_value
      - .offset:         152
        .size:           8
        .value_kind:     by_value
      - .offset:         160
        .size:           4
        .value_kind:     by_value
      - .offset:         164
        .size:           4
        .value_kind:     by_value
      - .offset:         168
        .size:           8
        .value_kind:     by_value
      - .offset:         176
        .size:           4
        .value_kind:     by_value
      - .offset:         180
        .size:           4
        .value_kind:     by_value
      - .offset:         184
        .size:           4
        .value_kind:     by_value
      - .offset:         188
        .size:           4
        .value_kind:     by_value
      - .offset:         192
        .size:           4
        .value_kind:     by_value
      - .offset:         200
        .size:           8
        .value_kind:     by_value
      - .offset:         208
        .size:           4
        .value_kind:     hidden_block_count_x
      - .offset:         212
        .size:           4
        .value_kind:     hidden_block_count_y
      - .offset:         216
        .size:           4
        .value_kind:     hidden_block_count_z
      - .offset:         220
        .size:           2
        .value_kind:     hidden_group_size_x
      - .offset:         222
        .size:           2
        .value_kind:     hidden_group_size_y
      - .offset:         224
        .size:           2
        .value_kind:     hidden_group_size_z
      - .offset:         226
        .size:           2
        .value_kind:     hidden_remainder_x
      - .offset:         228
        .size:           2
        .value_kind:     hidden_remainder_y
      - .offset:         230
        .size:           2
        .value_kind:     hidden_remainder_z
      - .offset:         248
        .size:           8
        .value_kind:     hidden_global_offset_x
      - .offset:         256
        .size:           8
        .value_kind:     hidden_global_offset_y
      - .offset:         264
        .size:           8
        .value_kind:     hidden_global_offset_z
      - .offset:         272
        .size:           2
        .value_kind:     hidden_grid_dims
    .group_segment_fixed_size: 27136
    .kernarg_segment_align: 8
    .kernarg_segment_size: 464
    .language:       OpenCL C
    .language_version:
      - 2
      - 0
    .max_flat_workgroup_size: 256
    .name:           _ZL15flash_attn_tileILi256ELi256ELi4ELi8ELb0EEvPKcS1_S1_S1_S1_PKiPfP15HIP_vector_typeIfLj2EEffffjfiS5_IjLj3EEiiiiiiiiiiiliiliiiiil
    .private_segment_fixed_size: 0
    .sgpr_count:     44
    .sgpr_spill_count: 0
    .symbol:         _ZL15flash_attn_tileILi256ELi256ELi4ELi8ELb0EEvPKcS1_S1_S1_S1_PKiPfP15HIP_vector_typeIfLj2EEffffjfiS5_IjLj3EEiiiiiiiiiiiliiliiiiil.kd
    .uniform_work_group_size: 1
    .uses_dynamic_stack: false
    .vgpr_count:     89
    .vgpr_spill_count: 0
    .wavefront_size: 64
  - .args:
      - .actual_access:  read_only
        .address_space:  global
        .offset:         0
        .size:           8
        .value_kind:     global_buffer
      - .actual_access:  write_only
        .address_space:  global
        .offset:         8
        .size:           8
        .value_kind:     global_buffer
      - .offset:         16
        .size:           4
        .value_kind:     by_value
      - .offset:         20
        .size:           4
        .value_kind:     by_value
      - .offset:         24
        .size:           4
        .value_kind:     by_value
      - .offset:         32
        .size:           4
        .value_kind:     hidden_block_count_x
      - .offset:         36
        .size:           4
        .value_kind:     hidden_block_count_y
      - .offset:         40
        .size:           4
        .value_kind:     hidden_block_count_z
      - .offset:         44
        .size:           2
        .value_kind:     hidden_group_size_x
      - .offset:         46
        .size:           2
        .value_kind:     hidden_group_size_y
      - .offset:         48
        .size:           2
        .value_kind:     hidden_group_size_z
      - .offset:         50
        .size:           2
        .value_kind:     hidden_remainder_x
      - .offset:         52
        .size:           2
        .value_kind:     hidden_remainder_y
      - .offset:         54
        .size:           2
        .value_kind:     hidden_remainder_z
      - .offset:         72
        .size:           8
        .value_kind:     hidden_global_offset_x
      - .offset:         80
        .size:           8
        .value_kind:     hidden_global_offset_y
      - .offset:         88
        .size:           8
        .value_kind:     hidden_global_offset_z
      - .offset:         96
        .size:           2
        .value_kind:     hidden_grid_dims
    .group_segment_fixed_size: 128
    .kernarg_segment_align: 8
    .kernarg_segment_size: 288
    .language:       OpenCL C
    .language_version:
      - 2
      - 0
    .max_flat_workgroup_size: 128
    .name:           _ZL25flash_attn_mask_to_KV_maxILi4EEvPK7__half2Piiii
    .private_segment_fixed_size: 0
    .sgpr_count:     34
    .sgpr_spill_count: 0
    .symbol:         _ZL25flash_attn_mask_to_KV_maxILi4EEvPK7__half2Piiii.kd
    .uniform_work_group_size: 1
    .uses_dynamic_stack: false
    .vgpr_count:     12
    .vgpr_spill_count: 0
    .wavefront_size: 64
  - .args:
      - .address_space:  global
        .offset:         0
        .size:           8
        .value_kind:     global_buffer
      - .address_space:  global
        .offset:         8
        .size:           8
        .value_kind:     global_buffer
      - .offset:         16
        .size:           4
        .value_kind:     by_value
      - .offset:         20
        .size:           4
        .value_kind:     by_value
      - .offset:         24
        .size:           4
        .value_kind:     by_value
      - .offset:         28
        .size:           4
        .value_kind:     by_value
      - .offset:         32
        .size:           4
        .value_kind:     by_value
      - .offset:         36
        .size:           4
        .value_kind:     by_value
      - .offset:         40
        .size:           12
        .value_kind:     by_value
      - .offset:         52
        .size:           12
        .value_kind:     by_value
      - .offset:         64
        .size:           12
        .value_kind:     by_value
    .group_segment_fixed_size: 0
    .kernarg_segment_align: 8
    .kernarg_segment_size: 76
    .language:       OpenCL C
    .language_version:
      - 2
      - 0
    .max_flat_workgroup_size: 256
    .name:           _ZL33flash_attn_stream_k_fixup_uniformILi256ELi4ELi8EEvPfPK15HIP_vector_typeIfLj2EEiiiiiiS1_IjLj3EES5_S5_
    .private_segment_fixed_size: 0
    .sgpr_count:     24
    .sgpr_spill_count: 0
    .symbol:         _ZL33flash_attn_stream_k_fixup_uniformILi256ELi4ELi8EEvPfPK15HIP_vector_typeIfLj2EEiiiiiiS1_IjLj3EES5_S5_.kd
    .uniform_work_group_size: 1
    .uses_dynamic_stack: false
    .vgpr_count:     17
    .vgpr_spill_count: 0
    .wavefront_size: 64
  - .args:
      - .address_space:  global
        .offset:         0
        .size:           8
        .value_kind:     global_buffer
      - .address_space:  global
        .offset:         8
        .size:           8
        .value_kind:     global_buffer
      - .offset:         16
        .size:           4
        .value_kind:     by_value
      - .offset:         20
        .size:           4
        .value_kind:     by_value
      - .offset:         24
        .size:           4
        .value_kind:     by_value
      - .offset:         28
        .size:           4
        .value_kind:     by_value
      - .offset:         32
        .size:           12
        .value_kind:     by_value
      - .offset:         44
        .size:           12
        .value_kind:     by_value
      - .offset:         56
        .size:           12
        .value_kind:     by_value
      - .offset:         68
        .size:           12
        .value_kind:     by_value
      - .offset:         80
        .size:           4
        .value_kind:     hidden_block_count_x
      - .offset:         84
        .size:           4
        .value_kind:     hidden_block_count_y
      - .offset:         88
        .size:           4
        .value_kind:     hidden_block_count_z
      - .offset:         92
        .size:           2
        .value_kind:     hidden_group_size_x
      - .offset:         94
        .size:           2
        .value_kind:     hidden_group_size_y
      - .offset:         96
        .size:           2
        .value_kind:     hidden_group_size_z
      - .offset:         98
        .size:           2
        .value_kind:     hidden_remainder_x
      - .offset:         100
        .size:           2
        .value_kind:     hidden_remainder_y
      - .offset:         102
        .size:           2
        .value_kind:     hidden_remainder_z
      - .offset:         120
        .size:           8
        .value_kind:     hidden_global_offset_x
      - .offset:         128
        .size:           8
        .value_kind:     hidden_global_offset_y
      - .offset:         136
        .size:           8
        .value_kind:     hidden_global_offset_z
      - .offset:         144
        .size:           2
        .value_kind:     hidden_grid_dims
    .group_segment_fixed_size: 0
    .kernarg_segment_align: 8
    .kernarg_segment_size: 336
    .language:       OpenCL C
    .language_version:
      - 2
      - 0
    .max_flat_workgroup_size: 256
    .name:           _ZL33flash_attn_stream_k_fixup_generalILi256ELi4ELi8EEvPfPK15HIP_vector_typeIfLj2EEiiiiS1_IjLj3EES5_S5_S5_
    .private_segment_fixed_size: 0
    .sgpr_count:     40
    .sgpr_spill_count: 0
    .symbol:         _ZL33flash_attn_stream_k_fixup_generalILi256ELi4ELi8EEvPfPK15HIP_vector_typeIfLj2EEiiiiS1_IjLj3EES5_S5_S5_.kd
    .uniform_work_group_size: 1
    .uses_dynamic_stack: false
    .vgpr_count:     18
    .vgpr_spill_count: 0
    .wavefront_size: 64
  - .args:
      - .address_space:  global
        .offset:         0
        .size:           8
        .value_kind:     global_buffer
      - .address_space:  global
        .offset:         8
        .size:           8
        .value_kind:     global_buffer
      - .address_space:  global
        .offset:         16
        .size:           8
        .value_kind:     global_buffer
      - .offset:         24
        .size:           4
        .value_kind:     by_value
      - .offset:         32
        .size:           4
        .value_kind:     hidden_block_count_x
      - .offset:         36
        .size:           4
        .value_kind:     hidden_block_count_y
      - .offset:         40
        .size:           4
        .value_kind:     hidden_block_count_z
      - .offset:         44
        .size:           2
        .value_kind:     hidden_group_size_x
      - .offset:         46
        .size:           2
        .value_kind:     hidden_group_size_y
      - .offset:         48
        .size:           2
        .value_kind:     hidden_group_size_z
      - .offset:         50
        .size:           2
        .value_kind:     hidden_remainder_x
      - .offset:         52
        .size:           2
        .value_kind:     hidden_remainder_y
      - .offset:         54
        .size:           2
        .value_kind:     hidden_remainder_z
      - .offset:         72
        .size:           8
        .value_kind:     hidden_global_offset_x
      - .offset:         80
        .size:           8
        .value_kind:     hidden_global_offset_y
      - .offset:         88
        .size:           8
        .value_kind:     hidden_global_offset_z
      - .offset:         96
        .size:           2
        .value_kind:     hidden_grid_dims
      - .offset:         152
        .size:           4
        .value_kind:     hidden_dynamic_lds_size
    .group_segment_fixed_size: 0
    .kernarg_segment_align: 8
    .kernarg_segment_size: 288
    .language:       OpenCL C
    .language_version:
      - 2
      - 0
    .max_flat_workgroup_size: 256
    .name:           _ZL26flash_attn_combine_resultsILi256EEvPKfPK15HIP_vector_typeIfLj2EEPfi
    .private_segment_fixed_size: 0
    .sgpr_count:     20
    .sgpr_spill_count: 0
    .symbol:         _ZL26flash_attn_combine_resultsILi256EEvPKfPK15HIP_vector_typeIfLj2EEPfi.kd
    .uniform_work_group_size: 1
    .uses_dynamic_stack: false
    .vgpr_count:     17
    .vgpr_spill_count: 0
    .wavefront_size: 64
  - .args:
      - .address_space:  global
        .offset:         0
        .size:           8
        .value_kind:     global_buffer
      - .address_space:  global
        .offset:         8
        .size:           8
        .value_kind:     global_buffer
      - .address_space:  global
        .offset:         16
        .size:           8
        .value_kind:     global_buffer
      - .address_space:  global
        .offset:         24
        .size:           8
        .value_kind:     global_buffer
      - .address_space:  global
        .offset:         32
        .size:           8
        .value_kind:     global_buffer
      - .address_space:  global
        .offset:         40
        .size:           8
        .value_kind:     global_buffer
      - .address_space:  global
        .offset:         48
        .size:           8
        .value_kind:     global_buffer
      - .address_space:  global
        .offset:         56
        .size:           8
        .value_kind:     global_buffer
      - .offset:         64
        .size:           4
        .value_kind:     by_value
      - .offset:         68
        .size:           4
        .value_kind:     by_value
      - .offset:         72
        .size:           4
        .value_kind:     by_value
      - .offset:         76
        .size:           4
        .value_kind:     by_value
      - .offset:         80
        .size:           4
        .value_kind:     by_value
      - .offset:         84
        .size:           4
        .value_kind:     by_value
      - .offset:         88
        .size:           4
        .value_kind:     by_value
      - .offset:         92
        .size:           12
        .value_kind:     by_value
      - .offset:         104
        .size:           4
        .value_kind:     by_value
      - .offset:         108
        .size:           4
        .value_kind:     by_value
      - .offset:         112
        .size:           4
        .value_kind:     by_value
      - .offset:         116
        .size:           4
        .value_kind:     by_value
      - .offset:         120
        .size:           4
        .value_kind:     by_value
      - .offset:         124
        .size:           4
        .value_kind:     by_value
      - .offset:         128
        .size:           4
        .value_kind:     by_value
      - .offset:         132
        .size:           4
        .value_kind:     by_value
      - .offset:         136
        .size:           4
        .value_kind:     by_value
      - .offset:         140
        .size:           4
        .value_kind:     by_value
      - .offset:         144
        .size:           4
        .value_kind:     by_value
      - .offset:         152
        .size:           8
        .value_kind:     by_value
      - .offset:         160
        .size:           4
        .value_kind:     by_value
      - .offset:         164
        .size:           4
        .value_kind:     by_value
      - .offset:         168
        .size:           8
        .value_kind:     by_value
      - .offset:         176
        .size:           4
        .value_kind:     by_value
      - .offset:         180
        .size:           4
        .value_kind:     by_value
      - .offset:         184
        .size:           4
        .value_kind:     by_value
      - .offset:         188
        .size:           4
        .value_kind:     by_value
      - .offset:         192
        .size:           4
        .value_kind:     by_value
      - .offset:         200
        .size:           8
        .value_kind:     by_value
      - .offset:         208
        .size:           4
        .value_kind:     hidden_block_count_x
      - .offset:         212
        .size:           4
        .value_kind:     hidden_block_count_y
      - .offset:         216
        .size:           4
        .value_kind:     hidden_block_count_z
      - .offset:         220
        .size:           2
        .value_kind:     hidden_group_size_x
      - .offset:         222
        .size:           2
        .value_kind:     hidden_group_size_y
      - .offset:         224
        .size:           2
        .value_kind:     hidden_group_size_z
      - .offset:         226
        .size:           2
        .value_kind:     hidden_remainder_x
      - .offset:         228
        .size:           2
        .value_kind:     hidden_remainder_y
      - .offset:         230
        .size:           2
        .value_kind:     hidden_remainder_z
      - .offset:         248
        .size:           8
        .value_kind:     hidden_global_offset_x
      - .offset:         256
        .size:           8
        .value_kind:     hidden_global_offset_y
      - .offset:         264
        .size:           8
        .value_kind:     hidden_global_offset_z
      - .offset:         272
        .size:           2
        .value_kind:     hidden_grid_dims
    .group_segment_fixed_size: 17920
    .kernarg_segment_align: 8
    .kernarg_segment_size: 464
    .language:       OpenCL C
    .language_version:
      - 2
      - 0
    .max_flat_workgroup_size: 256
    .name:           _ZL15flash_attn_tileILi256ELi256ELi2ELi8ELb0EEvPKcS1_S1_S1_S1_PKiPfP15HIP_vector_typeIfLj2EEffffjfiS5_IjLj3EEiiiiiiiiiiiliiliiiiil
    .private_segment_fixed_size: 0
    .sgpr_count:     48
    .sgpr_spill_count: 0
    .symbol:         _ZL15flash_attn_tileILi256ELi256ELi2ELi8ELb0EEvPKcS1_S1_S1_S1_PKiPfP15HIP_vector_typeIfLj2EEffffjfiS5_IjLj3EEiiiiiiiiiiiliiliiiiil.kd
    .uniform_work_group_size: 1
    .uses_dynamic_stack: false
    .vgpr_count:     86
    .vgpr_spill_count: 0
    .wavefront_size: 64
  - .args:
      - .actual_access:  read_only
        .address_space:  global
        .offset:         0
        .size:           8
        .value_kind:     global_buffer
      - .actual_access:  write_only
        .address_space:  global
        .offset:         8
        .size:           8
        .value_kind:     global_buffer
      - .offset:         16
        .size:           4
        .value_kind:     by_value
      - .offset:         20
        .size:           4
        .value_kind:     by_value
      - .offset:         24
        .size:           4
        .value_kind:     by_value
      - .offset:         32
        .size:           4
        .value_kind:     hidden_block_count_x
      - .offset:         36
        .size:           4
        .value_kind:     hidden_block_count_y
      - .offset:         40
        .size:           4
        .value_kind:     hidden_block_count_z
      - .offset:         44
        .size:           2
        .value_kind:     hidden_group_size_x
      - .offset:         46
        .size:           2
        .value_kind:     hidden_group_size_y
      - .offset:         48
        .size:           2
        .value_kind:     hidden_group_size_z
      - .offset:         50
        .size:           2
        .value_kind:     hidden_remainder_x
      - .offset:         52
        .size:           2
        .value_kind:     hidden_remainder_y
      - .offset:         54
        .size:           2
        .value_kind:     hidden_remainder_z
      - .offset:         72
        .size:           8
        .value_kind:     hidden_global_offset_x
      - .offset:         80
        .size:           8
        .value_kind:     hidden_global_offset_y
      - .offset:         88
        .size:           8
        .value_kind:     hidden_global_offset_z
      - .offset:         96
        .size:           2
        .value_kind:     hidden_grid_dims
    .group_segment_fixed_size: 128
    .kernarg_segment_align: 8
    .kernarg_segment_size: 288
    .language:       OpenCL C
    .language_version:
      - 2
      - 0
    .max_flat_workgroup_size: 128
    .name:           _ZL25flash_attn_mask_to_KV_maxILi2EEvPK7__half2Piiii
    .private_segment_fixed_size: 0
    .sgpr_count:     26
    .sgpr_spill_count: 0
    .symbol:         _ZL25flash_attn_mask_to_KV_maxILi2EEvPK7__half2Piiii.kd
    .uniform_work_group_size: 1
    .uses_dynamic_stack: false
    .vgpr_count:     17
    .vgpr_spill_count: 0
    .wavefront_size: 64
  - .args:
      - .address_space:  global
        .offset:         0
        .size:           8
        .value_kind:     global_buffer
      - .address_space:  global
        .offset:         8
        .size:           8
        .value_kind:     global_buffer
      - .offset:         16
        .size:           4
        .value_kind:     by_value
      - .offset:         20
        .size:           4
        .value_kind:     by_value
      - .offset:         24
        .size:           4
        .value_kind:     by_value
      - .offset:         28
        .size:           4
        .value_kind:     by_value
      - .offset:         32
        .size:           4
        .value_kind:     by_value
      - .offset:         36
        .size:           4
        .value_kind:     by_value
      - .offset:         40
        .size:           12
        .value_kind:     by_value
      - .offset:         52
        .size:           12
        .value_kind:     by_value
      - .offset:         64
        .size:           12
        .value_kind:     by_value
    .group_segment_fixed_size: 0
    .kernarg_segment_align: 8
    .kernarg_segment_size: 76
    .language:       OpenCL C
    .language_version:
      - 2
      - 0
    .max_flat_workgroup_size: 256
    .name:           _ZL33flash_attn_stream_k_fixup_uniformILi256ELi2ELi8EEvPfPK15HIP_vector_typeIfLj2EEiiiiiiS1_IjLj3EES5_S5_
    .private_segment_fixed_size: 0
    .sgpr_count:     24
    .sgpr_spill_count: 0
    .symbol:         _ZL33flash_attn_stream_k_fixup_uniformILi256ELi2ELi8EEvPfPK15HIP_vector_typeIfLj2EEiiiiiiS1_IjLj3EES5_S5_.kd
    .uniform_work_group_size: 1
    .uses_dynamic_stack: false
    .vgpr_count:     17
    .vgpr_spill_count: 0
    .wavefront_size: 64
  - .args:
      - .address_space:  global
        .offset:         0
        .size:           8
        .value_kind:     global_buffer
      - .address_space:  global
        .offset:         8
        .size:           8
        .value_kind:     global_buffer
      - .offset:         16
        .size:           4
        .value_kind:     by_value
      - .offset:         20
        .size:           4
        .value_kind:     by_value
      - .offset:         24
        .size:           4
        .value_kind:     by_value
      - .offset:         28
        .size:           4
        .value_kind:     by_value
      - .offset:         32
        .size:           12
        .value_kind:     by_value
      - .offset:         44
        .size:           12
        .value_kind:     by_value
      - .offset:         56
        .size:           12
        .value_kind:     by_value
      - .offset:         68
        .size:           12
        .value_kind:     by_value
      - .offset:         80
        .size:           4
        .value_kind:     hidden_block_count_x
      - .offset:         84
        .size:           4
        .value_kind:     hidden_block_count_y
      - .offset:         88
        .size:           4
        .value_kind:     hidden_block_count_z
      - .offset:         92
        .size:           2
        .value_kind:     hidden_group_size_x
      - .offset:         94
        .size:           2
        .value_kind:     hidden_group_size_y
      - .offset:         96
        .size:           2
        .value_kind:     hidden_group_size_z
      - .offset:         98
        .size:           2
        .value_kind:     hidden_remainder_x
      - .offset:         100
        .size:           2
        .value_kind:     hidden_remainder_y
      - .offset:         102
        .size:           2
        .value_kind:     hidden_remainder_z
      - .offset:         120
        .size:           8
        .value_kind:     hidden_global_offset_x
      - .offset:         128
        .size:           8
        .value_kind:     hidden_global_offset_y
      - .offset:         136
        .size:           8
        .value_kind:     hidden_global_offset_z
      - .offset:         144
        .size:           2
        .value_kind:     hidden_grid_dims
    .group_segment_fixed_size: 0
    .kernarg_segment_align: 8
    .kernarg_segment_size: 336
    .language:       OpenCL C
    .language_version:
      - 2
      - 0
    .max_flat_workgroup_size: 256
    .name:           _ZL33flash_attn_stream_k_fixup_generalILi256ELi2ELi8EEvPfPK15HIP_vector_typeIfLj2EEiiiiS1_IjLj3EES5_S5_S5_
    .private_segment_fixed_size: 0
    .sgpr_count:     40
    .sgpr_spill_count: 0
    .symbol:         _ZL33flash_attn_stream_k_fixup_generalILi256ELi2ELi8EEvPfPK15HIP_vector_typeIfLj2EEiiiiS1_IjLj3EES5_S5_S5_.kd
    .uniform_work_group_size: 1
    .uses_dynamic_stack: false
    .vgpr_count:     18
    .vgpr_spill_count: 0
    .wavefront_size: 64
  - .args:
      - .address_space:  global
        .offset:         0
        .size:           8
        .value_kind:     global_buffer
      - .address_space:  global
        .offset:         8
        .size:           8
        .value_kind:     global_buffer
      - .address_space:  global
        .offset:         16
        .size:           8
        .value_kind:     global_buffer
      - .address_space:  global
        .offset:         24
        .size:           8
        .value_kind:     global_buffer
      - .address_space:  global
        .offset:         32
        .size:           8
        .value_kind:     global_buffer
      - .address_space:  global
        .offset:         40
        .size:           8
        .value_kind:     global_buffer
      - .address_space:  global
        .offset:         48
        .size:           8
        .value_kind:     global_buffer
      - .address_space:  global
        .offset:         56
        .size:           8
        .value_kind:     global_buffer
      - .offset:         64
        .size:           4
        .value_kind:     by_value
      - .offset:         68
        .size:           4
        .value_kind:     by_value
      - .offset:         72
        .size:           4
        .value_kind:     by_value
      - .offset:         76
        .size:           4
        .value_kind:     by_value
      - .offset:         80
        .size:           4
        .value_kind:     by_value
      - .offset:         84
        .size:           4
        .value_kind:     by_value
      - .offset:         88
        .size:           4
        .value_kind:     by_value
      - .offset:         92
        .size:           12
        .value_kind:     by_value
      - .offset:         104
        .size:           4
        .value_kind:     by_value
      - .offset:         108
        .size:           4
        .value_kind:     by_value
      - .offset:         112
        .size:           4
        .value_kind:     by_value
      - .offset:         116
        .size:           4
        .value_kind:     by_value
      - .offset:         120
        .size:           4
        .value_kind:     by_value
      - .offset:         124
        .size:           4
        .value_kind:     by_value
      - .offset:         128
        .size:           4
        .value_kind:     by_value
      - .offset:         132
        .size:           4
        .value_kind:     by_value
      - .offset:         136
        .size:           4
        .value_kind:     by_value
      - .offset:         140
        .size:           4
        .value_kind:     by_value
      - .offset:         144
        .size:           4
        .value_kind:     by_value
      - .offset:         152
        .size:           8
        .value_kind:     by_value
      - .offset:         160
        .size:           4
        .value_kind:     by_value
      - .offset:         164
        .size:           4
        .value_kind:     by_value
      - .offset:         168
        .size:           8
        .value_kind:     by_value
      - .offset:         176
        .size:           4
        .value_kind:     by_value
      - .offset:         180
        .size:           4
        .value_kind:     by_value
      - .offset:         184
        .size:           4
        .value_kind:     by_value
      - .offset:         188
        .size:           4
        .value_kind:     by_value
      - .offset:         192
        .size:           4
        .value_kind:     by_value
      - .offset:         200
        .size:           8
        .value_kind:     by_value
      - .offset:         208
        .size:           4
        .value_kind:     hidden_block_count_x
      - .offset:         212
        .size:           4
        .value_kind:     hidden_block_count_y
      - .offset:         216
        .size:           4
        .value_kind:     hidden_block_count_z
      - .offset:         220
        .size:           2
        .value_kind:     hidden_group_size_x
      - .offset:         222
        .size:           2
        .value_kind:     hidden_group_size_y
      - .offset:         224
        .size:           2
        .value_kind:     hidden_group_size_z
      - .offset:         226
        .size:           2
        .value_kind:     hidden_remainder_x
      - .offset:         228
        .size:           2
        .value_kind:     hidden_remainder_y
      - .offset:         230
        .size:           2
        .value_kind:     hidden_remainder_z
      - .offset:         248
        .size:           8
        .value_kind:     hidden_global_offset_x
      - .offset:         256
        .size:           8
        .value_kind:     hidden_global_offset_y
      - .offset:         264
        .size:           8
        .value_kind:     hidden_global_offset_z
      - .offset:         272
        .size:           2
        .value_kind:     hidden_grid_dims
    .group_segment_fixed_size: 22528
    .kernarg_segment_align: 8
    .kernarg_segment_size: 464
    .language:       OpenCL C
    .language_version:
      - 2
      - 0
    .max_flat_workgroup_size: 256
    .name:           _ZL15flash_attn_tileILi256ELi256ELi1ELi8ELb0EEvPKcS1_S1_S1_S1_PKiPfP15HIP_vector_typeIfLj2EEffffjfiS5_IjLj3EEiiiiiiiiiiiliiliiiiil
    .private_segment_fixed_size: 0
    .sgpr_count:     43
    .sgpr_spill_count: 0
    .symbol:         _ZL15flash_attn_tileILi256ELi256ELi1ELi8ELb0EEvPKcS1_S1_S1_S1_PKiPfP15HIP_vector_typeIfLj2EEffffjfiS5_IjLj3EEiiiiiiiiiiiliiliiiiil.kd
    .uniform_work_group_size: 1
    .uses_dynamic_stack: false
    .vgpr_count:     128
    .vgpr_spill_count: 0
    .wavefront_size: 64
  - .args:
      - .actual_access:  read_only
        .address_space:  global
        .offset:         0
        .size:           8
        .value_kind:     global_buffer
      - .actual_access:  write_only
        .address_space:  global
        .offset:         8
        .size:           8
        .value_kind:     global_buffer
      - .offset:         16
        .size:           4
        .value_kind:     by_value
      - .offset:         20
        .size:           4
        .value_kind:     by_value
      - .offset:         24
        .size:           4
        .value_kind:     by_value
      - .offset:         32
        .size:           4
        .value_kind:     hidden_block_count_x
      - .offset:         36
        .size:           4
        .value_kind:     hidden_block_count_y
      - .offset:         40
        .size:           4
        .value_kind:     hidden_block_count_z
      - .offset:         44
        .size:           2
        .value_kind:     hidden_group_size_x
      - .offset:         46
        .size:           2
        .value_kind:     hidden_group_size_y
      - .offset:         48
        .size:           2
        .value_kind:     hidden_group_size_z
      - .offset:         50
        .size:           2
        .value_kind:     hidden_remainder_x
      - .offset:         52
        .size:           2
        .value_kind:     hidden_remainder_y
      - .offset:         54
        .size:           2
        .value_kind:     hidden_remainder_z
      - .offset:         72
        .size:           8
        .value_kind:     hidden_global_offset_x
      - .offset:         80
        .size:           8
        .value_kind:     hidden_global_offset_y
      - .offset:         88
        .size:           8
        .value_kind:     hidden_global_offset_z
      - .offset:         96
        .size:           2
        .value_kind:     hidden_grid_dims
    .group_segment_fixed_size: 128
    .kernarg_segment_align: 8
    .kernarg_segment_size: 288
    .language:       OpenCL C
    .language_version:
      - 2
      - 0
    .max_flat_workgroup_size: 128
    .name:           _ZL25flash_attn_mask_to_KV_maxILi1EEvPK7__half2Piiii
    .private_segment_fixed_size: 0
    .sgpr_count:     22
    .sgpr_spill_count: 0
    .symbol:         _ZL25flash_attn_mask_to_KV_maxILi1EEvPK7__half2Piiii.kd
    .uniform_work_group_size: 1
    .uses_dynamic_stack: false
    .vgpr_count:     17
    .vgpr_spill_count: 0
    .wavefront_size: 64
  - .args:
      - .address_space:  global
        .offset:         0
        .size:           8
        .value_kind:     global_buffer
      - .address_space:  global
        .offset:         8
        .size:           8
        .value_kind:     global_buffer
      - .offset:         16
        .size:           4
        .value_kind:     by_value
      - .offset:         20
        .size:           4
        .value_kind:     by_value
      - .offset:         24
        .size:           4
        .value_kind:     by_value
      - .offset:         28
        .size:           4
        .value_kind:     by_value
      - .offset:         32
        .size:           4
        .value_kind:     by_value
      - .offset:         36
        .size:           4
        .value_kind:     by_value
      - .offset:         40
        .size:           12
        .value_kind:     by_value
      - .offset:         52
        .size:           12
        .value_kind:     by_value
      - .offset:         64
        .size:           12
        .value_kind:     by_value
    .group_segment_fixed_size: 0
    .kernarg_segment_align: 8
    .kernarg_segment_size: 76
    .language:       OpenCL C
    .language_version:
      - 2
      - 0
    .max_flat_workgroup_size: 256
    .name:           _ZL33flash_attn_stream_k_fixup_uniformILi256ELi1ELi8EEvPfPK15HIP_vector_typeIfLj2EEiiiiiiS1_IjLj3EES5_S5_
    .private_segment_fixed_size: 0
    .sgpr_count:     24
    .sgpr_spill_count: 0
    .symbol:         _ZL33flash_attn_stream_k_fixup_uniformILi256ELi1ELi8EEvPfPK15HIP_vector_typeIfLj2EEiiiiiiS1_IjLj3EES5_S5_.kd
    .uniform_work_group_size: 1
    .uses_dynamic_stack: false
    .vgpr_count:     17
    .vgpr_spill_count: 0
    .wavefront_size: 64
  - .args:
      - .address_space:  global
        .offset:         0
        .size:           8
        .value_kind:     global_buffer
      - .address_space:  global
        .offset:         8
        .size:           8
        .value_kind:     global_buffer
      - .offset:         16
        .size:           4
        .value_kind:     by_value
      - .offset:         20
        .size:           4
        .value_kind:     by_value
      - .offset:         24
        .size:           4
        .value_kind:     by_value
      - .offset:         28
        .size:           4
        .value_kind:     by_value
      - .offset:         32
        .size:           12
        .value_kind:     by_value
      - .offset:         44
        .size:           12
        .value_kind:     by_value
      - .offset:         56
        .size:           12
        .value_kind:     by_value
      - .offset:         68
        .size:           12
        .value_kind:     by_value
      - .offset:         80
        .size:           4
        .value_kind:     hidden_block_count_x
      - .offset:         84
        .size:           4
        .value_kind:     hidden_block_count_y
      - .offset:         88
        .size:           4
        .value_kind:     hidden_block_count_z
      - .offset:         92
        .size:           2
        .value_kind:     hidden_group_size_x
      - .offset:         94
        .size:           2
        .value_kind:     hidden_group_size_y
      - .offset:         96
        .size:           2
        .value_kind:     hidden_group_size_z
      - .offset:         98
        .size:           2
        .value_kind:     hidden_remainder_x
      - .offset:         100
        .size:           2
        .value_kind:     hidden_remainder_y
      - .offset:         102
        .size:           2
        .value_kind:     hidden_remainder_z
      - .offset:         120
        .size:           8
        .value_kind:     hidden_global_offset_x
      - .offset:         128
        .size:           8
        .value_kind:     hidden_global_offset_y
      - .offset:         136
        .size:           8
        .value_kind:     hidden_global_offset_z
      - .offset:         144
        .size:           2
        .value_kind:     hidden_grid_dims
    .group_segment_fixed_size: 0
    .kernarg_segment_align: 8
    .kernarg_segment_size: 336
    .language:       OpenCL C
    .language_version:
      - 2
      - 0
    .max_flat_workgroup_size: 256
    .name:           _ZL33flash_attn_stream_k_fixup_generalILi256ELi1ELi8EEvPfPK15HIP_vector_typeIfLj2EEiiiiS1_IjLj3EES5_S5_S5_
    .private_segment_fixed_size: 0
    .sgpr_count:     41
    .sgpr_spill_count: 0
    .symbol:         _ZL33flash_attn_stream_k_fixup_generalILi256ELi1ELi8EEvPfPK15HIP_vector_typeIfLj2EEiiiiS1_IjLj3EES5_S5_S5_.kd
    .uniform_work_group_size: 1
    .uses_dynamic_stack: false
    .vgpr_count:     18
    .vgpr_spill_count: 0
    .wavefront_size: 64
  - .args:
      - .address_space:  global
        .offset:         0
        .size:           8
        .value_kind:     global_buffer
      - .address_space:  global
        .offset:         8
        .size:           8
        .value_kind:     global_buffer
      - .address_space:  global
        .offset:         16
        .size:           8
        .value_kind:     global_buffer
      - .address_space:  global
        .offset:         24
        .size:           8
        .value_kind:     global_buffer
      - .address_space:  global
        .offset:         32
        .size:           8
        .value_kind:     global_buffer
      - .address_space:  global
        .offset:         40
        .size:           8
        .value_kind:     global_buffer
      - .address_space:  global
        .offset:         48
        .size:           8
        .value_kind:     global_buffer
      - .address_space:  global
        .offset:         56
        .size:           8
        .value_kind:     global_buffer
      - .offset:         64
        .size:           4
        .value_kind:     by_value
      - .offset:         68
        .size:           4
        .value_kind:     by_value
      - .offset:         72
        .size:           4
        .value_kind:     by_value
      - .offset:         76
        .size:           4
        .value_kind:     by_value
      - .offset:         80
        .size:           4
        .value_kind:     by_value
      - .offset:         84
        .size:           4
        .value_kind:     by_value
      - .offset:         88
        .size:           4
        .value_kind:     by_value
      - .offset:         92
        .size:           12
        .value_kind:     by_value
      - .offset:         104
        .size:           4
        .value_kind:     by_value
      - .offset:         108
        .size:           4
        .value_kind:     by_value
      - .offset:         112
        .size:           4
        .value_kind:     by_value
      - .offset:         116
        .size:           4
        .value_kind:     by_value
      - .offset:         120
        .size:           4
        .value_kind:     by_value
      - .offset:         124
        .size:           4
        .value_kind:     by_value
      - .offset:         128
        .size:           4
        .value_kind:     by_value
      - .offset:         132
        .size:           4
        .value_kind:     by_value
      - .offset:         136
        .size:           4
        .value_kind:     by_value
      - .offset:         140
        .size:           4
        .value_kind:     by_value
      - .offset:         144
        .size:           4
        .value_kind:     by_value
      - .offset:         152
        .size:           8
        .value_kind:     by_value
      - .offset:         160
        .size:           4
        .value_kind:     by_value
      - .offset:         164
        .size:           4
        .value_kind:     by_value
      - .offset:         168
        .size:           8
        .value_kind:     by_value
      - .offset:         176
        .size:           4
        .value_kind:     by_value
      - .offset:         180
        .size:           4
        .value_kind:     by_value
      - .offset:         184
        .size:           4
        .value_kind:     by_value
      - .offset:         188
        .size:           4
        .value_kind:     by_value
      - .offset:         192
        .size:           4
        .value_kind:     by_value
      - .offset:         200
        .size:           8
        .value_kind:     by_value
      - .offset:         208
        .size:           4
        .value_kind:     hidden_block_count_x
      - .offset:         212
        .size:           4
        .value_kind:     hidden_block_count_y
      - .offset:         216
        .size:           4
        .value_kind:     hidden_block_count_z
      - .offset:         220
        .size:           2
        .value_kind:     hidden_group_size_x
      - .offset:         222
        .size:           2
        .value_kind:     hidden_group_size_y
      - .offset:         224
        .size:           2
        .value_kind:     hidden_group_size_z
      - .offset:         226
        .size:           2
        .value_kind:     hidden_remainder_x
      - .offset:         228
        .size:           2
        .value_kind:     hidden_remainder_y
      - .offset:         230
        .size:           2
        .value_kind:     hidden_remainder_z
      - .offset:         248
        .size:           8
        .value_kind:     hidden_global_offset_x
      - .offset:         256
        .size:           8
        .value_kind:     hidden_global_offset_y
      - .offset:         264
        .size:           8
        .value_kind:     hidden_global_offset_z
      - .offset:         272
        .size:           2
        .value_kind:     hidden_grid_dims
    .group_segment_fixed_size: 27136
    .kernarg_segment_align: 8
    .kernarg_segment_size: 464
    .language:       OpenCL C
    .language_version:
      - 2
      - 0
    .max_flat_workgroup_size: 256
    .name:           _ZL15flash_attn_tileILi256ELi256ELi8ELi4ELb0EEvPKcS1_S1_S1_S1_PKiPfP15HIP_vector_typeIfLj2EEffffjfiS5_IjLj3EEiiiiiiiiiiiliiliiiiil
    .private_segment_fixed_size: 16
    .sgpr_count:     52
    .sgpr_spill_count: 0
    .symbol:         _ZL15flash_attn_tileILi256ELi256ELi8ELi4ELb0EEvPKcS1_S1_S1_S1_PKiPfP15HIP_vector_typeIfLj2EEffffjfiS5_IjLj3EEiiiiiiiiiiiliiliiiiil.kd
    .uniform_work_group_size: 1
    .uses_dynamic_stack: false
    .vgpr_count:     128
    .vgpr_spill_count: 3
    .wavefront_size: 64
  - .args:
      - .actual_access:  read_only
        .address_space:  global
        .offset:         0
        .size:           8
        .value_kind:     global_buffer
      - .actual_access:  write_only
        .address_space:  global
        .offset:         8
        .size:           8
        .value_kind:     global_buffer
      - .offset:         16
        .size:           4
        .value_kind:     by_value
      - .offset:         20
        .size:           4
        .value_kind:     by_value
      - .offset:         24
        .size:           4
        .value_kind:     by_value
      - .offset:         32
        .size:           4
        .value_kind:     hidden_block_count_x
      - .offset:         36
        .size:           4
        .value_kind:     hidden_block_count_y
      - .offset:         40
        .size:           4
        .value_kind:     hidden_block_count_z
      - .offset:         44
        .size:           2
        .value_kind:     hidden_group_size_x
      - .offset:         46
        .size:           2
        .value_kind:     hidden_group_size_y
      - .offset:         48
        .size:           2
        .value_kind:     hidden_group_size_z
      - .offset:         50
        .size:           2
        .value_kind:     hidden_remainder_x
      - .offset:         52
        .size:           2
        .value_kind:     hidden_remainder_y
      - .offset:         54
        .size:           2
        .value_kind:     hidden_remainder_z
      - .offset:         72
        .size:           8
        .value_kind:     hidden_global_offset_x
      - .offset:         80
        .size:           8
        .value_kind:     hidden_global_offset_y
      - .offset:         88
        .size:           8
        .value_kind:     hidden_global_offset_z
      - .offset:         96
        .size:           2
        .value_kind:     hidden_grid_dims
    .group_segment_fixed_size: 128
    .kernarg_segment_align: 8
    .kernarg_segment_size: 288
    .language:       OpenCL C
    .language_version:
      - 2
      - 0
    .max_flat_workgroup_size: 128
    .name:           _ZL25flash_attn_mask_to_KV_maxILi8EEvPK7__half2Piiii
    .private_segment_fixed_size: 0
    .sgpr_count:     50
    .sgpr_spill_count: 0
    .symbol:         _ZL25flash_attn_mask_to_KV_maxILi8EEvPK7__half2Piiii.kd
    .uniform_work_group_size: 1
    .uses_dynamic_stack: false
    .vgpr_count:     12
    .vgpr_spill_count: 0
    .wavefront_size: 64
  - .args:
      - .address_space:  global
        .offset:         0
        .size:           8
        .value_kind:     global_buffer
      - .address_space:  global
        .offset:         8
        .size:           8
        .value_kind:     global_buffer
      - .offset:         16
        .size:           4
        .value_kind:     by_value
      - .offset:         20
        .size:           4
        .value_kind:     by_value
      - .offset:         24
        .size:           4
        .value_kind:     by_value
      - .offset:         28
        .size:           4
        .value_kind:     by_value
      - .offset:         32
        .size:           4
        .value_kind:     by_value
      - .offset:         36
        .size:           4
        .value_kind:     by_value
      - .offset:         40
        .size:           12
        .value_kind:     by_value
      - .offset:         52
        .size:           12
        .value_kind:     by_value
      - .offset:         64
        .size:           12
        .value_kind:     by_value
    .group_segment_fixed_size: 0
    .kernarg_segment_align: 8
    .kernarg_segment_size: 76
    .language:       OpenCL C
    .language_version:
      - 2
      - 0
    .max_flat_workgroup_size: 256
    .name:           _ZL33flash_attn_stream_k_fixup_uniformILi256ELi8ELi4EEvPfPK15HIP_vector_typeIfLj2EEiiiiiiS1_IjLj3EES5_S5_
    .private_segment_fixed_size: 0
    .sgpr_count:     24
    .sgpr_spill_count: 0
    .symbol:         _ZL33flash_attn_stream_k_fixup_uniformILi256ELi8ELi4EEvPfPK15HIP_vector_typeIfLj2EEiiiiiiS1_IjLj3EES5_S5_.kd
    .uniform_work_group_size: 1
    .uses_dynamic_stack: false
    .vgpr_count:     17
    .vgpr_spill_count: 0
    .wavefront_size: 64
  - .args:
      - .address_space:  global
        .offset:         0
        .size:           8
        .value_kind:     global_buffer
      - .address_space:  global
        .offset:         8
        .size:           8
        .value_kind:     global_buffer
      - .offset:         16
        .size:           4
        .value_kind:     by_value
      - .offset:         20
        .size:           4
        .value_kind:     by_value
      - .offset:         24
        .size:           4
        .value_kind:     by_value
      - .offset:         28
        .size:           4
        .value_kind:     by_value
      - .offset:         32
        .size:           12
        .value_kind:     by_value
      - .offset:         44
        .size:           12
        .value_kind:     by_value
      - .offset:         56
        .size:           12
        .value_kind:     by_value
      - .offset:         68
        .size:           12
        .value_kind:     by_value
      - .offset:         80
        .size:           4
        .value_kind:     hidden_block_count_x
      - .offset:         84
        .size:           4
        .value_kind:     hidden_block_count_y
      - .offset:         88
        .size:           4
        .value_kind:     hidden_block_count_z
      - .offset:         92
        .size:           2
        .value_kind:     hidden_group_size_x
      - .offset:         94
        .size:           2
        .value_kind:     hidden_group_size_y
      - .offset:         96
        .size:           2
        .value_kind:     hidden_group_size_z
      - .offset:         98
        .size:           2
        .value_kind:     hidden_remainder_x
      - .offset:         100
        .size:           2
        .value_kind:     hidden_remainder_y
      - .offset:         102
        .size:           2
        .value_kind:     hidden_remainder_z
      - .offset:         120
        .size:           8
        .value_kind:     hidden_global_offset_x
      - .offset:         128
        .size:           8
        .value_kind:     hidden_global_offset_y
      - .offset:         136
        .size:           8
        .value_kind:     hidden_global_offset_z
      - .offset:         144
        .size:           2
        .value_kind:     hidden_grid_dims
    .group_segment_fixed_size: 0
    .kernarg_segment_align: 8
    .kernarg_segment_size: 336
    .language:       OpenCL C
    .language_version:
      - 2
      - 0
    .max_flat_workgroup_size: 256
    .name:           _ZL33flash_attn_stream_k_fixup_generalILi256ELi8ELi4EEvPfPK15HIP_vector_typeIfLj2EEiiiiS1_IjLj3EES5_S5_S5_
    .private_segment_fixed_size: 0
    .sgpr_count:     40
    .sgpr_spill_count: 0
    .symbol:         _ZL33flash_attn_stream_k_fixup_generalILi256ELi8ELi4EEvPfPK15HIP_vector_typeIfLj2EEiiiiS1_IjLj3EES5_S5_S5_.kd
    .uniform_work_group_size: 1
    .uses_dynamic_stack: false
    .vgpr_count:     18
    .vgpr_spill_count: 0
    .wavefront_size: 64
  - .args:
      - .address_space:  global
        .offset:         0
        .size:           8
        .value_kind:     global_buffer
      - .address_space:  global
        .offset:         8
        .size:           8
        .value_kind:     global_buffer
      - .address_space:  global
        .offset:         16
        .size:           8
        .value_kind:     global_buffer
      - .address_space:  global
        .offset:         24
        .size:           8
        .value_kind:     global_buffer
      - .address_space:  global
        .offset:         32
        .size:           8
        .value_kind:     global_buffer
      - .address_space:  global
        .offset:         40
        .size:           8
        .value_kind:     global_buffer
      - .address_space:  global
        .offset:         48
        .size:           8
        .value_kind:     global_buffer
      - .address_space:  global
        .offset:         56
        .size:           8
        .value_kind:     global_buffer
      - .offset:         64
        .size:           4
        .value_kind:     by_value
      - .offset:         68
        .size:           4
        .value_kind:     by_value
      - .offset:         72
        .size:           4
        .value_kind:     by_value
      - .offset:         76
        .size:           4
        .value_kind:     by_value
      - .offset:         80
        .size:           4
        .value_kind:     by_value
      - .offset:         84
        .size:           4
        .value_kind:     by_value
      - .offset:         88
        .size:           4
        .value_kind:     by_value
      - .offset:         92
        .size:           12
        .value_kind:     by_value
      - .offset:         104
        .size:           4
        .value_kind:     by_value
      - .offset:         108
        .size:           4
        .value_kind:     by_value
      - .offset:         112
        .size:           4
        .value_kind:     by_value
      - .offset:         116
        .size:           4
        .value_kind:     by_value
      - .offset:         120
        .size:           4
        .value_kind:     by_value
      - .offset:         124
        .size:           4
        .value_kind:     by_value
      - .offset:         128
        .size:           4
        .value_kind:     by_value
      - .offset:         132
        .size:           4
        .value_kind:     by_value
      - .offset:         136
        .size:           4
        .value_kind:     by_value
      - .offset:         140
        .size:           4
        .value_kind:     by_value
      - .offset:         144
        .size:           4
        .value_kind:     by_value
      - .offset:         152
        .size:           8
        .value_kind:     by_value
      - .offset:         160
        .size:           4
        .value_kind:     by_value
      - .offset:         164
        .size:           4
        .value_kind:     by_value
      - .offset:         168
        .size:           8
        .value_kind:     by_value
      - .offset:         176
        .size:           4
        .value_kind:     by_value
      - .offset:         180
        .size:           4
        .value_kind:     by_value
      - .offset:         184
        .size:           4
        .value_kind:     by_value
      - .offset:         188
        .size:           4
        .value_kind:     by_value
      - .offset:         192
        .size:           4
        .value_kind:     by_value
      - .offset:         200
        .size:           8
        .value_kind:     by_value
      - .offset:         208
        .size:           4
        .value_kind:     hidden_block_count_x
      - .offset:         212
        .size:           4
        .value_kind:     hidden_block_count_y
      - .offset:         216
        .size:           4
        .value_kind:     hidden_block_count_z
      - .offset:         220
        .size:           2
        .value_kind:     hidden_group_size_x
      - .offset:         222
        .size:           2
        .value_kind:     hidden_group_size_y
      - .offset:         224
        .size:           2
        .value_kind:     hidden_group_size_z
      - .offset:         226
        .size:           2
        .value_kind:     hidden_remainder_x
      - .offset:         228
        .size:           2
        .value_kind:     hidden_remainder_y
      - .offset:         230
        .size:           2
        .value_kind:     hidden_remainder_z
      - .offset:         248
        .size:           8
        .value_kind:     hidden_global_offset_x
      - .offset:         256
        .size:           8
        .value_kind:     hidden_global_offset_y
      - .offset:         264
        .size:           8
        .value_kind:     hidden_global_offset_z
      - .offset:         272
        .size:           2
        .value_kind:     hidden_grid_dims
    .group_segment_fixed_size: 17920
    .kernarg_segment_align: 8
    .kernarg_segment_size: 464
    .language:       OpenCL C
    .language_version:
      - 2
      - 0
    .max_flat_workgroup_size: 256
    .name:           _ZL15flash_attn_tileILi256ELi256ELi4ELi4ELb0EEvPKcS1_S1_S1_S1_PKiPfP15HIP_vector_typeIfLj2EEffffjfiS5_IjLj3EEiiiiiiiiiiiliiliiiiil
    .private_segment_fixed_size: 0
    .sgpr_count:     48
    .sgpr_spill_count: 0
    .symbol:         _ZL15flash_attn_tileILi256ELi256ELi4ELi4ELb0EEvPKcS1_S1_S1_S1_PKiPfP15HIP_vector_typeIfLj2EEffffjfiS5_IjLj3EEiiiiiiiiiiiliiliiiiil.kd
    .uniform_work_group_size: 1
    .uses_dynamic_stack: false
    .vgpr_count:     86
    .vgpr_spill_count: 0
    .wavefront_size: 64
  - .args:
      - .address_space:  global
        .offset:         0
        .size:           8
        .value_kind:     global_buffer
      - .address_space:  global
        .offset:         8
        .size:           8
        .value_kind:     global_buffer
      - .offset:         16
        .size:           4
        .value_kind:     by_value
      - .offset:         20
        .size:           4
        .value_kind:     by_value
      - .offset:         24
        .size:           4
        .value_kind:     by_value
      - .offset:         28
        .size:           4
        .value_kind:     by_value
      - .offset:         32
        .size:           4
        .value_kind:     by_value
      - .offset:         36
        .size:           4
        .value_kind:     by_value
      - .offset:         40
        .size:           12
        .value_kind:     by_value
      - .offset:         52
        .size:           12
        .value_kind:     by_value
      - .offset:         64
        .size:           12
        .value_kind:     by_value
    .group_segment_fixed_size: 0
    .kernarg_segment_align: 8
    .kernarg_segment_size: 76
    .language:       OpenCL C
    .language_version:
      - 2
      - 0
    .max_flat_workgroup_size: 256
    .name:           _ZL33flash_attn_stream_k_fixup_uniformILi256ELi4ELi4EEvPfPK15HIP_vector_typeIfLj2EEiiiiiiS1_IjLj3EES5_S5_
    .private_segment_fixed_size: 0
    .sgpr_count:     24
    .sgpr_spill_count: 0
    .symbol:         _ZL33flash_attn_stream_k_fixup_uniformILi256ELi4ELi4EEvPfPK15HIP_vector_typeIfLj2EEiiiiiiS1_IjLj3EES5_S5_.kd
    .uniform_work_group_size: 1
    .uses_dynamic_stack: false
    .vgpr_count:     17
    .vgpr_spill_count: 0
    .wavefront_size: 64
  - .args:
      - .address_space:  global
        .offset:         0
        .size:           8
        .value_kind:     global_buffer
      - .address_space:  global
        .offset:         8
        .size:           8
        .value_kind:     global_buffer
      - .offset:         16
        .size:           4
        .value_kind:     by_value
      - .offset:         20
        .size:           4
        .value_kind:     by_value
      - .offset:         24
        .size:           4
        .value_kind:     by_value
      - .offset:         28
        .size:           4
        .value_kind:     by_value
      - .offset:         32
        .size:           12
        .value_kind:     by_value
      - .offset:         44
        .size:           12
        .value_kind:     by_value
      - .offset:         56
        .size:           12
        .value_kind:     by_value
      - .offset:         68
        .size:           12
        .value_kind:     by_value
      - .offset:         80
        .size:           4
        .value_kind:     hidden_block_count_x
      - .offset:         84
        .size:           4
        .value_kind:     hidden_block_count_y
      - .offset:         88
        .size:           4
        .value_kind:     hidden_block_count_z
      - .offset:         92
        .size:           2
        .value_kind:     hidden_group_size_x
      - .offset:         94
        .size:           2
        .value_kind:     hidden_group_size_y
      - .offset:         96
        .size:           2
        .value_kind:     hidden_group_size_z
      - .offset:         98
        .size:           2
        .value_kind:     hidden_remainder_x
      - .offset:         100
        .size:           2
        .value_kind:     hidden_remainder_y
      - .offset:         102
        .size:           2
        .value_kind:     hidden_remainder_z
      - .offset:         120
        .size:           8
        .value_kind:     hidden_global_offset_x
      - .offset:         128
        .size:           8
        .value_kind:     hidden_global_offset_y
      - .offset:         136
        .size:           8
        .value_kind:     hidden_global_offset_z
      - .offset:         144
        .size:           2
        .value_kind:     hidden_grid_dims
    .group_segment_fixed_size: 0
    .kernarg_segment_align: 8
    .kernarg_segment_size: 336
    .language:       OpenCL C
    .language_version:
      - 2
      - 0
    .max_flat_workgroup_size: 256
    .name:           _ZL33flash_attn_stream_k_fixup_generalILi256ELi4ELi4EEvPfPK15HIP_vector_typeIfLj2EEiiiiS1_IjLj3EES5_S5_S5_
    .private_segment_fixed_size: 0
    .sgpr_count:     40
    .sgpr_spill_count: 0
    .symbol:         _ZL33flash_attn_stream_k_fixup_generalILi256ELi4ELi4EEvPfPK15HIP_vector_typeIfLj2EEiiiiS1_IjLj3EES5_S5_S5_.kd
    .uniform_work_group_size: 1
    .uses_dynamic_stack: false
    .vgpr_count:     18
    .vgpr_spill_count: 0
    .wavefront_size: 64
  - .args:
      - .address_space:  global
        .offset:         0
        .size:           8
        .value_kind:     global_buffer
      - .address_space:  global
        .offset:         8
        .size:           8
        .value_kind:     global_buffer
      - .address_space:  global
        .offset:         16
        .size:           8
        .value_kind:     global_buffer
      - .address_space:  global
        .offset:         24
        .size:           8
        .value_kind:     global_buffer
      - .address_space:  global
        .offset:         32
        .size:           8
        .value_kind:     global_buffer
      - .address_space:  global
        .offset:         40
        .size:           8
        .value_kind:     global_buffer
      - .address_space:  global
        .offset:         48
        .size:           8
        .value_kind:     global_buffer
      - .address_space:  global
        .offset:         56
        .size:           8
        .value_kind:     global_buffer
      - .offset:         64
        .size:           4
        .value_kind:     by_value
      - .offset:         68
        .size:           4
        .value_kind:     by_value
      - .offset:         72
        .size:           4
        .value_kind:     by_value
      - .offset:         76
        .size:           4
        .value_kind:     by_value
      - .offset:         80
        .size:           4
        .value_kind:     by_value
      - .offset:         84
        .size:           4
        .value_kind:     by_value
      - .offset:         88
        .size:           4
        .value_kind:     by_value
      - .offset:         92
        .size:           12
        .value_kind:     by_value
      - .offset:         104
        .size:           4
        .value_kind:     by_value
      - .offset:         108
        .size:           4
        .value_kind:     by_value
      - .offset:         112
        .size:           4
        .value_kind:     by_value
      - .offset:         116
        .size:           4
        .value_kind:     by_value
      - .offset:         120
        .size:           4
        .value_kind:     by_value
      - .offset:         124
        .size:           4
        .value_kind:     by_value
      - .offset:         128
        .size:           4
        .value_kind:     by_value
      - .offset:         132
        .size:           4
        .value_kind:     by_value
      - .offset:         136
        .size:           4
        .value_kind:     by_value
      - .offset:         140
        .size:           4
        .value_kind:     by_value
      - .offset:         144
        .size:           4
        .value_kind:     by_value
      - .offset:         152
        .size:           8
        .value_kind:     by_value
      - .offset:         160
        .size:           4
        .value_kind:     by_value
      - .offset:         164
        .size:           4
        .value_kind:     by_value
      - .offset:         168
        .size:           8
        .value_kind:     by_value
      - .offset:         176
        .size:           4
        .value_kind:     by_value
      - .offset:         180
        .size:           4
        .value_kind:     by_value
      - .offset:         184
        .size:           4
        .value_kind:     by_value
      - .offset:         188
        .size:           4
        .value_kind:     by_value
      - .offset:         192
        .size:           4
        .value_kind:     by_value
      - .offset:         200
        .size:           8
        .value_kind:     by_value
      - .offset:         208
        .size:           4
        .value_kind:     hidden_block_count_x
      - .offset:         212
        .size:           4
        .value_kind:     hidden_block_count_y
      - .offset:         216
        .size:           4
        .value_kind:     hidden_block_count_z
      - .offset:         220
        .size:           2
        .value_kind:     hidden_group_size_x
      - .offset:         222
        .size:           2
        .value_kind:     hidden_group_size_y
      - .offset:         224
        .size:           2
        .value_kind:     hidden_group_size_z
      - .offset:         226
        .size:           2
        .value_kind:     hidden_remainder_x
      - .offset:         228
        .size:           2
        .value_kind:     hidden_remainder_y
      - .offset:         230
        .size:           2
        .value_kind:     hidden_remainder_z
      - .offset:         248
        .size:           8
        .value_kind:     hidden_global_offset_x
      - .offset:         256
        .size:           8
        .value_kind:     hidden_global_offset_y
      - .offset:         264
        .size:           8
        .value_kind:     hidden_global_offset_z
      - .offset:         272
        .size:           2
        .value_kind:     hidden_grid_dims
    .group_segment_fixed_size: 22528
    .kernarg_segment_align: 8
    .kernarg_segment_size: 464
    .language:       OpenCL C
    .language_version:
      - 2
      - 0
    .max_flat_workgroup_size: 256
    .name:           _ZL15flash_attn_tileILi256ELi256ELi2ELi4ELb0EEvPKcS1_S1_S1_S1_PKiPfP15HIP_vector_typeIfLj2EEffffjfiS5_IjLj3EEiiiiiiiiiiiliiliiiiil
    .private_segment_fixed_size: 0
    .sgpr_count:     43
    .sgpr_spill_count: 0
    .symbol:         _ZL15flash_attn_tileILi256ELi256ELi2ELi4ELb0EEvPKcS1_S1_S1_S1_PKiPfP15HIP_vector_typeIfLj2EEffffjfiS5_IjLj3EEiiiiiiiiiiiliiliiiiil.kd
    .uniform_work_group_size: 1
    .uses_dynamic_stack: false
    .vgpr_count:     128
    .vgpr_spill_count: 0
    .wavefront_size: 64
  - .args:
      - .address_space:  global
        .offset:         0
        .size:           8
        .value_kind:     global_buffer
      - .address_space:  global
        .offset:         8
        .size:           8
        .value_kind:     global_buffer
      - .offset:         16
        .size:           4
        .value_kind:     by_value
      - .offset:         20
        .size:           4
        .value_kind:     by_value
      - .offset:         24
        .size:           4
        .value_kind:     by_value
      - .offset:         28
        .size:           4
        .value_kind:     by_value
      - .offset:         32
        .size:           4
        .value_kind:     by_value
      - .offset:         36
        .size:           4
        .value_kind:     by_value
      - .offset:         40
        .size:           12
        .value_kind:     by_value
      - .offset:         52
        .size:           12
        .value_kind:     by_value
      - .offset:         64
        .size:           12
        .value_kind:     by_value
    .group_segment_fixed_size: 0
    .kernarg_segment_align: 8
    .kernarg_segment_size: 76
    .language:       OpenCL C
    .language_version:
      - 2
      - 0
    .max_flat_workgroup_size: 256
    .name:           _ZL33flash_attn_stream_k_fixup_uniformILi256ELi2ELi4EEvPfPK15HIP_vector_typeIfLj2EEiiiiiiS1_IjLj3EES5_S5_
    .private_segment_fixed_size: 0
    .sgpr_count:     24
    .sgpr_spill_count: 0
    .symbol:         _ZL33flash_attn_stream_k_fixup_uniformILi256ELi2ELi4EEvPfPK15HIP_vector_typeIfLj2EEiiiiiiS1_IjLj3EES5_S5_.kd
    .uniform_work_group_size: 1
    .uses_dynamic_stack: false
    .vgpr_count:     17
    .vgpr_spill_count: 0
    .wavefront_size: 64
  - .args:
      - .address_space:  global
        .offset:         0
        .size:           8
        .value_kind:     global_buffer
      - .address_space:  global
        .offset:         8
        .size:           8
        .value_kind:     global_buffer
      - .offset:         16
        .size:           4
        .value_kind:     by_value
      - .offset:         20
        .size:           4
        .value_kind:     by_value
      - .offset:         24
        .size:           4
        .value_kind:     by_value
      - .offset:         28
        .size:           4
        .value_kind:     by_value
      - .offset:         32
        .size:           12
        .value_kind:     by_value
      - .offset:         44
        .size:           12
        .value_kind:     by_value
      - .offset:         56
        .size:           12
        .value_kind:     by_value
      - .offset:         68
        .size:           12
        .value_kind:     by_value
      - .offset:         80
        .size:           4
        .value_kind:     hidden_block_count_x
      - .offset:         84
        .size:           4
        .value_kind:     hidden_block_count_y
      - .offset:         88
        .size:           4
        .value_kind:     hidden_block_count_z
      - .offset:         92
        .size:           2
        .value_kind:     hidden_group_size_x
      - .offset:         94
        .size:           2
        .value_kind:     hidden_group_size_y
      - .offset:         96
        .size:           2
        .value_kind:     hidden_group_size_z
      - .offset:         98
        .size:           2
        .value_kind:     hidden_remainder_x
      - .offset:         100
        .size:           2
        .value_kind:     hidden_remainder_y
      - .offset:         102
        .size:           2
        .value_kind:     hidden_remainder_z
      - .offset:         120
        .size:           8
        .value_kind:     hidden_global_offset_x
      - .offset:         128
        .size:           8
        .value_kind:     hidden_global_offset_y
      - .offset:         136
        .size:           8
        .value_kind:     hidden_global_offset_z
      - .offset:         144
        .size:           2
        .value_kind:     hidden_grid_dims
    .group_segment_fixed_size: 0
    .kernarg_segment_align: 8
    .kernarg_segment_size: 336
    .language:       OpenCL C
    .language_version:
      - 2
      - 0
    .max_flat_workgroup_size: 256
    .name:           _ZL33flash_attn_stream_k_fixup_generalILi256ELi2ELi4EEvPfPK15HIP_vector_typeIfLj2EEiiiiS1_IjLj3EES5_S5_S5_
    .private_segment_fixed_size: 0
    .sgpr_count:     40
    .sgpr_spill_count: 0
    .symbol:         _ZL33flash_attn_stream_k_fixup_generalILi256ELi2ELi4EEvPfPK15HIP_vector_typeIfLj2EEiiiiS1_IjLj3EES5_S5_S5_.kd
    .uniform_work_group_size: 1
    .uses_dynamic_stack: false
    .vgpr_count:     18
    .vgpr_spill_count: 0
    .wavefront_size: 64
  - .args:
      - .address_space:  global
        .offset:         0
        .size:           8
        .value_kind:     global_buffer
      - .address_space:  global
        .offset:         8
        .size:           8
        .value_kind:     global_buffer
      - .address_space:  global
        .offset:         16
        .size:           8
        .value_kind:     global_buffer
      - .address_space:  global
        .offset:         24
        .size:           8
        .value_kind:     global_buffer
      - .address_space:  global
        .offset:         32
        .size:           8
        .value_kind:     global_buffer
      - .address_space:  global
        .offset:         40
        .size:           8
        .value_kind:     global_buffer
      - .address_space:  global
        .offset:         48
        .size:           8
        .value_kind:     global_buffer
      - .address_space:  global
        .offset:         56
        .size:           8
        .value_kind:     global_buffer
      - .offset:         64
        .size:           4
        .value_kind:     by_value
      - .offset:         68
        .size:           4
        .value_kind:     by_value
      - .offset:         72
        .size:           4
        .value_kind:     by_value
      - .offset:         76
        .size:           4
        .value_kind:     by_value
      - .offset:         80
        .size:           4
        .value_kind:     by_value
      - .offset:         84
        .size:           4
        .value_kind:     by_value
      - .offset:         88
        .size:           4
        .value_kind:     by_value
      - .offset:         92
        .size:           12
        .value_kind:     by_value
      - .offset:         104
        .size:           4
        .value_kind:     by_value
      - .offset:         108
        .size:           4
        .value_kind:     by_value
      - .offset:         112
        .size:           4
        .value_kind:     by_value
      - .offset:         116
        .size:           4
        .value_kind:     by_value
      - .offset:         120
        .size:           4
        .value_kind:     by_value
      - .offset:         124
        .size:           4
        .value_kind:     by_value
      - .offset:         128
        .size:           4
        .value_kind:     by_value
      - .offset:         132
        .size:           4
        .value_kind:     by_value
      - .offset:         136
        .size:           4
        .value_kind:     by_value
      - .offset:         140
        .size:           4
        .value_kind:     by_value
      - .offset:         144
        .size:           4
        .value_kind:     by_value
      - .offset:         152
        .size:           8
        .value_kind:     by_value
      - .offset:         160
        .size:           4
        .value_kind:     by_value
      - .offset:         164
        .size:           4
        .value_kind:     by_value
      - .offset:         168
        .size:           8
        .value_kind:     by_value
      - .offset:         176
        .size:           4
        .value_kind:     by_value
      - .offset:         180
        .size:           4
        .value_kind:     by_value
      - .offset:         184
        .size:           4
        .value_kind:     by_value
      - .offset:         188
        .size:           4
        .value_kind:     by_value
      - .offset:         192
        .size:           4
        .value_kind:     by_value
      - .offset:         200
        .size:           8
        .value_kind:     by_value
      - .offset:         208
        .size:           4
        .value_kind:     hidden_block_count_x
      - .offset:         212
        .size:           4
        .value_kind:     hidden_block_count_y
      - .offset:         216
        .size:           4
        .value_kind:     hidden_block_count_z
      - .offset:         220
        .size:           2
        .value_kind:     hidden_group_size_x
      - .offset:         222
        .size:           2
        .value_kind:     hidden_group_size_y
      - .offset:         224
        .size:           2
        .value_kind:     hidden_group_size_z
      - .offset:         226
        .size:           2
        .value_kind:     hidden_remainder_x
      - .offset:         228
        .size:           2
        .value_kind:     hidden_remainder_y
      - .offset:         230
        .size:           2
        .value_kind:     hidden_remainder_z
      - .offset:         248
        .size:           8
        .value_kind:     hidden_global_offset_x
      - .offset:         256
        .size:           8
        .value_kind:     hidden_global_offset_y
      - .offset:         264
        .size:           8
        .value_kind:     hidden_global_offset_z
      - .offset:         272
        .size:           2
        .value_kind:     hidden_grid_dims
    .group_segment_fixed_size: 20000
    .kernarg_segment_align: 8
    .kernarg_segment_size: 464
    .language:       OpenCL C
    .language_version:
      - 2
      - 0
    .max_flat_workgroup_size: 256
    .name:           _ZL15flash_attn_tileILi256ELi256ELi1ELi4ELb0EEvPKcS1_S1_S1_S1_PKiPfP15HIP_vector_typeIfLj2EEffffjfiS5_IjLj3EEiiiiiiiiiiiliiliiiiil
    .private_segment_fixed_size: 0
    .sgpr_count:     45
    .sgpr_spill_count: 0
    .symbol:         _ZL15flash_attn_tileILi256ELi256ELi1ELi4ELb0EEvPKcS1_S1_S1_S1_PKiPfP15HIP_vector_typeIfLj2EEffffjfiS5_IjLj3EEiiiiiiiiiiiliiliiiiil.kd
    .uniform_work_group_size: 1
    .uses_dynamic_stack: false
    .vgpr_count:     83
    .vgpr_spill_count: 0
    .wavefront_size: 64
  - .args:
      - .address_space:  global
        .offset:         0
        .size:           8
        .value_kind:     global_buffer
      - .address_space:  global
        .offset:         8
        .size:           8
        .value_kind:     global_buffer
      - .offset:         16
        .size:           4
        .value_kind:     by_value
      - .offset:         20
        .size:           4
        .value_kind:     by_value
      - .offset:         24
        .size:           4
        .value_kind:     by_value
      - .offset:         28
        .size:           4
        .value_kind:     by_value
      - .offset:         32
        .size:           4
        .value_kind:     by_value
      - .offset:         36
        .size:           4
        .value_kind:     by_value
      - .offset:         40
        .size:           12
        .value_kind:     by_value
      - .offset:         52
        .size:           12
        .value_kind:     by_value
      - .offset:         64
        .size:           12
        .value_kind:     by_value
    .group_segment_fixed_size: 0
    .kernarg_segment_align: 8
    .kernarg_segment_size: 76
    .language:       OpenCL C
    .language_version:
      - 2
      - 0
    .max_flat_workgroup_size: 256
    .name:           _ZL33flash_attn_stream_k_fixup_uniformILi256ELi1ELi4EEvPfPK15HIP_vector_typeIfLj2EEiiiiiiS1_IjLj3EES5_S5_
    .private_segment_fixed_size: 0
    .sgpr_count:     24
    .sgpr_spill_count: 0
    .symbol:         _ZL33flash_attn_stream_k_fixup_uniformILi256ELi1ELi4EEvPfPK15HIP_vector_typeIfLj2EEiiiiiiS1_IjLj3EES5_S5_.kd
    .uniform_work_group_size: 1
    .uses_dynamic_stack: false
    .vgpr_count:     17
    .vgpr_spill_count: 0
    .wavefront_size: 64
  - .args:
      - .address_space:  global
        .offset:         0
        .size:           8
        .value_kind:     global_buffer
      - .address_space:  global
        .offset:         8
        .size:           8
        .value_kind:     global_buffer
      - .offset:         16
        .size:           4
        .value_kind:     by_value
      - .offset:         20
        .size:           4
        .value_kind:     by_value
      - .offset:         24
        .size:           4
        .value_kind:     by_value
      - .offset:         28
        .size:           4
        .value_kind:     by_value
      - .offset:         32
        .size:           12
        .value_kind:     by_value
      - .offset:         44
        .size:           12
        .value_kind:     by_value
      - .offset:         56
        .size:           12
        .value_kind:     by_value
      - .offset:         68
        .size:           12
        .value_kind:     by_value
      - .offset:         80
        .size:           4
        .value_kind:     hidden_block_count_x
      - .offset:         84
        .size:           4
        .value_kind:     hidden_block_count_y
      - .offset:         88
        .size:           4
        .value_kind:     hidden_block_count_z
      - .offset:         92
        .size:           2
        .value_kind:     hidden_group_size_x
      - .offset:         94
        .size:           2
        .value_kind:     hidden_group_size_y
      - .offset:         96
        .size:           2
        .value_kind:     hidden_group_size_z
      - .offset:         98
        .size:           2
        .value_kind:     hidden_remainder_x
      - .offset:         100
        .size:           2
        .value_kind:     hidden_remainder_y
      - .offset:         102
        .size:           2
        .value_kind:     hidden_remainder_z
      - .offset:         120
        .size:           8
        .value_kind:     hidden_global_offset_x
      - .offset:         128
        .size:           8
        .value_kind:     hidden_global_offset_y
      - .offset:         136
        .size:           8
        .value_kind:     hidden_global_offset_z
      - .offset:         144
        .size:           2
        .value_kind:     hidden_grid_dims
    .group_segment_fixed_size: 0
    .kernarg_segment_align: 8
    .kernarg_segment_size: 336
    .language:       OpenCL C
    .language_version:
      - 2
      - 0
    .max_flat_workgroup_size: 256
    .name:           _ZL33flash_attn_stream_k_fixup_generalILi256ELi1ELi4EEvPfPK15HIP_vector_typeIfLj2EEiiiiS1_IjLj3EES5_S5_S5_
    .private_segment_fixed_size: 0
    .sgpr_count:     41
    .sgpr_spill_count: 0
    .symbol:         _ZL33flash_attn_stream_k_fixup_generalILi256ELi1ELi4EEvPfPK15HIP_vector_typeIfLj2EEiiiiS1_IjLj3EES5_S5_S5_.kd
    .uniform_work_group_size: 1
    .uses_dynamic_stack: false
    .vgpr_count:     18
    .vgpr_spill_count: 0
    .wavefront_size: 64
  - .args:
      - .address_space:  global
        .offset:         0
        .size:           8
        .value_kind:     global_buffer
      - .address_space:  global
        .offset:         8
        .size:           8
        .value_kind:     global_buffer
      - .address_space:  global
        .offset:         16
        .size:           8
        .value_kind:     global_buffer
      - .address_space:  global
        .offset:         24
        .size:           8
        .value_kind:     global_buffer
      - .address_space:  global
        .offset:         32
        .size:           8
        .value_kind:     global_buffer
      - .address_space:  global
        .offset:         40
        .size:           8
        .value_kind:     global_buffer
      - .address_space:  global
        .offset:         48
        .size:           8
        .value_kind:     global_buffer
      - .address_space:  global
        .offset:         56
        .size:           8
        .value_kind:     global_buffer
      - .offset:         64
        .size:           4
        .value_kind:     by_value
      - .offset:         68
        .size:           4
        .value_kind:     by_value
      - .offset:         72
        .size:           4
        .value_kind:     by_value
      - .offset:         76
        .size:           4
        .value_kind:     by_value
      - .offset:         80
        .size:           4
        .value_kind:     by_value
      - .offset:         84
        .size:           4
        .value_kind:     by_value
      - .offset:         88
        .size:           4
        .value_kind:     by_value
      - .offset:         92
        .size:           12
        .value_kind:     by_value
      - .offset:         104
        .size:           4
        .value_kind:     by_value
      - .offset:         108
        .size:           4
        .value_kind:     by_value
      - .offset:         112
        .size:           4
        .value_kind:     by_value
      - .offset:         116
        .size:           4
        .value_kind:     by_value
      - .offset:         120
        .size:           4
        .value_kind:     by_value
      - .offset:         124
        .size:           4
        .value_kind:     by_value
      - .offset:         128
        .size:           4
        .value_kind:     by_value
      - .offset:         132
        .size:           4
        .value_kind:     by_value
      - .offset:         136
        .size:           4
        .value_kind:     by_value
      - .offset:         140
        .size:           4
        .value_kind:     by_value
      - .offset:         144
        .size:           4
        .value_kind:     by_value
      - .offset:         152
        .size:           8
        .value_kind:     by_value
      - .offset:         160
        .size:           4
        .value_kind:     by_value
      - .offset:         164
        .size:           4
        .value_kind:     by_value
      - .offset:         168
        .size:           8
        .value_kind:     by_value
      - .offset:         176
        .size:           4
        .value_kind:     by_value
      - .offset:         180
        .size:           4
        .value_kind:     by_value
      - .offset:         184
        .size:           4
        .value_kind:     by_value
      - .offset:         188
        .size:           4
        .value_kind:     by_value
      - .offset:         192
        .size:           4
        .value_kind:     by_value
      - .offset:         200
        .size:           8
        .value_kind:     by_value
      - .offset:         208
        .size:           4
        .value_kind:     hidden_block_count_x
      - .offset:         212
        .size:           4
        .value_kind:     hidden_block_count_y
      - .offset:         216
        .size:           4
        .value_kind:     hidden_block_count_z
      - .offset:         220
        .size:           2
        .value_kind:     hidden_group_size_x
      - .offset:         222
        .size:           2
        .value_kind:     hidden_group_size_y
      - .offset:         224
        .size:           2
        .value_kind:     hidden_group_size_z
      - .offset:         226
        .size:           2
        .value_kind:     hidden_remainder_x
      - .offset:         228
        .size:           2
        .value_kind:     hidden_remainder_y
      - .offset:         230
        .size:           2
        .value_kind:     hidden_remainder_z
      - .offset:         248
        .size:           8
        .value_kind:     hidden_global_offset_x
      - .offset:         256
        .size:           8
        .value_kind:     hidden_global_offset_y
      - .offset:         264
        .size:           8
        .value_kind:     hidden_global_offset_z
      - .offset:         272
        .size:           2
        .value_kind:     hidden_grid_dims
    .group_segment_fixed_size: 27136
    .kernarg_segment_align: 8
    .kernarg_segment_size: 464
    .language:       OpenCL C
    .language_version:
      - 2
      - 0
    .max_flat_workgroup_size: 256
    .name:           _ZL15flash_attn_tileILi256ELi256ELi16ELi2ELb0EEvPKcS1_S1_S1_S1_PKiPfP15HIP_vector_typeIfLj2EEffffjfiS5_IjLj3EEiiiiiiiiiiiliiliiiiil
    .private_segment_fixed_size: 0
    .sgpr_count:     46
    .sgpr_spill_count: 0
    .symbol:         _ZL15flash_attn_tileILi256ELi256ELi16ELi2ELb0EEvPKcS1_S1_S1_S1_PKiPfP15HIP_vector_typeIfLj2EEffffjfiS5_IjLj3EEiiiiiiiiiiiliiliiiiil.kd
    .uniform_work_group_size: 1
    .uses_dynamic_stack: false
    .vgpr_count:     93
    .vgpr_spill_count: 0
    .wavefront_size: 64
  - .args:
      - .actual_access:  read_only
        .address_space:  global
        .offset:         0
        .size:           8
        .value_kind:     global_buffer
      - .actual_access:  write_only
        .address_space:  global
        .offset:         8
        .size:           8
        .value_kind:     global_buffer
      - .offset:         16
        .size:           4
        .value_kind:     by_value
      - .offset:         20
        .size:           4
        .value_kind:     by_value
      - .offset:         24
        .size:           4
        .value_kind:     by_value
      - .offset:         32
        .size:           4
        .value_kind:     hidden_block_count_x
      - .offset:         36
        .size:           4
        .value_kind:     hidden_block_count_y
      - .offset:         40
        .size:           4
        .value_kind:     hidden_block_count_z
      - .offset:         44
        .size:           2
        .value_kind:     hidden_group_size_x
      - .offset:         46
        .size:           2
        .value_kind:     hidden_group_size_y
      - .offset:         48
        .size:           2
        .value_kind:     hidden_group_size_z
      - .offset:         50
        .size:           2
        .value_kind:     hidden_remainder_x
      - .offset:         52
        .size:           2
        .value_kind:     hidden_remainder_y
      - .offset:         54
        .size:           2
        .value_kind:     hidden_remainder_z
      - .offset:         72
        .size:           8
        .value_kind:     hidden_global_offset_x
      - .offset:         80
        .size:           8
        .value_kind:     hidden_global_offset_y
      - .offset:         88
        .size:           8
        .value_kind:     hidden_global_offset_z
      - .offset:         96
        .size:           2
        .value_kind:     hidden_grid_dims
    .group_segment_fixed_size: 128
    .kernarg_segment_align: 8
    .kernarg_segment_size: 288
    .language:       OpenCL C
    .language_version:
      - 2
      - 0
    .max_flat_workgroup_size: 128
    .name:           _ZL25flash_attn_mask_to_KV_maxILi16EEvPK7__half2Piiii
    .private_segment_fixed_size: 0
    .sgpr_count:     82
    .sgpr_spill_count: 0
    .symbol:         _ZL25flash_attn_mask_to_KV_maxILi16EEvPK7__half2Piiii.kd
    .uniform_work_group_size: 1
    .uses_dynamic_stack: false
    .vgpr_count:     12
    .vgpr_spill_count: 0
    .wavefront_size: 64
  - .args:
      - .address_space:  global
        .offset:         0
        .size:           8
        .value_kind:     global_buffer
      - .address_space:  global
        .offset:         8
        .size:           8
        .value_kind:     global_buffer
      - .offset:         16
        .size:           4
        .value_kind:     by_value
      - .offset:         20
        .size:           4
        .value_kind:     by_value
      - .offset:         24
        .size:           4
        .value_kind:     by_value
      - .offset:         28
        .size:           4
        .value_kind:     by_value
      - .offset:         32
        .size:           4
        .value_kind:     by_value
      - .offset:         36
        .size:           4
        .value_kind:     by_value
      - .offset:         40
        .size:           12
        .value_kind:     by_value
      - .offset:         52
        .size:           12
        .value_kind:     by_value
      - .offset:         64
        .size:           12
        .value_kind:     by_value
    .group_segment_fixed_size: 0
    .kernarg_segment_align: 8
    .kernarg_segment_size: 76
    .language:       OpenCL C
    .language_version:
      - 2
      - 0
    .max_flat_workgroup_size: 256
    .name:           _ZL33flash_attn_stream_k_fixup_uniformILi256ELi16ELi2EEvPfPK15HIP_vector_typeIfLj2EEiiiiiiS1_IjLj3EES5_S5_
    .private_segment_fixed_size: 0
    .sgpr_count:     24
    .sgpr_spill_count: 0
    .symbol:         _ZL33flash_attn_stream_k_fixup_uniformILi256ELi16ELi2EEvPfPK15HIP_vector_typeIfLj2EEiiiiiiS1_IjLj3EES5_S5_.kd
    .uniform_work_group_size: 1
    .uses_dynamic_stack: false
    .vgpr_count:     17
    .vgpr_spill_count: 0
    .wavefront_size: 64
  - .args:
      - .address_space:  global
        .offset:         0
        .size:           8
        .value_kind:     global_buffer
      - .address_space:  global
        .offset:         8
        .size:           8
        .value_kind:     global_buffer
      - .offset:         16
        .size:           4
        .value_kind:     by_value
      - .offset:         20
        .size:           4
        .value_kind:     by_value
      - .offset:         24
        .size:           4
        .value_kind:     by_value
      - .offset:         28
        .size:           4
        .value_kind:     by_value
      - .offset:         32
        .size:           12
        .value_kind:     by_value
      - .offset:         44
        .size:           12
        .value_kind:     by_value
      - .offset:         56
        .size:           12
        .value_kind:     by_value
      - .offset:         68
        .size:           12
        .value_kind:     by_value
      - .offset:         80
        .size:           4
        .value_kind:     hidden_block_count_x
      - .offset:         84
        .size:           4
        .value_kind:     hidden_block_count_y
      - .offset:         88
        .size:           4
        .value_kind:     hidden_block_count_z
      - .offset:         92
        .size:           2
        .value_kind:     hidden_group_size_x
      - .offset:         94
        .size:           2
        .value_kind:     hidden_group_size_y
      - .offset:         96
        .size:           2
        .value_kind:     hidden_group_size_z
      - .offset:         98
        .size:           2
        .value_kind:     hidden_remainder_x
      - .offset:         100
        .size:           2
        .value_kind:     hidden_remainder_y
      - .offset:         102
        .size:           2
        .value_kind:     hidden_remainder_z
      - .offset:         120
        .size:           8
        .value_kind:     hidden_global_offset_x
      - .offset:         128
        .size:           8
        .value_kind:     hidden_global_offset_y
      - .offset:         136
        .size:           8
        .value_kind:     hidden_global_offset_z
      - .offset:         144
        .size:           2
        .value_kind:     hidden_grid_dims
    .group_segment_fixed_size: 0
    .kernarg_segment_align: 8
    .kernarg_segment_size: 336
    .language:       OpenCL C
    .language_version:
      - 2
      - 0
    .max_flat_workgroup_size: 256
    .name:           _ZL33flash_attn_stream_k_fixup_generalILi256ELi16ELi2EEvPfPK15HIP_vector_typeIfLj2EEiiiiS1_IjLj3EES5_S5_S5_
    .private_segment_fixed_size: 0
    .sgpr_count:     40
    .sgpr_spill_count: 0
    .symbol:         _ZL33flash_attn_stream_k_fixup_generalILi256ELi16ELi2EEvPfPK15HIP_vector_typeIfLj2EEiiiiS1_IjLj3EES5_S5_S5_.kd
    .uniform_work_group_size: 1
    .uses_dynamic_stack: false
    .vgpr_count:     18
    .vgpr_spill_count: 0
    .wavefront_size: 64
  - .args:
      - .address_space:  global
        .offset:         0
        .size:           8
        .value_kind:     global_buffer
      - .address_space:  global
        .offset:         8
        .size:           8
        .value_kind:     global_buffer
      - .address_space:  global
        .offset:         16
        .size:           8
        .value_kind:     global_buffer
      - .address_space:  global
        .offset:         24
        .size:           8
        .value_kind:     global_buffer
      - .address_space:  global
        .offset:         32
        .size:           8
        .value_kind:     global_buffer
      - .address_space:  global
        .offset:         40
        .size:           8
        .value_kind:     global_buffer
      - .address_space:  global
        .offset:         48
        .size:           8
        .value_kind:     global_buffer
      - .address_space:  global
        .offset:         56
        .size:           8
        .value_kind:     global_buffer
      - .offset:         64
        .size:           4
        .value_kind:     by_value
      - .offset:         68
        .size:           4
        .value_kind:     by_value
      - .offset:         72
        .size:           4
        .value_kind:     by_value
      - .offset:         76
        .size:           4
        .value_kind:     by_value
      - .offset:         80
        .size:           4
        .value_kind:     by_value
      - .offset:         84
        .size:           4
        .value_kind:     by_value
      - .offset:         88
        .size:           4
        .value_kind:     by_value
      - .offset:         92
        .size:           12
        .value_kind:     by_value
      - .offset:         104
        .size:           4
        .value_kind:     by_value
      - .offset:         108
        .size:           4
        .value_kind:     by_value
      - .offset:         112
        .size:           4
        .value_kind:     by_value
      - .offset:         116
        .size:           4
        .value_kind:     by_value
      - .offset:         120
        .size:           4
        .value_kind:     by_value
      - .offset:         124
        .size:           4
        .value_kind:     by_value
      - .offset:         128
        .size:           4
        .value_kind:     by_value
      - .offset:         132
        .size:           4
        .value_kind:     by_value
      - .offset:         136
        .size:           4
        .value_kind:     by_value
      - .offset:         140
        .size:           4
        .value_kind:     by_value
      - .offset:         144
        .size:           4
        .value_kind:     by_value
      - .offset:         152
        .size:           8
        .value_kind:     by_value
      - .offset:         160
        .size:           4
        .value_kind:     by_value
      - .offset:         164
        .size:           4
        .value_kind:     by_value
      - .offset:         168
        .size:           8
        .value_kind:     by_value
      - .offset:         176
        .size:           4
        .value_kind:     by_value
      - .offset:         180
        .size:           4
        .value_kind:     by_value
      - .offset:         184
        .size:           4
        .value_kind:     by_value
      - .offset:         188
        .size:           4
        .value_kind:     by_value
      - .offset:         192
        .size:           4
        .value_kind:     by_value
      - .offset:         200
        .size:           8
        .value_kind:     by_value
      - .offset:         208
        .size:           4
        .value_kind:     hidden_block_count_x
      - .offset:         212
        .size:           4
        .value_kind:     hidden_block_count_y
      - .offset:         216
        .size:           4
        .value_kind:     hidden_block_count_z
      - .offset:         220
        .size:           2
        .value_kind:     hidden_group_size_x
      - .offset:         222
        .size:           2
        .value_kind:     hidden_group_size_y
      - .offset:         224
        .size:           2
        .value_kind:     hidden_group_size_z
      - .offset:         226
        .size:           2
        .value_kind:     hidden_remainder_x
      - .offset:         228
        .size:           2
        .value_kind:     hidden_remainder_y
      - .offset:         230
        .size:           2
        .value_kind:     hidden_remainder_z
      - .offset:         248
        .size:           8
        .value_kind:     hidden_global_offset_x
      - .offset:         256
        .size:           8
        .value_kind:     hidden_global_offset_y
      - .offset:         264
        .size:           8
        .value_kind:     hidden_global_offset_z
      - .offset:         272
        .size:           2
        .value_kind:     hidden_grid_dims
    .group_segment_fixed_size: 17920
    .kernarg_segment_align: 8
    .kernarg_segment_size: 464
    .language:       OpenCL C
    .language_version:
      - 2
      - 0
    .max_flat_workgroup_size: 256
    .name:           _ZL15flash_attn_tileILi256ELi256ELi8ELi2ELb0EEvPKcS1_S1_S1_S1_PKiPfP15HIP_vector_typeIfLj2EEffffjfiS5_IjLj3EEiiiiiiiiiiiliiliiiiil
    .private_segment_fixed_size: 0
    .sgpr_count:     43
    .sgpr_spill_count: 0
    .symbol:         _ZL15flash_attn_tileILi256ELi256ELi8ELi2ELb0EEvPKcS1_S1_S1_S1_PKiPfP15HIP_vector_typeIfLj2EEffffjfiS5_IjLj3EEiiiiiiiiiiiliiliiiiil.kd
    .uniform_work_group_size: 1
    .uses_dynamic_stack: false
    .vgpr_count:     85
    .vgpr_spill_count: 0
    .wavefront_size: 64
  - .args:
      - .address_space:  global
        .offset:         0
        .size:           8
        .value_kind:     global_buffer
      - .address_space:  global
        .offset:         8
        .size:           8
        .value_kind:     global_buffer
      - .offset:         16
        .size:           4
        .value_kind:     by_value
      - .offset:         20
        .size:           4
        .value_kind:     by_value
      - .offset:         24
        .size:           4
        .value_kind:     by_value
      - .offset:         28
        .size:           4
        .value_kind:     by_value
      - .offset:         32
        .size:           4
        .value_kind:     by_value
      - .offset:         36
        .size:           4
        .value_kind:     by_value
      - .offset:         40
        .size:           12
        .value_kind:     by_value
      - .offset:         52
        .size:           12
        .value_kind:     by_value
      - .offset:         64
        .size:           12
        .value_kind:     by_value
    .group_segment_fixed_size: 0
    .kernarg_segment_align: 8
    .kernarg_segment_size: 76
    .language:       OpenCL C
    .language_version:
      - 2
      - 0
    .max_flat_workgroup_size: 256
    .name:           _ZL33flash_attn_stream_k_fixup_uniformILi256ELi8ELi2EEvPfPK15HIP_vector_typeIfLj2EEiiiiiiS1_IjLj3EES5_S5_
    .private_segment_fixed_size: 0
    .sgpr_count:     24
    .sgpr_spill_count: 0
    .symbol:         _ZL33flash_attn_stream_k_fixup_uniformILi256ELi8ELi2EEvPfPK15HIP_vector_typeIfLj2EEiiiiiiS1_IjLj3EES5_S5_.kd
    .uniform_work_group_size: 1
    .uses_dynamic_stack: false
    .vgpr_count:     17
    .vgpr_spill_count: 0
    .wavefront_size: 64
  - .args:
      - .address_space:  global
        .offset:         0
        .size:           8
        .value_kind:     global_buffer
      - .address_space:  global
        .offset:         8
        .size:           8
        .value_kind:     global_buffer
      - .offset:         16
        .size:           4
        .value_kind:     by_value
      - .offset:         20
        .size:           4
        .value_kind:     by_value
      - .offset:         24
        .size:           4
        .value_kind:     by_value
      - .offset:         28
        .size:           4
        .value_kind:     by_value
      - .offset:         32
        .size:           12
        .value_kind:     by_value
      - .offset:         44
        .size:           12
        .value_kind:     by_value
      - .offset:         56
        .size:           12
        .value_kind:     by_value
      - .offset:         68
        .size:           12
        .value_kind:     by_value
      - .offset:         80
        .size:           4
        .value_kind:     hidden_block_count_x
      - .offset:         84
        .size:           4
        .value_kind:     hidden_block_count_y
      - .offset:         88
        .size:           4
        .value_kind:     hidden_block_count_z
      - .offset:         92
        .size:           2
        .value_kind:     hidden_group_size_x
      - .offset:         94
        .size:           2
        .value_kind:     hidden_group_size_y
      - .offset:         96
        .size:           2
        .value_kind:     hidden_group_size_z
      - .offset:         98
        .size:           2
        .value_kind:     hidden_remainder_x
      - .offset:         100
        .size:           2
        .value_kind:     hidden_remainder_y
      - .offset:         102
        .size:           2
        .value_kind:     hidden_remainder_z
      - .offset:         120
        .size:           8
        .value_kind:     hidden_global_offset_x
      - .offset:         128
        .size:           8
        .value_kind:     hidden_global_offset_y
      - .offset:         136
        .size:           8
        .value_kind:     hidden_global_offset_z
      - .offset:         144
        .size:           2
        .value_kind:     hidden_grid_dims
    .group_segment_fixed_size: 0
    .kernarg_segment_align: 8
    .kernarg_segment_size: 336
    .language:       OpenCL C
    .language_version:
      - 2
      - 0
    .max_flat_workgroup_size: 256
    .name:           _ZL33flash_attn_stream_k_fixup_generalILi256ELi8ELi2EEvPfPK15HIP_vector_typeIfLj2EEiiiiS1_IjLj3EES5_S5_S5_
    .private_segment_fixed_size: 0
    .sgpr_count:     40
    .sgpr_spill_count: 0
    .symbol:         _ZL33flash_attn_stream_k_fixup_generalILi256ELi8ELi2EEvPfPK15HIP_vector_typeIfLj2EEiiiiS1_IjLj3EES5_S5_S5_.kd
    .uniform_work_group_size: 1
    .uses_dynamic_stack: false
    .vgpr_count:     18
    .vgpr_spill_count: 0
    .wavefront_size: 64
  - .args:
      - .address_space:  global
        .offset:         0
        .size:           8
        .value_kind:     global_buffer
      - .address_space:  global
        .offset:         8
        .size:           8
        .value_kind:     global_buffer
      - .address_space:  global
        .offset:         16
        .size:           8
        .value_kind:     global_buffer
      - .address_space:  global
        .offset:         24
        .size:           8
        .value_kind:     global_buffer
      - .address_space:  global
        .offset:         32
        .size:           8
        .value_kind:     global_buffer
      - .address_space:  global
        .offset:         40
        .size:           8
        .value_kind:     global_buffer
      - .address_space:  global
        .offset:         48
        .size:           8
        .value_kind:     global_buffer
      - .address_space:  global
        .offset:         56
        .size:           8
        .value_kind:     global_buffer
      - .offset:         64
        .size:           4
        .value_kind:     by_value
      - .offset:         68
        .size:           4
        .value_kind:     by_value
      - .offset:         72
        .size:           4
        .value_kind:     by_value
      - .offset:         76
        .size:           4
        .value_kind:     by_value
      - .offset:         80
        .size:           4
        .value_kind:     by_value
      - .offset:         84
        .size:           4
        .value_kind:     by_value
      - .offset:         88
        .size:           4
        .value_kind:     by_value
      - .offset:         92
        .size:           12
        .value_kind:     by_value
      - .offset:         104
        .size:           4
        .value_kind:     by_value
      - .offset:         108
        .size:           4
        .value_kind:     by_value
      - .offset:         112
        .size:           4
        .value_kind:     by_value
      - .offset:         116
        .size:           4
        .value_kind:     by_value
      - .offset:         120
        .size:           4
        .value_kind:     by_value
      - .offset:         124
        .size:           4
        .value_kind:     by_value
      - .offset:         128
        .size:           4
        .value_kind:     by_value
      - .offset:         132
        .size:           4
        .value_kind:     by_value
      - .offset:         136
        .size:           4
        .value_kind:     by_value
      - .offset:         140
        .size:           4
        .value_kind:     by_value
      - .offset:         144
        .size:           4
        .value_kind:     by_value
      - .offset:         152
        .size:           8
        .value_kind:     by_value
      - .offset:         160
        .size:           4
        .value_kind:     by_value
      - .offset:         164
        .size:           4
        .value_kind:     by_value
      - .offset:         168
        .size:           8
        .value_kind:     by_value
      - .offset:         176
        .size:           4
        .value_kind:     by_value
      - .offset:         180
        .size:           4
        .value_kind:     by_value
      - .offset:         184
        .size:           4
        .value_kind:     by_value
      - .offset:         188
        .size:           4
        .value_kind:     by_value
      - .offset:         192
        .size:           4
        .value_kind:     by_value
      - .offset:         200
        .size:           8
        .value_kind:     by_value
      - .offset:         208
        .size:           4
        .value_kind:     hidden_block_count_x
      - .offset:         212
        .size:           4
        .value_kind:     hidden_block_count_y
      - .offset:         216
        .size:           4
        .value_kind:     hidden_block_count_z
      - .offset:         220
        .size:           2
        .value_kind:     hidden_group_size_x
      - .offset:         222
        .size:           2
        .value_kind:     hidden_group_size_y
      - .offset:         224
        .size:           2
        .value_kind:     hidden_group_size_z
      - .offset:         226
        .size:           2
        .value_kind:     hidden_remainder_x
      - .offset:         228
        .size:           2
        .value_kind:     hidden_remainder_y
      - .offset:         230
        .size:           2
        .value_kind:     hidden_remainder_z
      - .offset:         248
        .size:           8
        .value_kind:     hidden_global_offset_x
      - .offset:         256
        .size:           8
        .value_kind:     hidden_global_offset_y
      - .offset:         264
        .size:           8
        .value_kind:     hidden_global_offset_z
      - .offset:         272
        .size:           2
        .value_kind:     hidden_grid_dims
    .group_segment_fixed_size: 22528
    .kernarg_segment_align: 8
    .kernarg_segment_size: 464
    .language:       OpenCL C
    .language_version:
      - 2
      - 0
    .max_flat_workgroup_size: 256
    .name:           _ZL15flash_attn_tileILi256ELi256ELi4ELi2ELb0EEvPKcS1_S1_S1_S1_PKiPfP15HIP_vector_typeIfLj2EEffffjfiS5_IjLj3EEiiiiiiiiiiiliiliiiiil
    .private_segment_fixed_size: 0
    .sgpr_count:     43
    .sgpr_spill_count: 0
    .symbol:         _ZL15flash_attn_tileILi256ELi256ELi4ELi2ELb0EEvPKcS1_S1_S1_S1_PKiPfP15HIP_vector_typeIfLj2EEffffjfiS5_IjLj3EEiiiiiiiiiiiliiliiiiil.kd
    .uniform_work_group_size: 1
    .uses_dynamic_stack: false
    .vgpr_count:     128
    .vgpr_spill_count: 0
    .wavefront_size: 64
  - .args:
      - .address_space:  global
        .offset:         0
        .size:           8
        .value_kind:     global_buffer
      - .address_space:  global
        .offset:         8
        .size:           8
        .value_kind:     global_buffer
      - .offset:         16
        .size:           4
        .value_kind:     by_value
      - .offset:         20
        .size:           4
        .value_kind:     by_value
      - .offset:         24
        .size:           4
        .value_kind:     by_value
      - .offset:         28
        .size:           4
        .value_kind:     by_value
      - .offset:         32
        .size:           4
        .value_kind:     by_value
      - .offset:         36
        .size:           4
        .value_kind:     by_value
      - .offset:         40
        .size:           12
        .value_kind:     by_value
      - .offset:         52
        .size:           12
        .value_kind:     by_value
      - .offset:         64
        .size:           12
        .value_kind:     by_value
    .group_segment_fixed_size: 0
    .kernarg_segment_align: 8
    .kernarg_segment_size: 76
    .language:       OpenCL C
    .language_version:
      - 2
      - 0
    .max_flat_workgroup_size: 256
    .name:           _ZL33flash_attn_stream_k_fixup_uniformILi256ELi4ELi2EEvPfPK15HIP_vector_typeIfLj2EEiiiiiiS1_IjLj3EES5_S5_
    .private_segment_fixed_size: 0
    .sgpr_count:     24
    .sgpr_spill_count: 0
    .symbol:         _ZL33flash_attn_stream_k_fixup_uniformILi256ELi4ELi2EEvPfPK15HIP_vector_typeIfLj2EEiiiiiiS1_IjLj3EES5_S5_.kd
    .uniform_work_group_size: 1
    .uses_dynamic_stack: false
    .vgpr_count:     17
    .vgpr_spill_count: 0
    .wavefront_size: 64
  - .args:
      - .address_space:  global
        .offset:         0
        .size:           8
        .value_kind:     global_buffer
      - .address_space:  global
        .offset:         8
        .size:           8
        .value_kind:     global_buffer
      - .offset:         16
        .size:           4
        .value_kind:     by_value
      - .offset:         20
        .size:           4
        .value_kind:     by_value
      - .offset:         24
        .size:           4
        .value_kind:     by_value
      - .offset:         28
        .size:           4
        .value_kind:     by_value
      - .offset:         32
        .size:           12
        .value_kind:     by_value
      - .offset:         44
        .size:           12
        .value_kind:     by_value
      - .offset:         56
        .size:           12
        .value_kind:     by_value
      - .offset:         68
        .size:           12
        .value_kind:     by_value
      - .offset:         80
        .size:           4
        .value_kind:     hidden_block_count_x
      - .offset:         84
        .size:           4
        .value_kind:     hidden_block_count_y
      - .offset:         88
        .size:           4
        .value_kind:     hidden_block_count_z
      - .offset:         92
        .size:           2
        .value_kind:     hidden_group_size_x
      - .offset:         94
        .size:           2
        .value_kind:     hidden_group_size_y
      - .offset:         96
        .size:           2
        .value_kind:     hidden_group_size_z
      - .offset:         98
        .size:           2
        .value_kind:     hidden_remainder_x
      - .offset:         100
        .size:           2
        .value_kind:     hidden_remainder_y
      - .offset:         102
        .size:           2
        .value_kind:     hidden_remainder_z
      - .offset:         120
        .size:           8
        .value_kind:     hidden_global_offset_x
      - .offset:         128
        .size:           8
        .value_kind:     hidden_global_offset_y
      - .offset:         136
        .size:           8
        .value_kind:     hidden_global_offset_z
      - .offset:         144
        .size:           2
        .value_kind:     hidden_grid_dims
    .group_segment_fixed_size: 0
    .kernarg_segment_align: 8
    .kernarg_segment_size: 336
    .language:       OpenCL C
    .language_version:
      - 2
      - 0
    .max_flat_workgroup_size: 256
    .name:           _ZL33flash_attn_stream_k_fixup_generalILi256ELi4ELi2EEvPfPK15HIP_vector_typeIfLj2EEiiiiS1_IjLj3EES5_S5_S5_
    .private_segment_fixed_size: 0
    .sgpr_count:     40
    .sgpr_spill_count: 0
    .symbol:         _ZL33flash_attn_stream_k_fixup_generalILi256ELi4ELi2EEvPfPK15HIP_vector_typeIfLj2EEiiiiS1_IjLj3EES5_S5_S5_.kd
    .uniform_work_group_size: 1
    .uses_dynamic_stack: false
    .vgpr_count:     18
    .vgpr_spill_count: 0
    .wavefront_size: 64
  - .args:
      - .address_space:  global
        .offset:         0
        .size:           8
        .value_kind:     global_buffer
      - .address_space:  global
        .offset:         8
        .size:           8
        .value_kind:     global_buffer
      - .address_space:  global
        .offset:         16
        .size:           8
        .value_kind:     global_buffer
      - .address_space:  global
        .offset:         24
        .size:           8
        .value_kind:     global_buffer
      - .address_space:  global
        .offset:         32
        .size:           8
        .value_kind:     global_buffer
      - .address_space:  global
        .offset:         40
        .size:           8
        .value_kind:     global_buffer
      - .address_space:  global
        .offset:         48
        .size:           8
        .value_kind:     global_buffer
      - .address_space:  global
        .offset:         56
        .size:           8
        .value_kind:     global_buffer
      - .offset:         64
        .size:           4
        .value_kind:     by_value
      - .offset:         68
        .size:           4
        .value_kind:     by_value
      - .offset:         72
        .size:           4
        .value_kind:     by_value
      - .offset:         76
        .size:           4
        .value_kind:     by_value
      - .offset:         80
        .size:           4
        .value_kind:     by_value
      - .offset:         84
        .size:           4
        .value_kind:     by_value
      - .offset:         88
        .size:           4
        .value_kind:     by_value
      - .offset:         92
        .size:           12
        .value_kind:     by_value
      - .offset:         104
        .size:           4
        .value_kind:     by_value
      - .offset:         108
        .size:           4
        .value_kind:     by_value
      - .offset:         112
        .size:           4
        .value_kind:     by_value
      - .offset:         116
        .size:           4
        .value_kind:     by_value
      - .offset:         120
        .size:           4
        .value_kind:     by_value
      - .offset:         124
        .size:           4
        .value_kind:     by_value
      - .offset:         128
        .size:           4
        .value_kind:     by_value
      - .offset:         132
        .size:           4
        .value_kind:     by_value
      - .offset:         136
        .size:           4
        .value_kind:     by_value
      - .offset:         140
        .size:           4
        .value_kind:     by_value
      - .offset:         144
        .size:           4
        .value_kind:     by_value
      - .offset:         152
        .size:           8
        .value_kind:     by_value
      - .offset:         160
        .size:           4
        .value_kind:     by_value
      - .offset:         164
        .size:           4
        .value_kind:     by_value
      - .offset:         168
        .size:           8
        .value_kind:     by_value
      - .offset:         176
        .size:           4
        .value_kind:     by_value
      - .offset:         180
        .size:           4
        .value_kind:     by_value
      - .offset:         184
        .size:           4
        .value_kind:     by_value
      - .offset:         188
        .size:           4
        .value_kind:     by_value
      - .offset:         192
        .size:           4
        .value_kind:     by_value
      - .offset:         200
        .size:           8
        .value_kind:     by_value
      - .offset:         208
        .size:           4
        .value_kind:     hidden_block_count_x
      - .offset:         212
        .size:           4
        .value_kind:     hidden_block_count_y
      - .offset:         216
        .size:           4
        .value_kind:     hidden_block_count_z
      - .offset:         220
        .size:           2
        .value_kind:     hidden_group_size_x
      - .offset:         222
        .size:           2
        .value_kind:     hidden_group_size_y
      - .offset:         224
        .size:           2
        .value_kind:     hidden_group_size_z
      - .offset:         226
        .size:           2
        .value_kind:     hidden_remainder_x
      - .offset:         228
        .size:           2
        .value_kind:     hidden_remainder_y
      - .offset:         230
        .size:           2
        .value_kind:     hidden_remainder_z
      - .offset:         248
        .size:           8
        .value_kind:     hidden_global_offset_x
      - .offset:         256
        .size:           8
        .value_kind:     hidden_global_offset_y
      - .offset:         264
        .size:           8
        .value_kind:     hidden_global_offset_z
      - .offset:         272
        .size:           2
        .value_kind:     hidden_grid_dims
    .group_segment_fixed_size: 20000
    .kernarg_segment_align: 8
    .kernarg_segment_size: 464
    .language:       OpenCL C
    .language_version:
      - 2
      - 0
    .max_flat_workgroup_size: 256
    .name:           _ZL15flash_attn_tileILi256ELi256ELi2ELi2ELb0EEvPKcS1_S1_S1_S1_PKiPfP15HIP_vector_typeIfLj2EEffffjfiS5_IjLj3EEiiiiiiiiiiiliiliiiiil
    .private_segment_fixed_size: 0
    .sgpr_count:     43
    .sgpr_spill_count: 0
    .symbol:         _ZL15flash_attn_tileILi256ELi256ELi2ELi2ELb0EEvPKcS1_S1_S1_S1_PKiPfP15HIP_vector_typeIfLj2EEffffjfiS5_IjLj3EEiiiiiiiiiiiliiliiiiil.kd
    .uniform_work_group_size: 1
    .uses_dynamic_stack: false
    .vgpr_count:     83
    .vgpr_spill_count: 0
    .wavefront_size: 64
  - .args:
      - .address_space:  global
        .offset:         0
        .size:           8
        .value_kind:     global_buffer
      - .address_space:  global
        .offset:         8
        .size:           8
        .value_kind:     global_buffer
      - .offset:         16
        .size:           4
        .value_kind:     by_value
      - .offset:         20
        .size:           4
        .value_kind:     by_value
      - .offset:         24
        .size:           4
        .value_kind:     by_value
      - .offset:         28
        .size:           4
        .value_kind:     by_value
      - .offset:         32
        .size:           4
        .value_kind:     by_value
      - .offset:         36
        .size:           4
        .value_kind:     by_value
      - .offset:         40
        .size:           12
        .value_kind:     by_value
      - .offset:         52
        .size:           12
        .value_kind:     by_value
      - .offset:         64
        .size:           12
        .value_kind:     by_value
    .group_segment_fixed_size: 0
    .kernarg_segment_align: 8
    .kernarg_segment_size: 76
    .language:       OpenCL C
    .language_version:
      - 2
      - 0
    .max_flat_workgroup_size: 256
    .name:           _ZL33flash_attn_stream_k_fixup_uniformILi256ELi2ELi2EEvPfPK15HIP_vector_typeIfLj2EEiiiiiiS1_IjLj3EES5_S5_
    .private_segment_fixed_size: 0
    .sgpr_count:     24
    .sgpr_spill_count: 0
    .symbol:         _ZL33flash_attn_stream_k_fixup_uniformILi256ELi2ELi2EEvPfPK15HIP_vector_typeIfLj2EEiiiiiiS1_IjLj3EES5_S5_.kd
    .uniform_work_group_size: 1
    .uses_dynamic_stack: false
    .vgpr_count:     17
    .vgpr_spill_count: 0
    .wavefront_size: 64
  - .args:
      - .address_space:  global
        .offset:         0
        .size:           8
        .value_kind:     global_buffer
      - .address_space:  global
        .offset:         8
        .size:           8
        .value_kind:     global_buffer
      - .offset:         16
        .size:           4
        .value_kind:     by_value
      - .offset:         20
        .size:           4
        .value_kind:     by_value
      - .offset:         24
        .size:           4
        .value_kind:     by_value
      - .offset:         28
        .size:           4
        .value_kind:     by_value
      - .offset:         32
        .size:           12
        .value_kind:     by_value
      - .offset:         44
        .size:           12
        .value_kind:     by_value
      - .offset:         56
        .size:           12
        .value_kind:     by_value
      - .offset:         68
        .size:           12
        .value_kind:     by_value
      - .offset:         80
        .size:           4
        .value_kind:     hidden_block_count_x
      - .offset:         84
        .size:           4
        .value_kind:     hidden_block_count_y
      - .offset:         88
        .size:           4
        .value_kind:     hidden_block_count_z
      - .offset:         92
        .size:           2
        .value_kind:     hidden_group_size_x
      - .offset:         94
        .size:           2
        .value_kind:     hidden_group_size_y
      - .offset:         96
        .size:           2
        .value_kind:     hidden_group_size_z
      - .offset:         98
        .size:           2
        .value_kind:     hidden_remainder_x
      - .offset:         100
        .size:           2
        .value_kind:     hidden_remainder_y
      - .offset:         102
        .size:           2
        .value_kind:     hidden_remainder_z
      - .offset:         120
        .size:           8
        .value_kind:     hidden_global_offset_x
      - .offset:         128
        .size:           8
        .value_kind:     hidden_global_offset_y
      - .offset:         136
        .size:           8
        .value_kind:     hidden_global_offset_z
      - .offset:         144
        .size:           2
        .value_kind:     hidden_grid_dims
    .group_segment_fixed_size: 0
    .kernarg_segment_align: 8
    .kernarg_segment_size: 336
    .language:       OpenCL C
    .language_version:
      - 2
      - 0
    .max_flat_workgroup_size: 256
    .name:           _ZL33flash_attn_stream_k_fixup_generalILi256ELi2ELi2EEvPfPK15HIP_vector_typeIfLj2EEiiiiS1_IjLj3EES5_S5_S5_
    .private_segment_fixed_size: 0
    .sgpr_count:     40
    .sgpr_spill_count: 0
    .symbol:         _ZL33flash_attn_stream_k_fixup_generalILi256ELi2ELi2EEvPfPK15HIP_vector_typeIfLj2EEiiiiS1_IjLj3EES5_S5_S5_.kd
    .uniform_work_group_size: 1
    .uses_dynamic_stack: false
    .vgpr_count:     18
    .vgpr_spill_count: 0
    .wavefront_size: 64
  - .args:
      - .address_space:  global
        .offset:         0
        .size:           8
        .value_kind:     global_buffer
      - .address_space:  global
        .offset:         8
        .size:           8
        .value_kind:     global_buffer
      - .address_space:  global
        .offset:         16
        .size:           8
        .value_kind:     global_buffer
      - .address_space:  global
        .offset:         24
        .size:           8
        .value_kind:     global_buffer
      - .address_space:  global
        .offset:         32
        .size:           8
        .value_kind:     global_buffer
      - .address_space:  global
        .offset:         40
        .size:           8
        .value_kind:     global_buffer
      - .address_space:  global
        .offset:         48
        .size:           8
        .value_kind:     global_buffer
      - .address_space:  global
        .offset:         56
        .size:           8
        .value_kind:     global_buffer
      - .offset:         64
        .size:           4
        .value_kind:     by_value
      - .offset:         68
        .size:           4
        .value_kind:     by_value
      - .offset:         72
        .size:           4
        .value_kind:     by_value
      - .offset:         76
        .size:           4
        .value_kind:     by_value
      - .offset:         80
        .size:           4
        .value_kind:     by_value
      - .offset:         84
        .size:           4
        .value_kind:     by_value
      - .offset:         88
        .size:           4
        .value_kind:     by_value
      - .offset:         92
        .size:           12
        .value_kind:     by_value
      - .offset:         104
        .size:           4
        .value_kind:     by_value
      - .offset:         108
        .size:           4
        .value_kind:     by_value
      - .offset:         112
        .size:           4
        .value_kind:     by_value
      - .offset:         116
        .size:           4
        .value_kind:     by_value
      - .offset:         120
        .size:           4
        .value_kind:     by_value
      - .offset:         124
        .size:           4
        .value_kind:     by_value
      - .offset:         128
        .size:           4
        .value_kind:     by_value
      - .offset:         132
        .size:           4
        .value_kind:     by_value
      - .offset:         136
        .size:           4
        .value_kind:     by_value
      - .offset:         140
        .size:           4
        .value_kind:     by_value
      - .offset:         144
        .size:           4
        .value_kind:     by_value
      - .offset:         152
        .size:           8
        .value_kind:     by_value
      - .offset:         160
        .size:           4
        .value_kind:     by_value
      - .offset:         164
        .size:           4
        .value_kind:     by_value
      - .offset:         168
        .size:           8
        .value_kind:     by_value
      - .offset:         176
        .size:           4
        .value_kind:     by_value
      - .offset:         180
        .size:           4
        .value_kind:     by_value
      - .offset:         184
        .size:           4
        .value_kind:     by_value
      - .offset:         188
        .size:           4
        .value_kind:     by_value
      - .offset:         192
        .size:           4
        .value_kind:     by_value
      - .offset:         200
        .size:           8
        .value_kind:     by_value
      - .offset:         208
        .size:           4
        .value_kind:     hidden_block_count_x
      - .offset:         212
        .size:           4
        .value_kind:     hidden_block_count_y
      - .offset:         216
        .size:           4
        .value_kind:     hidden_block_count_z
      - .offset:         220
        .size:           2
        .value_kind:     hidden_group_size_x
      - .offset:         222
        .size:           2
        .value_kind:     hidden_group_size_y
      - .offset:         224
        .size:           2
        .value_kind:     hidden_group_size_z
      - .offset:         226
        .size:           2
        .value_kind:     hidden_remainder_x
      - .offset:         228
        .size:           2
        .value_kind:     hidden_remainder_y
      - .offset:         230
        .size:           2
        .value_kind:     hidden_remainder_z
      - .offset:         248
        .size:           8
        .value_kind:     hidden_global_offset_x
      - .offset:         256
        .size:           8
        .value_kind:     hidden_global_offset_y
      - .offset:         264
        .size:           8
        .value_kind:     hidden_global_offset_z
      - .offset:         272
        .size:           2
        .value_kind:     hidden_grid_dims
    .group_segment_fixed_size: 20000
    .kernarg_segment_align: 8
    .kernarg_segment_size: 464
    .language:       OpenCL C
    .language_version:
      - 2
      - 0
    .max_flat_workgroup_size: 256
    .name:           _ZL15flash_attn_tileILi256ELi256ELi1ELi2ELb0EEvPKcS1_S1_S1_S1_PKiPfP15HIP_vector_typeIfLj2EEffffjfiS5_IjLj3EEiiiiiiiiiiiliiliiiiil
    .private_segment_fixed_size: 0
    .sgpr_count:     48
    .sgpr_spill_count: 0
    .symbol:         _ZL15flash_attn_tileILi256ELi256ELi1ELi2ELb0EEvPKcS1_S1_S1_S1_PKiPfP15HIP_vector_typeIfLj2EEffffjfiS5_IjLj3EEiiiiiiiiiiiliiliiiiil.kd
    .uniform_work_group_size: 1
    .uses_dynamic_stack: false
    .vgpr_count:     81
    .vgpr_spill_count: 0
    .wavefront_size: 64
  - .args:
      - .address_space:  global
        .offset:         0
        .size:           8
        .value_kind:     global_buffer
      - .address_space:  global
        .offset:         8
        .size:           8
        .value_kind:     global_buffer
      - .offset:         16
        .size:           4
        .value_kind:     by_value
      - .offset:         20
        .size:           4
        .value_kind:     by_value
      - .offset:         24
        .size:           4
        .value_kind:     by_value
      - .offset:         28
        .size:           4
        .value_kind:     by_value
      - .offset:         32
        .size:           4
        .value_kind:     by_value
      - .offset:         36
        .size:           4
        .value_kind:     by_value
      - .offset:         40
        .size:           12
        .value_kind:     by_value
      - .offset:         52
        .size:           12
        .value_kind:     by_value
      - .offset:         64
        .size:           12
        .value_kind:     by_value
    .group_segment_fixed_size: 0
    .kernarg_segment_align: 8
    .kernarg_segment_size: 76
    .language:       OpenCL C
    .language_version:
      - 2
      - 0
    .max_flat_workgroup_size: 256
    .name:           _ZL33flash_attn_stream_k_fixup_uniformILi256ELi1ELi2EEvPfPK15HIP_vector_typeIfLj2EEiiiiiiS1_IjLj3EES5_S5_
    .private_segment_fixed_size: 0
    .sgpr_count:     24
    .sgpr_spill_count: 0
    .symbol:         _ZL33flash_attn_stream_k_fixup_uniformILi256ELi1ELi2EEvPfPK15HIP_vector_typeIfLj2EEiiiiiiS1_IjLj3EES5_S5_.kd
    .uniform_work_group_size: 1
    .uses_dynamic_stack: false
    .vgpr_count:     17
    .vgpr_spill_count: 0
    .wavefront_size: 64
  - .args:
      - .address_space:  global
        .offset:         0
        .size:           8
        .value_kind:     global_buffer
      - .address_space:  global
        .offset:         8
        .size:           8
        .value_kind:     global_buffer
      - .offset:         16
        .size:           4
        .value_kind:     by_value
      - .offset:         20
        .size:           4
        .value_kind:     by_value
      - .offset:         24
        .size:           4
        .value_kind:     by_value
      - .offset:         28
        .size:           4
        .value_kind:     by_value
      - .offset:         32
        .size:           12
        .value_kind:     by_value
      - .offset:         44
        .size:           12
        .value_kind:     by_value
      - .offset:         56
        .size:           12
        .value_kind:     by_value
      - .offset:         68
        .size:           12
        .value_kind:     by_value
      - .offset:         80
        .size:           4
        .value_kind:     hidden_block_count_x
      - .offset:         84
        .size:           4
        .value_kind:     hidden_block_count_y
      - .offset:         88
        .size:           4
        .value_kind:     hidden_block_count_z
      - .offset:         92
        .size:           2
        .value_kind:     hidden_group_size_x
      - .offset:         94
        .size:           2
        .value_kind:     hidden_group_size_y
      - .offset:         96
        .size:           2
        .value_kind:     hidden_group_size_z
      - .offset:         98
        .size:           2
        .value_kind:     hidden_remainder_x
      - .offset:         100
        .size:           2
        .value_kind:     hidden_remainder_y
      - .offset:         102
        .size:           2
        .value_kind:     hidden_remainder_z
      - .offset:         120
        .size:           8
        .value_kind:     hidden_global_offset_x
      - .offset:         128
        .size:           8
        .value_kind:     hidden_global_offset_y
      - .offset:         136
        .size:           8
        .value_kind:     hidden_global_offset_z
      - .offset:         144
        .size:           2
        .value_kind:     hidden_grid_dims
    .group_segment_fixed_size: 0
    .kernarg_segment_align: 8
    .kernarg_segment_size: 336
    .language:       OpenCL C
    .language_version:
      - 2
      - 0
    .max_flat_workgroup_size: 256
    .name:           _ZL33flash_attn_stream_k_fixup_generalILi256ELi1ELi2EEvPfPK15HIP_vector_typeIfLj2EEiiiiS1_IjLj3EES5_S5_S5_
    .private_segment_fixed_size: 0
    .sgpr_count:     41
    .sgpr_spill_count: 0
    .symbol:         _ZL33flash_attn_stream_k_fixup_generalILi256ELi1ELi2EEvPfPK15HIP_vector_typeIfLj2EEiiiiS1_IjLj3EES5_S5_S5_.kd
    .uniform_work_group_size: 1
    .uses_dynamic_stack: false
    .vgpr_count:     18
    .vgpr_spill_count: 0
    .wavefront_size: 64
  - .args:
      - .address_space:  global
        .offset:         0
        .size:           8
        .value_kind:     global_buffer
      - .address_space:  global
        .offset:         8
        .size:           8
        .value_kind:     global_buffer
      - .address_space:  global
        .offset:         16
        .size:           8
        .value_kind:     global_buffer
      - .address_space:  global
        .offset:         24
        .size:           8
        .value_kind:     global_buffer
      - .address_space:  global
        .offset:         32
        .size:           8
        .value_kind:     global_buffer
      - .address_space:  global
        .offset:         40
        .size:           8
        .value_kind:     global_buffer
      - .address_space:  global
        .offset:         48
        .size:           8
        .value_kind:     global_buffer
      - .address_space:  global
        .offset:         56
        .size:           8
        .value_kind:     global_buffer
      - .offset:         64
        .size:           4
        .value_kind:     by_value
      - .offset:         68
        .size:           4
        .value_kind:     by_value
      - .offset:         72
        .size:           4
        .value_kind:     by_value
      - .offset:         76
        .size:           4
        .value_kind:     by_value
      - .offset:         80
        .size:           4
        .value_kind:     by_value
      - .offset:         84
        .size:           4
        .value_kind:     by_value
      - .offset:         88
        .size:           4
        .value_kind:     by_value
      - .offset:         92
        .size:           12
        .value_kind:     by_value
      - .offset:         104
        .size:           4
        .value_kind:     by_value
      - .offset:         108
        .size:           4
        .value_kind:     by_value
      - .offset:         112
        .size:           4
        .value_kind:     by_value
      - .offset:         116
        .size:           4
        .value_kind:     by_value
      - .offset:         120
        .size:           4
        .value_kind:     by_value
      - .offset:         124
        .size:           4
        .value_kind:     by_value
      - .offset:         128
        .size:           4
        .value_kind:     by_value
      - .offset:         132
        .size:           4
        .value_kind:     by_value
      - .offset:         136
        .size:           4
        .value_kind:     by_value
      - .offset:         140
        .size:           4
        .value_kind:     by_value
      - .offset:         144
        .size:           4
        .value_kind:     by_value
      - .offset:         152
        .size:           8
        .value_kind:     by_value
      - .offset:         160
        .size:           4
        .value_kind:     by_value
      - .offset:         164
        .size:           4
        .value_kind:     by_value
      - .offset:         168
        .size:           8
        .value_kind:     by_value
      - .offset:         176
        .size:           4
        .value_kind:     by_value
      - .offset:         180
        .size:           4
        .value_kind:     by_value
      - .offset:         184
        .size:           4
        .value_kind:     by_value
      - .offset:         188
        .size:           4
        .value_kind:     by_value
      - .offset:         192
        .size:           4
        .value_kind:     by_value
      - .offset:         200
        .size:           8
        .value_kind:     by_value
      - .offset:         208
        .size:           4
        .value_kind:     hidden_block_count_x
      - .offset:         212
        .size:           4
        .value_kind:     hidden_block_count_y
      - .offset:         216
        .size:           4
        .value_kind:     hidden_block_count_z
      - .offset:         220
        .size:           2
        .value_kind:     hidden_group_size_x
      - .offset:         222
        .size:           2
        .value_kind:     hidden_group_size_y
      - .offset:         224
        .size:           2
        .value_kind:     hidden_group_size_z
      - .offset:         226
        .size:           2
        .value_kind:     hidden_remainder_x
      - .offset:         228
        .size:           2
        .value_kind:     hidden_remainder_y
      - .offset:         230
        .size:           2
        .value_kind:     hidden_remainder_z
      - .offset:         248
        .size:           8
        .value_kind:     hidden_global_offset_x
      - .offset:         256
        .size:           8
        .value_kind:     hidden_global_offset_y
      - .offset:         264
        .size:           8
        .value_kind:     hidden_global_offset_z
      - .offset:         272
        .size:           2
        .value_kind:     hidden_grid_dims
    .group_segment_fixed_size: 27136
    .kernarg_segment_align: 8
    .kernarg_segment_size: 464
    .language:       OpenCL C
    .language_version:
      - 2
      - 0
    .max_flat_workgroup_size: 256
    .name:           _ZL15flash_attn_tileILi256ELi256ELi32ELi1ELb0EEvPKcS1_S1_S1_S1_PKiPfP15HIP_vector_typeIfLj2EEffffjfiS5_IjLj3EEiiiiiiiiiiiliiliiiiil
    .private_segment_fixed_size: 32
    .sgpr_count:     58
    .sgpr_spill_count: 0
    .symbol:         _ZL15flash_attn_tileILi256ELi256ELi32ELi1ELb0EEvPKcS1_S1_S1_S1_PKiPfP15HIP_vector_typeIfLj2EEffffjfiS5_IjLj3EEiiiiiiiiiiiliiliiiiil.kd
    .uniform_work_group_size: 1
    .uses_dynamic_stack: false
    .vgpr_count:     112
    .vgpr_spill_count: 0
    .wavefront_size: 64
  - .args:
      - .actual_access:  read_only
        .address_space:  global
        .offset:         0
        .size:           8
        .value_kind:     global_buffer
      - .actual_access:  write_only
        .address_space:  global
        .offset:         8
        .size:           8
        .value_kind:     global_buffer
      - .offset:         16
        .size:           4
        .value_kind:     by_value
      - .offset:         20
        .size:           4
        .value_kind:     by_value
      - .offset:         24
        .size:           4
        .value_kind:     by_value
      - .offset:         32
        .size:           4
        .value_kind:     hidden_block_count_x
      - .offset:         36
        .size:           4
        .value_kind:     hidden_block_count_y
      - .offset:         40
        .size:           4
        .value_kind:     hidden_block_count_z
      - .offset:         44
        .size:           2
        .value_kind:     hidden_group_size_x
      - .offset:         46
        .size:           2
        .value_kind:     hidden_group_size_y
      - .offset:         48
        .size:           2
        .value_kind:     hidden_group_size_z
      - .offset:         50
        .size:           2
        .value_kind:     hidden_remainder_x
      - .offset:         52
        .size:           2
        .value_kind:     hidden_remainder_y
      - .offset:         54
        .size:           2
        .value_kind:     hidden_remainder_z
      - .offset:         72
        .size:           8
        .value_kind:     hidden_global_offset_x
      - .offset:         80
        .size:           8
        .value_kind:     hidden_global_offset_y
      - .offset:         88
        .size:           8
        .value_kind:     hidden_global_offset_z
      - .offset:         96
        .size:           2
        .value_kind:     hidden_grid_dims
    .group_segment_fixed_size: 128
    .kernarg_segment_align: 8
    .kernarg_segment_size: 288
    .language:       OpenCL C
    .language_version:
      - 2
      - 0
    .max_flat_workgroup_size: 128
    .name:           _ZL25flash_attn_mask_to_KV_maxILi32EEvPK7__half2Piiii
    .private_segment_fixed_size: 0
    .sgpr_count:     100
    .sgpr_spill_count: 46
    .symbol:         _ZL25flash_attn_mask_to_KV_maxILi32EEvPK7__half2Piiii.kd
    .uniform_work_group_size: 1
    .uses_dynamic_stack: false
    .vgpr_count:     13
    .vgpr_spill_count: 0
    .wavefront_size: 64
  - .args:
      - .address_space:  global
        .offset:         0
        .size:           8
        .value_kind:     global_buffer
      - .address_space:  global
        .offset:         8
        .size:           8
        .value_kind:     global_buffer
      - .offset:         16
        .size:           4
        .value_kind:     by_value
      - .offset:         20
        .size:           4
        .value_kind:     by_value
      - .offset:         24
        .size:           4
        .value_kind:     by_value
      - .offset:         28
        .size:           4
        .value_kind:     by_value
      - .offset:         32
        .size:           4
        .value_kind:     by_value
      - .offset:         36
        .size:           4
        .value_kind:     by_value
      - .offset:         40
        .size:           12
        .value_kind:     by_value
      - .offset:         52
        .size:           12
        .value_kind:     by_value
      - .offset:         64
        .size:           12
        .value_kind:     by_value
    .group_segment_fixed_size: 0
    .kernarg_segment_align: 8
    .kernarg_segment_size: 76
    .language:       OpenCL C
    .language_version:
      - 2
      - 0
    .max_flat_workgroup_size: 256
    .name:           _ZL33flash_attn_stream_k_fixup_uniformILi256ELi32ELi1EEvPfPK15HIP_vector_typeIfLj2EEiiiiiiS1_IjLj3EES5_S5_
    .private_segment_fixed_size: 0
    .sgpr_count:     24
    .sgpr_spill_count: 0
    .symbol:         _ZL33flash_attn_stream_k_fixup_uniformILi256ELi32ELi1EEvPfPK15HIP_vector_typeIfLj2EEiiiiiiS1_IjLj3EES5_S5_.kd
    .uniform_work_group_size: 1
    .uses_dynamic_stack: false
    .vgpr_count:     17
    .vgpr_spill_count: 0
    .wavefront_size: 64
  - .args:
      - .address_space:  global
        .offset:         0
        .size:           8
        .value_kind:     global_buffer
      - .address_space:  global
        .offset:         8
        .size:           8
        .value_kind:     global_buffer
      - .offset:         16
        .size:           4
        .value_kind:     by_value
      - .offset:         20
        .size:           4
        .value_kind:     by_value
      - .offset:         24
        .size:           4
        .value_kind:     by_value
      - .offset:         28
        .size:           4
        .value_kind:     by_value
      - .offset:         32
        .size:           12
        .value_kind:     by_value
      - .offset:         44
        .size:           12
        .value_kind:     by_value
      - .offset:         56
        .size:           12
        .value_kind:     by_value
      - .offset:         68
        .size:           12
        .value_kind:     by_value
      - .offset:         80
        .size:           4
        .value_kind:     hidden_block_count_x
      - .offset:         84
        .size:           4
        .value_kind:     hidden_block_count_y
      - .offset:         88
        .size:           4
        .value_kind:     hidden_block_count_z
      - .offset:         92
        .size:           2
        .value_kind:     hidden_group_size_x
      - .offset:         94
        .size:           2
        .value_kind:     hidden_group_size_y
      - .offset:         96
        .size:           2
        .value_kind:     hidden_group_size_z
      - .offset:         98
        .size:           2
        .value_kind:     hidden_remainder_x
      - .offset:         100
        .size:           2
        .value_kind:     hidden_remainder_y
      - .offset:         102
        .size:           2
        .value_kind:     hidden_remainder_z
      - .offset:         120
        .size:           8
        .value_kind:     hidden_global_offset_x
      - .offset:         128
        .size:           8
        .value_kind:     hidden_global_offset_y
      - .offset:         136
        .size:           8
        .value_kind:     hidden_global_offset_z
      - .offset:         144
        .size:           2
        .value_kind:     hidden_grid_dims
    .group_segment_fixed_size: 0
    .kernarg_segment_align: 8
    .kernarg_segment_size: 336
    .language:       OpenCL C
    .language_version:
      - 2
      - 0
    .max_flat_workgroup_size: 256
    .name:           _ZL33flash_attn_stream_k_fixup_generalILi256ELi32ELi1EEvPfPK15HIP_vector_typeIfLj2EEiiiiS1_IjLj3EES5_S5_S5_
    .private_segment_fixed_size: 0
    .sgpr_count:     40
    .sgpr_spill_count: 0
    .symbol:         _ZL33flash_attn_stream_k_fixup_generalILi256ELi32ELi1EEvPfPK15HIP_vector_typeIfLj2EEiiiiS1_IjLj3EES5_S5_S5_.kd
    .uniform_work_group_size: 1
    .uses_dynamic_stack: false
    .vgpr_count:     18
    .vgpr_spill_count: 0
    .wavefront_size: 64
  - .args:
      - .address_space:  global
        .offset:         0
        .size:           8
        .value_kind:     global_buffer
      - .address_space:  global
        .offset:         8
        .size:           8
        .value_kind:     global_buffer
      - .address_space:  global
        .offset:         16
        .size:           8
        .value_kind:     global_buffer
      - .address_space:  global
        .offset:         24
        .size:           8
        .value_kind:     global_buffer
      - .address_space:  global
        .offset:         32
        .size:           8
        .value_kind:     global_buffer
      - .address_space:  global
        .offset:         40
        .size:           8
        .value_kind:     global_buffer
      - .address_space:  global
        .offset:         48
        .size:           8
        .value_kind:     global_buffer
      - .address_space:  global
        .offset:         56
        .size:           8
        .value_kind:     global_buffer
      - .offset:         64
        .size:           4
        .value_kind:     by_value
      - .offset:         68
        .size:           4
        .value_kind:     by_value
      - .offset:         72
        .size:           4
        .value_kind:     by_value
      - .offset:         76
        .size:           4
        .value_kind:     by_value
      - .offset:         80
        .size:           4
        .value_kind:     by_value
      - .offset:         84
        .size:           4
        .value_kind:     by_value
      - .offset:         88
        .size:           4
        .value_kind:     by_value
      - .offset:         92
        .size:           12
        .value_kind:     by_value
      - .offset:         104
        .size:           4
        .value_kind:     by_value
      - .offset:         108
        .size:           4
        .value_kind:     by_value
      - .offset:         112
        .size:           4
        .value_kind:     by_value
      - .offset:         116
        .size:           4
        .value_kind:     by_value
      - .offset:         120
        .size:           4
        .value_kind:     by_value
      - .offset:         124
        .size:           4
        .value_kind:     by_value
      - .offset:         128
        .size:           4
        .value_kind:     by_value
      - .offset:         132
        .size:           4
        .value_kind:     by_value
      - .offset:         136
        .size:           4
        .value_kind:     by_value
      - .offset:         140
        .size:           4
        .value_kind:     by_value
      - .offset:         144
        .size:           4
        .value_kind:     by_value
      - .offset:         152
        .size:           8
        .value_kind:     by_value
      - .offset:         160
        .size:           4
        .value_kind:     by_value
      - .offset:         164
        .size:           4
        .value_kind:     by_value
      - .offset:         168
        .size:           8
        .value_kind:     by_value
      - .offset:         176
        .size:           4
        .value_kind:     by_value
      - .offset:         180
        .size:           4
        .value_kind:     by_value
      - .offset:         184
        .size:           4
        .value_kind:     by_value
      - .offset:         188
        .size:           4
        .value_kind:     by_value
      - .offset:         192
        .size:           4
        .value_kind:     by_value
      - .offset:         200
        .size:           8
        .value_kind:     by_value
      - .offset:         208
        .size:           4
        .value_kind:     hidden_block_count_x
      - .offset:         212
        .size:           4
        .value_kind:     hidden_block_count_y
      - .offset:         216
        .size:           4
        .value_kind:     hidden_block_count_z
      - .offset:         220
        .size:           2
        .value_kind:     hidden_group_size_x
      - .offset:         222
        .size:           2
        .value_kind:     hidden_group_size_y
      - .offset:         224
        .size:           2
        .value_kind:     hidden_group_size_z
      - .offset:         226
        .size:           2
        .value_kind:     hidden_remainder_x
      - .offset:         228
        .size:           2
        .value_kind:     hidden_remainder_y
      - .offset:         230
        .size:           2
        .value_kind:     hidden_remainder_z
      - .offset:         248
        .size:           8
        .value_kind:     hidden_global_offset_x
      - .offset:         256
        .size:           8
        .value_kind:     hidden_global_offset_y
      - .offset:         264
        .size:           8
        .value_kind:     hidden_global_offset_z
      - .offset:         272
        .size:           2
        .value_kind:     hidden_grid_dims
    .group_segment_fixed_size: 17920
    .kernarg_segment_align: 8
    .kernarg_segment_size: 464
    .language:       OpenCL C
    .language_version:
      - 2
      - 0
    .max_flat_workgroup_size: 256
    .name:           _ZL15flash_attn_tileILi256ELi256ELi16ELi1ELb0EEvPKcS1_S1_S1_S1_PKiPfP15HIP_vector_typeIfLj2EEffffjfiS5_IjLj3EEiiiiiiiiiiiliiliiiiil
    .private_segment_fixed_size: 32
    .sgpr_count:     58
    .sgpr_spill_count: 0
    .symbol:         _ZL15flash_attn_tileILi256ELi256ELi16ELi1ELb0EEvPKcS1_S1_S1_S1_PKiPfP15HIP_vector_typeIfLj2EEffffjfiS5_IjLj3EEiiiiiiiiiiiliiliiiiil.kd
    .uniform_work_group_size: 1
    .uses_dynamic_stack: false
    .vgpr_count:     72
    .vgpr_spill_count: 0
    .wavefront_size: 64
  - .args:
      - .address_space:  global
        .offset:         0
        .size:           8
        .value_kind:     global_buffer
      - .address_space:  global
        .offset:         8
        .size:           8
        .value_kind:     global_buffer
      - .offset:         16
        .size:           4
        .value_kind:     by_value
      - .offset:         20
        .size:           4
        .value_kind:     by_value
      - .offset:         24
        .size:           4
        .value_kind:     by_value
      - .offset:         28
        .size:           4
        .value_kind:     by_value
      - .offset:         32
        .size:           4
        .value_kind:     by_value
      - .offset:         36
        .size:           4
        .value_kind:     by_value
      - .offset:         40
        .size:           12
        .value_kind:     by_value
      - .offset:         52
        .size:           12
        .value_kind:     by_value
      - .offset:         64
        .size:           12
        .value_kind:     by_value
    .group_segment_fixed_size: 0
    .kernarg_segment_align: 8
    .kernarg_segment_size: 76
    .language:       OpenCL C
    .language_version:
      - 2
      - 0
    .max_flat_workgroup_size: 256
    .name:           _ZL33flash_attn_stream_k_fixup_uniformILi256ELi16ELi1EEvPfPK15HIP_vector_typeIfLj2EEiiiiiiS1_IjLj3EES5_S5_
    .private_segment_fixed_size: 0
    .sgpr_count:     24
    .sgpr_spill_count: 0
    .symbol:         _ZL33flash_attn_stream_k_fixup_uniformILi256ELi16ELi1EEvPfPK15HIP_vector_typeIfLj2EEiiiiiiS1_IjLj3EES5_S5_.kd
    .uniform_work_group_size: 1
    .uses_dynamic_stack: false
    .vgpr_count:     17
    .vgpr_spill_count: 0
    .wavefront_size: 64
  - .args:
      - .address_space:  global
        .offset:         0
        .size:           8
        .value_kind:     global_buffer
      - .address_space:  global
        .offset:         8
        .size:           8
        .value_kind:     global_buffer
      - .offset:         16
        .size:           4
        .value_kind:     by_value
      - .offset:         20
        .size:           4
        .value_kind:     by_value
      - .offset:         24
        .size:           4
        .value_kind:     by_value
      - .offset:         28
        .size:           4
        .value_kind:     by_value
      - .offset:         32
        .size:           12
        .value_kind:     by_value
      - .offset:         44
        .size:           12
        .value_kind:     by_value
      - .offset:         56
        .size:           12
        .value_kind:     by_value
      - .offset:         68
        .size:           12
        .value_kind:     by_value
      - .offset:         80
        .size:           4
        .value_kind:     hidden_block_count_x
      - .offset:         84
        .size:           4
        .value_kind:     hidden_block_count_y
      - .offset:         88
        .size:           4
        .value_kind:     hidden_block_count_z
      - .offset:         92
        .size:           2
        .value_kind:     hidden_group_size_x
      - .offset:         94
        .size:           2
        .value_kind:     hidden_group_size_y
      - .offset:         96
        .size:           2
        .value_kind:     hidden_group_size_z
      - .offset:         98
        .size:           2
        .value_kind:     hidden_remainder_x
      - .offset:         100
        .size:           2
        .value_kind:     hidden_remainder_y
      - .offset:         102
        .size:           2
        .value_kind:     hidden_remainder_z
      - .offset:         120
        .size:           8
        .value_kind:     hidden_global_offset_x
      - .offset:         128
        .size:           8
        .value_kind:     hidden_global_offset_y
      - .offset:         136
        .size:           8
        .value_kind:     hidden_global_offset_z
      - .offset:         144
        .size:           2
        .value_kind:     hidden_grid_dims
    .group_segment_fixed_size: 0
    .kernarg_segment_align: 8
    .kernarg_segment_size: 336
    .language:       OpenCL C
    .language_version:
      - 2
      - 0
    .max_flat_workgroup_size: 256
    .name:           _ZL33flash_attn_stream_k_fixup_generalILi256ELi16ELi1EEvPfPK15HIP_vector_typeIfLj2EEiiiiS1_IjLj3EES5_S5_S5_
    .private_segment_fixed_size: 0
    .sgpr_count:     40
    .sgpr_spill_count: 0
    .symbol:         _ZL33flash_attn_stream_k_fixup_generalILi256ELi16ELi1EEvPfPK15HIP_vector_typeIfLj2EEiiiiS1_IjLj3EES5_S5_S5_.kd
    .uniform_work_group_size: 1
    .uses_dynamic_stack: false
    .vgpr_count:     18
    .vgpr_spill_count: 0
    .wavefront_size: 64
  - .args:
      - .address_space:  global
        .offset:         0
        .size:           8
        .value_kind:     global_buffer
      - .address_space:  global
        .offset:         8
        .size:           8
        .value_kind:     global_buffer
      - .address_space:  global
        .offset:         16
        .size:           8
        .value_kind:     global_buffer
      - .address_space:  global
        .offset:         24
        .size:           8
        .value_kind:     global_buffer
      - .address_space:  global
        .offset:         32
        .size:           8
        .value_kind:     global_buffer
      - .address_space:  global
        .offset:         40
        .size:           8
        .value_kind:     global_buffer
      - .address_space:  global
        .offset:         48
        .size:           8
        .value_kind:     global_buffer
      - .address_space:  global
        .offset:         56
        .size:           8
        .value_kind:     global_buffer
      - .offset:         64
        .size:           4
        .value_kind:     by_value
      - .offset:         68
        .size:           4
        .value_kind:     by_value
      - .offset:         72
        .size:           4
        .value_kind:     by_value
      - .offset:         76
        .size:           4
        .value_kind:     by_value
      - .offset:         80
        .size:           4
        .value_kind:     by_value
      - .offset:         84
        .size:           4
        .value_kind:     by_value
      - .offset:         88
        .size:           4
        .value_kind:     by_value
      - .offset:         92
        .size:           12
        .value_kind:     by_value
      - .offset:         104
        .size:           4
        .value_kind:     by_value
      - .offset:         108
        .size:           4
        .value_kind:     by_value
      - .offset:         112
        .size:           4
        .value_kind:     by_value
      - .offset:         116
        .size:           4
        .value_kind:     by_value
      - .offset:         120
        .size:           4
        .value_kind:     by_value
      - .offset:         124
        .size:           4
        .value_kind:     by_value
      - .offset:         128
        .size:           4
        .value_kind:     by_value
      - .offset:         132
        .size:           4
        .value_kind:     by_value
      - .offset:         136
        .size:           4
        .value_kind:     by_value
      - .offset:         140
        .size:           4
        .value_kind:     by_value
      - .offset:         144
        .size:           4
        .value_kind:     by_value
      - .offset:         152
        .size:           8
        .value_kind:     by_value
      - .offset:         160
        .size:           4
        .value_kind:     by_value
      - .offset:         164
        .size:           4
        .value_kind:     by_value
      - .offset:         168
        .size:           8
        .value_kind:     by_value
      - .offset:         176
        .size:           4
        .value_kind:     by_value
      - .offset:         180
        .size:           4
        .value_kind:     by_value
      - .offset:         184
        .size:           4
        .value_kind:     by_value
      - .offset:         188
        .size:           4
        .value_kind:     by_value
      - .offset:         192
        .size:           4
        .value_kind:     by_value
      - .offset:         200
        .size:           8
        .value_kind:     by_value
      - .offset:         208
        .size:           4
        .value_kind:     hidden_block_count_x
      - .offset:         212
        .size:           4
        .value_kind:     hidden_block_count_y
      - .offset:         216
        .size:           4
        .value_kind:     hidden_block_count_z
      - .offset:         220
        .size:           2
        .value_kind:     hidden_group_size_x
      - .offset:         222
        .size:           2
        .value_kind:     hidden_group_size_y
      - .offset:         224
        .size:           2
        .value_kind:     hidden_group_size_z
      - .offset:         226
        .size:           2
        .value_kind:     hidden_remainder_x
      - .offset:         228
        .size:           2
        .value_kind:     hidden_remainder_y
      - .offset:         230
        .size:           2
        .value_kind:     hidden_remainder_z
      - .offset:         248
        .size:           8
        .value_kind:     hidden_global_offset_x
      - .offset:         256
        .size:           8
        .value_kind:     hidden_global_offset_y
      - .offset:         264
        .size:           8
        .value_kind:     hidden_global_offset_z
      - .offset:         272
        .size:           2
        .value_kind:     hidden_grid_dims
    .group_segment_fixed_size: 22528
    .kernarg_segment_align: 8
    .kernarg_segment_size: 464
    .language:       OpenCL C
    .language_version:
      - 2
      - 0
    .max_flat_workgroup_size: 256
    .name:           _ZL15flash_attn_tileILi256ELi256ELi8ELi1ELb0EEvPKcS1_S1_S1_S1_PKiPfP15HIP_vector_typeIfLj2EEffffjfiS5_IjLj3EEiiiiiiiiiiiliiliiiiil
    .private_segment_fixed_size: 32
    .sgpr_count:     58
    .sgpr_spill_count: 0
    .symbol:         _ZL15flash_attn_tileILi256ELi256ELi8ELi1ELb0EEvPKcS1_S1_S1_S1_PKiPfP15HIP_vector_typeIfLj2EEffffjfiS5_IjLj3EEiiiiiiiiiiiliiliiiiil.kd
    .uniform_work_group_size: 1
    .uses_dynamic_stack: false
    .vgpr_count:     79
    .vgpr_spill_count: 0
    .wavefront_size: 64
  - .args:
      - .address_space:  global
        .offset:         0
        .size:           8
        .value_kind:     global_buffer
      - .address_space:  global
        .offset:         8
        .size:           8
        .value_kind:     global_buffer
      - .offset:         16
        .size:           4
        .value_kind:     by_value
      - .offset:         20
        .size:           4
        .value_kind:     by_value
      - .offset:         24
        .size:           4
        .value_kind:     by_value
      - .offset:         28
        .size:           4
        .value_kind:     by_value
      - .offset:         32
        .size:           4
        .value_kind:     by_value
      - .offset:         36
        .size:           4
        .value_kind:     by_value
      - .offset:         40
        .size:           12
        .value_kind:     by_value
      - .offset:         52
        .size:           12
        .value_kind:     by_value
      - .offset:         64
        .size:           12
        .value_kind:     by_value
    .group_segment_fixed_size: 0
    .kernarg_segment_align: 8
    .kernarg_segment_size: 76
    .language:       OpenCL C
    .language_version:
      - 2
      - 0
    .max_flat_workgroup_size: 256
    .name:           _ZL33flash_attn_stream_k_fixup_uniformILi256ELi8ELi1EEvPfPK15HIP_vector_typeIfLj2EEiiiiiiS1_IjLj3EES5_S5_
    .private_segment_fixed_size: 0
    .sgpr_count:     24
    .sgpr_spill_count: 0
    .symbol:         _ZL33flash_attn_stream_k_fixup_uniformILi256ELi8ELi1EEvPfPK15HIP_vector_typeIfLj2EEiiiiiiS1_IjLj3EES5_S5_.kd
    .uniform_work_group_size: 1
    .uses_dynamic_stack: false
    .vgpr_count:     17
    .vgpr_spill_count: 0
    .wavefront_size: 64
  - .args:
      - .address_space:  global
        .offset:         0
        .size:           8
        .value_kind:     global_buffer
      - .address_space:  global
        .offset:         8
        .size:           8
        .value_kind:     global_buffer
      - .offset:         16
        .size:           4
        .value_kind:     by_value
      - .offset:         20
        .size:           4
        .value_kind:     by_value
      - .offset:         24
        .size:           4
        .value_kind:     by_value
      - .offset:         28
        .size:           4
        .value_kind:     by_value
      - .offset:         32
        .size:           12
        .value_kind:     by_value
      - .offset:         44
        .size:           12
        .value_kind:     by_value
      - .offset:         56
        .size:           12
        .value_kind:     by_value
      - .offset:         68
        .size:           12
        .value_kind:     by_value
      - .offset:         80
        .size:           4
        .value_kind:     hidden_block_count_x
      - .offset:         84
        .size:           4
        .value_kind:     hidden_block_count_y
      - .offset:         88
        .size:           4
        .value_kind:     hidden_block_count_z
      - .offset:         92
        .size:           2
        .value_kind:     hidden_group_size_x
      - .offset:         94
        .size:           2
        .value_kind:     hidden_group_size_y
      - .offset:         96
        .size:           2
        .value_kind:     hidden_group_size_z
      - .offset:         98
        .size:           2
        .value_kind:     hidden_remainder_x
      - .offset:         100
        .size:           2
        .value_kind:     hidden_remainder_y
      - .offset:         102
        .size:           2
        .value_kind:     hidden_remainder_z
      - .offset:         120
        .size:           8
        .value_kind:     hidden_global_offset_x
      - .offset:         128
        .size:           8
        .value_kind:     hidden_global_offset_y
      - .offset:         136
        .size:           8
        .value_kind:     hidden_global_offset_z
      - .offset:         144
        .size:           2
        .value_kind:     hidden_grid_dims
    .group_segment_fixed_size: 0
    .kernarg_segment_align: 8
    .kernarg_segment_size: 336
    .language:       OpenCL C
    .language_version:
      - 2
      - 0
    .max_flat_workgroup_size: 256
    .name:           _ZL33flash_attn_stream_k_fixup_generalILi256ELi8ELi1EEvPfPK15HIP_vector_typeIfLj2EEiiiiS1_IjLj3EES5_S5_S5_
    .private_segment_fixed_size: 0
    .sgpr_count:     40
    .sgpr_spill_count: 0
    .symbol:         _ZL33flash_attn_stream_k_fixup_generalILi256ELi8ELi1EEvPfPK15HIP_vector_typeIfLj2EEiiiiS1_IjLj3EES5_S5_S5_.kd
    .uniform_work_group_size: 1
    .uses_dynamic_stack: false
    .vgpr_count:     18
    .vgpr_spill_count: 0
    .wavefront_size: 64
  - .args:
      - .address_space:  global
        .offset:         0
        .size:           8
        .value_kind:     global_buffer
      - .address_space:  global
        .offset:         8
        .size:           8
        .value_kind:     global_buffer
      - .address_space:  global
        .offset:         16
        .size:           8
        .value_kind:     global_buffer
      - .address_space:  global
        .offset:         24
        .size:           8
        .value_kind:     global_buffer
      - .address_space:  global
        .offset:         32
        .size:           8
        .value_kind:     global_buffer
      - .address_space:  global
        .offset:         40
        .size:           8
        .value_kind:     global_buffer
      - .address_space:  global
        .offset:         48
        .size:           8
        .value_kind:     global_buffer
      - .address_space:  global
        .offset:         56
        .size:           8
        .value_kind:     global_buffer
      - .offset:         64
        .size:           4
        .value_kind:     by_value
      - .offset:         68
        .size:           4
        .value_kind:     by_value
      - .offset:         72
        .size:           4
        .value_kind:     by_value
      - .offset:         76
        .size:           4
        .value_kind:     by_value
      - .offset:         80
        .size:           4
        .value_kind:     by_value
      - .offset:         84
        .size:           4
        .value_kind:     by_value
      - .offset:         88
        .size:           4
        .value_kind:     by_value
      - .offset:         92
        .size:           12
        .value_kind:     by_value
      - .offset:         104
        .size:           4
        .value_kind:     by_value
      - .offset:         108
        .size:           4
        .value_kind:     by_value
      - .offset:         112
        .size:           4
        .value_kind:     by_value
      - .offset:         116
        .size:           4
        .value_kind:     by_value
      - .offset:         120
        .size:           4
        .value_kind:     by_value
      - .offset:         124
        .size:           4
        .value_kind:     by_value
      - .offset:         128
        .size:           4
        .value_kind:     by_value
      - .offset:         132
        .size:           4
        .value_kind:     by_value
      - .offset:         136
        .size:           4
        .value_kind:     by_value
      - .offset:         140
        .size:           4
        .value_kind:     by_value
      - .offset:         144
        .size:           4
        .value_kind:     by_value
      - .offset:         152
        .size:           8
        .value_kind:     by_value
      - .offset:         160
        .size:           4
        .value_kind:     by_value
      - .offset:         164
        .size:           4
        .value_kind:     by_value
      - .offset:         168
        .size:           8
        .value_kind:     by_value
      - .offset:         176
        .size:           4
        .value_kind:     by_value
      - .offset:         180
        .size:           4
        .value_kind:     by_value
      - .offset:         184
        .size:           4
        .value_kind:     by_value
      - .offset:         188
        .size:           4
        .value_kind:     by_value
      - .offset:         192
        .size:           4
        .value_kind:     by_value
      - .offset:         200
        .size:           8
        .value_kind:     by_value
      - .offset:         208
        .size:           4
        .value_kind:     hidden_block_count_x
      - .offset:         212
        .size:           4
        .value_kind:     hidden_block_count_y
      - .offset:         216
        .size:           4
        .value_kind:     hidden_block_count_z
      - .offset:         220
        .size:           2
        .value_kind:     hidden_group_size_x
      - .offset:         222
        .size:           2
        .value_kind:     hidden_group_size_y
      - .offset:         224
        .size:           2
        .value_kind:     hidden_group_size_z
      - .offset:         226
        .size:           2
        .value_kind:     hidden_remainder_x
      - .offset:         228
        .size:           2
        .value_kind:     hidden_remainder_y
      - .offset:         230
        .size:           2
        .value_kind:     hidden_remainder_z
      - .offset:         248
        .size:           8
        .value_kind:     hidden_global_offset_x
      - .offset:         256
        .size:           8
        .value_kind:     hidden_global_offset_y
      - .offset:         264
        .size:           8
        .value_kind:     hidden_global_offset_z
      - .offset:         272
        .size:           2
        .value_kind:     hidden_grid_dims
    .group_segment_fixed_size: 20032
    .kernarg_segment_align: 8
    .kernarg_segment_size: 464
    .language:       OpenCL C
    .language_version:
      - 2
      - 0
    .max_flat_workgroup_size: 256
    .name:           _ZL15flash_attn_tileILi256ELi256ELi4ELi1ELb0EEvPKcS1_S1_S1_S1_PKiPfP15HIP_vector_typeIfLj2EEffffjfiS5_IjLj3EEiiiiiiiiiiiliiliiiiil
    .private_segment_fixed_size: 32
    .sgpr_count:     58
    .sgpr_spill_count: 0
    .symbol:         _ZL15flash_attn_tileILi256ELi256ELi4ELi1ELb0EEvPKcS1_S1_S1_S1_PKiPfP15HIP_vector_typeIfLj2EEffffjfiS5_IjLj3EEiiiiiiiiiiiliiliiiiil.kd
    .uniform_work_group_size: 1
    .uses_dynamic_stack: false
    .vgpr_count:     106
    .vgpr_spill_count: 0
    .wavefront_size: 64
  - .args:
      - .address_space:  global
        .offset:         0
        .size:           8
        .value_kind:     global_buffer
      - .address_space:  global
        .offset:         8
        .size:           8
        .value_kind:     global_buffer
      - .offset:         16
        .size:           4
        .value_kind:     by_value
      - .offset:         20
        .size:           4
        .value_kind:     by_value
      - .offset:         24
        .size:           4
        .value_kind:     by_value
      - .offset:         28
        .size:           4
        .value_kind:     by_value
      - .offset:         32
        .size:           4
        .value_kind:     by_value
      - .offset:         36
        .size:           4
        .value_kind:     by_value
      - .offset:         40
        .size:           12
        .value_kind:     by_value
      - .offset:         52
        .size:           12
        .value_kind:     by_value
      - .offset:         64
        .size:           12
        .value_kind:     by_value
    .group_segment_fixed_size: 0
    .kernarg_segment_align: 8
    .kernarg_segment_size: 76
    .language:       OpenCL C
    .language_version:
      - 2
      - 0
    .max_flat_workgroup_size: 256
    .name:           _ZL33flash_attn_stream_k_fixup_uniformILi256ELi4ELi1EEvPfPK15HIP_vector_typeIfLj2EEiiiiiiS1_IjLj3EES5_S5_
    .private_segment_fixed_size: 0
    .sgpr_count:     24
    .sgpr_spill_count: 0
    .symbol:         _ZL33flash_attn_stream_k_fixup_uniformILi256ELi4ELi1EEvPfPK15HIP_vector_typeIfLj2EEiiiiiiS1_IjLj3EES5_S5_.kd
    .uniform_work_group_size: 1
    .uses_dynamic_stack: false
    .vgpr_count:     17
    .vgpr_spill_count: 0
    .wavefront_size: 64
  - .args:
      - .address_space:  global
        .offset:         0
        .size:           8
        .value_kind:     global_buffer
      - .address_space:  global
        .offset:         8
        .size:           8
        .value_kind:     global_buffer
      - .offset:         16
        .size:           4
        .value_kind:     by_value
      - .offset:         20
        .size:           4
        .value_kind:     by_value
      - .offset:         24
        .size:           4
        .value_kind:     by_value
      - .offset:         28
        .size:           4
        .value_kind:     by_value
      - .offset:         32
        .size:           12
        .value_kind:     by_value
      - .offset:         44
        .size:           12
        .value_kind:     by_value
      - .offset:         56
        .size:           12
        .value_kind:     by_value
      - .offset:         68
        .size:           12
        .value_kind:     by_value
      - .offset:         80
        .size:           4
        .value_kind:     hidden_block_count_x
      - .offset:         84
        .size:           4
        .value_kind:     hidden_block_count_y
      - .offset:         88
        .size:           4
        .value_kind:     hidden_block_count_z
      - .offset:         92
        .size:           2
        .value_kind:     hidden_group_size_x
      - .offset:         94
        .size:           2
        .value_kind:     hidden_group_size_y
      - .offset:         96
        .size:           2
        .value_kind:     hidden_group_size_z
      - .offset:         98
        .size:           2
        .value_kind:     hidden_remainder_x
      - .offset:         100
        .size:           2
        .value_kind:     hidden_remainder_y
      - .offset:         102
        .size:           2
        .value_kind:     hidden_remainder_z
      - .offset:         120
        .size:           8
        .value_kind:     hidden_global_offset_x
      - .offset:         128
        .size:           8
        .value_kind:     hidden_global_offset_y
      - .offset:         136
        .size:           8
        .value_kind:     hidden_global_offset_z
      - .offset:         144
        .size:           2
        .value_kind:     hidden_grid_dims
    .group_segment_fixed_size: 0
    .kernarg_segment_align: 8
    .kernarg_segment_size: 336
    .language:       OpenCL C
    .language_version:
      - 2
      - 0
    .max_flat_workgroup_size: 256
    .name:           _ZL33flash_attn_stream_k_fixup_generalILi256ELi4ELi1EEvPfPK15HIP_vector_typeIfLj2EEiiiiS1_IjLj3EES5_S5_S5_
    .private_segment_fixed_size: 0
    .sgpr_count:     40
    .sgpr_spill_count: 0
    .symbol:         _ZL33flash_attn_stream_k_fixup_generalILi256ELi4ELi1EEvPfPK15HIP_vector_typeIfLj2EEiiiiS1_IjLj3EES5_S5_S5_.kd
    .uniform_work_group_size: 1
    .uses_dynamic_stack: false
    .vgpr_count:     18
    .vgpr_spill_count: 0
    .wavefront_size: 64
  - .args:
      - .address_space:  global
        .offset:         0
        .size:           8
        .value_kind:     global_buffer
      - .address_space:  global
        .offset:         8
        .size:           8
        .value_kind:     global_buffer
      - .address_space:  global
        .offset:         16
        .size:           8
        .value_kind:     global_buffer
      - .address_space:  global
        .offset:         24
        .size:           8
        .value_kind:     global_buffer
      - .address_space:  global
        .offset:         32
        .size:           8
        .value_kind:     global_buffer
      - .address_space:  global
        .offset:         40
        .size:           8
        .value_kind:     global_buffer
      - .address_space:  global
        .offset:         48
        .size:           8
        .value_kind:     global_buffer
      - .address_space:  global
        .offset:         56
        .size:           8
        .value_kind:     global_buffer
      - .offset:         64
        .size:           4
        .value_kind:     by_value
      - .offset:         68
        .size:           4
        .value_kind:     by_value
      - .offset:         72
        .size:           4
        .value_kind:     by_value
      - .offset:         76
        .size:           4
        .value_kind:     by_value
      - .offset:         80
        .size:           4
        .value_kind:     by_value
      - .offset:         84
        .size:           4
        .value_kind:     by_value
      - .offset:         88
        .size:           4
        .value_kind:     by_value
      - .offset:         92
        .size:           12
        .value_kind:     by_value
      - .offset:         104
        .size:           4
        .value_kind:     by_value
      - .offset:         108
        .size:           4
        .value_kind:     by_value
      - .offset:         112
        .size:           4
        .value_kind:     by_value
      - .offset:         116
        .size:           4
        .value_kind:     by_value
      - .offset:         120
        .size:           4
        .value_kind:     by_value
      - .offset:         124
        .size:           4
        .value_kind:     by_value
      - .offset:         128
        .size:           4
        .value_kind:     by_value
      - .offset:         132
        .size:           4
        .value_kind:     by_value
      - .offset:         136
        .size:           4
        .value_kind:     by_value
      - .offset:         140
        .size:           4
        .value_kind:     by_value
      - .offset:         144
        .size:           4
        .value_kind:     by_value
      - .offset:         152
        .size:           8
        .value_kind:     by_value
      - .offset:         160
        .size:           4
        .value_kind:     by_value
      - .offset:         164
        .size:           4
        .value_kind:     by_value
      - .offset:         168
        .size:           8
        .value_kind:     by_value
      - .offset:         176
        .size:           4
        .value_kind:     by_value
      - .offset:         180
        .size:           4
        .value_kind:     by_value
      - .offset:         184
        .size:           4
        .value_kind:     by_value
      - .offset:         188
        .size:           4
        .value_kind:     by_value
      - .offset:         192
        .size:           4
        .value_kind:     by_value
      - .offset:         200
        .size:           8
        .value_kind:     by_value
      - .offset:         208
        .size:           4
        .value_kind:     hidden_block_count_x
      - .offset:         212
        .size:           4
        .value_kind:     hidden_block_count_y
      - .offset:         216
        .size:           4
        .value_kind:     hidden_block_count_z
      - .offset:         220
        .size:           2
        .value_kind:     hidden_group_size_x
      - .offset:         222
        .size:           2
        .value_kind:     hidden_group_size_y
      - .offset:         224
        .size:           2
        .value_kind:     hidden_group_size_z
      - .offset:         226
        .size:           2
        .value_kind:     hidden_remainder_x
      - .offset:         228
        .size:           2
        .value_kind:     hidden_remainder_y
      - .offset:         230
        .size:           2
        .value_kind:     hidden_remainder_z
      - .offset:         248
        .size:           8
        .value_kind:     hidden_global_offset_x
      - .offset:         256
        .size:           8
        .value_kind:     hidden_global_offset_y
      - .offset:         264
        .size:           8
        .value_kind:     hidden_global_offset_z
      - .offset:         272
        .size:           2
        .value_kind:     hidden_grid_dims
    .group_segment_fixed_size: 20032
    .kernarg_segment_align: 8
    .kernarg_segment_size: 464
    .language:       OpenCL C
    .language_version:
      - 2
      - 0
    .max_flat_workgroup_size: 256
    .name:           _ZL15flash_attn_tileILi256ELi256ELi2ELi1ELb0EEvPKcS1_S1_S1_S1_PKiPfP15HIP_vector_typeIfLj2EEffffjfiS5_IjLj3EEiiiiiiiiiiiliiliiiiil
    .private_segment_fixed_size: 32
    .sgpr_count:     58
    .sgpr_spill_count: 0
    .symbol:         _ZL15flash_attn_tileILi256ELi256ELi2ELi1ELb0EEvPKcS1_S1_S1_S1_PKiPfP15HIP_vector_typeIfLj2EEffffjfiS5_IjLj3EEiiiiiiiiiiiliiliiiiil.kd
    .uniform_work_group_size: 1
    .uses_dynamic_stack: false
    .vgpr_count:     82
    .vgpr_spill_count: 0
    .wavefront_size: 64
  - .args:
      - .address_space:  global
        .offset:         0
        .size:           8
        .value_kind:     global_buffer
      - .address_space:  global
        .offset:         8
        .size:           8
        .value_kind:     global_buffer
      - .offset:         16
        .size:           4
        .value_kind:     by_value
      - .offset:         20
        .size:           4
        .value_kind:     by_value
      - .offset:         24
        .size:           4
        .value_kind:     by_value
      - .offset:         28
        .size:           4
        .value_kind:     by_value
      - .offset:         32
        .size:           4
        .value_kind:     by_value
      - .offset:         36
        .size:           4
        .value_kind:     by_value
      - .offset:         40
        .size:           12
        .value_kind:     by_value
      - .offset:         52
        .size:           12
        .value_kind:     by_value
      - .offset:         64
        .size:           12
        .value_kind:     by_value
    .group_segment_fixed_size: 0
    .kernarg_segment_align: 8
    .kernarg_segment_size: 76
    .language:       OpenCL C
    .language_version:
      - 2
      - 0
    .max_flat_workgroup_size: 256
    .name:           _ZL33flash_attn_stream_k_fixup_uniformILi256ELi2ELi1EEvPfPK15HIP_vector_typeIfLj2EEiiiiiiS1_IjLj3EES5_S5_
    .private_segment_fixed_size: 0
    .sgpr_count:     24
    .sgpr_spill_count: 0
    .symbol:         _ZL33flash_attn_stream_k_fixup_uniformILi256ELi2ELi1EEvPfPK15HIP_vector_typeIfLj2EEiiiiiiS1_IjLj3EES5_S5_.kd
    .uniform_work_group_size: 1
    .uses_dynamic_stack: false
    .vgpr_count:     17
    .vgpr_spill_count: 0
    .wavefront_size: 64
  - .args:
      - .address_space:  global
        .offset:         0
        .size:           8
        .value_kind:     global_buffer
      - .address_space:  global
        .offset:         8
        .size:           8
        .value_kind:     global_buffer
      - .offset:         16
        .size:           4
        .value_kind:     by_value
      - .offset:         20
        .size:           4
        .value_kind:     by_value
      - .offset:         24
        .size:           4
        .value_kind:     by_value
      - .offset:         28
        .size:           4
        .value_kind:     by_value
      - .offset:         32
        .size:           12
        .value_kind:     by_value
      - .offset:         44
        .size:           12
        .value_kind:     by_value
      - .offset:         56
        .size:           12
        .value_kind:     by_value
      - .offset:         68
        .size:           12
        .value_kind:     by_value
      - .offset:         80
        .size:           4
        .value_kind:     hidden_block_count_x
      - .offset:         84
        .size:           4
        .value_kind:     hidden_block_count_y
      - .offset:         88
        .size:           4
        .value_kind:     hidden_block_count_z
      - .offset:         92
        .size:           2
        .value_kind:     hidden_group_size_x
      - .offset:         94
        .size:           2
        .value_kind:     hidden_group_size_y
      - .offset:         96
        .size:           2
        .value_kind:     hidden_group_size_z
      - .offset:         98
        .size:           2
        .value_kind:     hidden_remainder_x
      - .offset:         100
        .size:           2
        .value_kind:     hidden_remainder_y
      - .offset:         102
        .size:           2
        .value_kind:     hidden_remainder_z
      - .offset:         120
        .size:           8
        .value_kind:     hidden_global_offset_x
      - .offset:         128
        .size:           8
        .value_kind:     hidden_global_offset_y
      - .offset:         136
        .size:           8
        .value_kind:     hidden_global_offset_z
      - .offset:         144
        .size:           2
        .value_kind:     hidden_grid_dims
    .group_segment_fixed_size: 0
    .kernarg_segment_align: 8
    .kernarg_segment_size: 336
    .language:       OpenCL C
    .language_version:
      - 2
      - 0
    .max_flat_workgroup_size: 256
    .name:           _ZL33flash_attn_stream_k_fixup_generalILi256ELi2ELi1EEvPfPK15HIP_vector_typeIfLj2EEiiiiS1_IjLj3EES5_S5_S5_
    .private_segment_fixed_size: 0
    .sgpr_count:     40
    .sgpr_spill_count: 0
    .symbol:         _ZL33flash_attn_stream_k_fixup_generalILi256ELi2ELi1EEvPfPK15HIP_vector_typeIfLj2EEiiiiS1_IjLj3EES5_S5_S5_.kd
    .uniform_work_group_size: 1
    .uses_dynamic_stack: false
    .vgpr_count:     18
    .vgpr_spill_count: 0
    .wavefront_size: 64
  - .args:
      - .address_space:  global
        .offset:         0
        .size:           8
        .value_kind:     global_buffer
      - .address_space:  global
        .offset:         8
        .size:           8
        .value_kind:     global_buffer
      - .address_space:  global
        .offset:         16
        .size:           8
        .value_kind:     global_buffer
      - .address_space:  global
        .offset:         24
        .size:           8
        .value_kind:     global_buffer
      - .address_space:  global
        .offset:         32
        .size:           8
        .value_kind:     global_buffer
      - .address_space:  global
        .offset:         40
        .size:           8
        .value_kind:     global_buffer
      - .address_space:  global
        .offset:         48
        .size:           8
        .value_kind:     global_buffer
      - .address_space:  global
        .offset:         56
        .size:           8
        .value_kind:     global_buffer
      - .offset:         64
        .size:           4
        .value_kind:     by_value
      - .offset:         68
        .size:           4
        .value_kind:     by_value
      - .offset:         72
        .size:           4
        .value_kind:     by_value
      - .offset:         76
        .size:           4
        .value_kind:     by_value
      - .offset:         80
        .size:           4
        .value_kind:     by_value
      - .offset:         84
        .size:           4
        .value_kind:     by_value
      - .offset:         88
        .size:           4
        .value_kind:     by_value
      - .offset:         92
        .size:           12
        .value_kind:     by_value
      - .offset:         104
        .size:           4
        .value_kind:     by_value
      - .offset:         108
        .size:           4
        .value_kind:     by_value
      - .offset:         112
        .size:           4
        .value_kind:     by_value
      - .offset:         116
        .size:           4
        .value_kind:     by_value
      - .offset:         120
        .size:           4
        .value_kind:     by_value
      - .offset:         124
        .size:           4
        .value_kind:     by_value
      - .offset:         128
        .size:           4
        .value_kind:     by_value
      - .offset:         132
        .size:           4
        .value_kind:     by_value
      - .offset:         136
        .size:           4
        .value_kind:     by_value
      - .offset:         140
        .size:           4
        .value_kind:     by_value
      - .offset:         144
        .size:           4
        .value_kind:     by_value
      - .offset:         152
        .size:           8
        .value_kind:     by_value
      - .offset:         160
        .size:           4
        .value_kind:     by_value
      - .offset:         164
        .size:           4
        .value_kind:     by_value
      - .offset:         168
        .size:           8
        .value_kind:     by_value
      - .offset:         176
        .size:           4
        .value_kind:     by_value
      - .offset:         180
        .size:           4
        .value_kind:     by_value
      - .offset:         184
        .size:           4
        .value_kind:     by_value
      - .offset:         188
        .size:           4
        .value_kind:     by_value
      - .offset:         192
        .size:           4
        .value_kind:     by_value
      - .offset:         200
        .size:           8
        .value_kind:     by_value
      - .offset:         208
        .size:           4
        .value_kind:     hidden_block_count_x
      - .offset:         212
        .size:           4
        .value_kind:     hidden_block_count_y
      - .offset:         216
        .size:           4
        .value_kind:     hidden_block_count_z
      - .offset:         220
        .size:           2
        .value_kind:     hidden_group_size_x
      - .offset:         222
        .size:           2
        .value_kind:     hidden_group_size_y
      - .offset:         224
        .size:           2
        .value_kind:     hidden_group_size_z
      - .offset:         226
        .size:           2
        .value_kind:     hidden_remainder_x
      - .offset:         228
        .size:           2
        .value_kind:     hidden_remainder_y
      - .offset:         230
        .size:           2
        .value_kind:     hidden_remainder_z
      - .offset:         248
        .size:           8
        .value_kind:     hidden_global_offset_x
      - .offset:         256
        .size:           8
        .value_kind:     hidden_global_offset_y
      - .offset:         264
        .size:           8
        .value_kind:     hidden_global_offset_z
      - .offset:         272
        .size:           2
        .value_kind:     hidden_grid_dims
    .group_segment_fixed_size: 27136
    .kernarg_segment_align: 8
    .kernarg_segment_size: 464
    .language:       OpenCL C
    .language_version:
      - 2
      - 0
    .max_flat_workgroup_size: 256
    .name:           _ZL15flash_attn_tileILi256ELi256ELi4ELi8ELb1EEvPKcS1_S1_S1_S1_PKiPfP15HIP_vector_typeIfLj2EEffffjfiS5_IjLj3EEiiiiiiiiiiiliiliiiiil
    .private_segment_fixed_size: 0
    .sgpr_count:     48
    .sgpr_spill_count: 0
    .symbol:         _ZL15flash_attn_tileILi256ELi256ELi4ELi8ELb1EEvPKcS1_S1_S1_S1_PKiPfP15HIP_vector_typeIfLj2EEffffjfiS5_IjLj3EEiiiiiiiiiiiliiliiiiil.kd
    .uniform_work_group_size: 1
    .uses_dynamic_stack: false
    .vgpr_count:     97
    .vgpr_spill_count: 0
    .wavefront_size: 64
  - .args:
      - .address_space:  global
        .offset:         0
        .size:           8
        .value_kind:     global_buffer
      - .address_space:  global
        .offset:         8
        .size:           8
        .value_kind:     global_buffer
      - .address_space:  global
        .offset:         16
        .size:           8
        .value_kind:     global_buffer
      - .address_space:  global
        .offset:         24
        .size:           8
        .value_kind:     global_buffer
      - .address_space:  global
        .offset:         32
        .size:           8
        .value_kind:     global_buffer
      - .address_space:  global
        .offset:         40
        .size:           8
        .value_kind:     global_buffer
      - .address_space:  global
        .offset:         48
        .size:           8
        .value_kind:     global_buffer
      - .address_space:  global
        .offset:         56
        .size:           8
        .value_kind:     global_buffer
      - .offset:         64
        .size:           4
        .value_kind:     by_value
      - .offset:         68
        .size:           4
        .value_kind:     by_value
      - .offset:         72
        .size:           4
        .value_kind:     by_value
      - .offset:         76
        .size:           4
        .value_kind:     by_value
      - .offset:         80
        .size:           4
        .value_kind:     by_value
      - .offset:         84
        .size:           4
        .value_kind:     by_value
      - .offset:         88
        .size:           4
        .value_kind:     by_value
      - .offset:         92
        .size:           12
        .value_kind:     by_value
      - .offset:         104
        .size:           4
        .value_kind:     by_value
      - .offset:         108
        .size:           4
        .value_kind:     by_value
      - .offset:         112
        .size:           4
        .value_kind:     by_value
      - .offset:         116
        .size:           4
        .value_kind:     by_value
      - .offset:         120
        .size:           4
        .value_kind:     by_value
      - .offset:         124
        .size:           4
        .value_kind:     by_value
      - .offset:         128
        .size:           4
        .value_kind:     by_value
      - .offset:         132
        .size:           4
        .value_kind:     by_value
      - .offset:         136
        .size:           4
        .value_kind:     by_value
      - .offset:         140
        .size:           4
        .value_kind:     by_value
      - .offset:         144
        .size:           4
        .value_kind:     by_value
      - .offset:         152
        .size:           8
        .value_kind:     by_value
      - .offset:         160
        .size:           4
        .value_kind:     by_value
      - .offset:         164
        .size:           4
        .value_kind:     by_value
      - .offset:         168
        .size:           8
        .value_kind:     by_value
      - .offset:         176
        .size:           4
        .value_kind:     by_value
      - .offset:         180
        .size:           4
        .value_kind:     by_value
      - .offset:         184
        .size:           4
        .value_kind:     by_value
      - .offset:         188
        .size:           4
        .value_kind:     by_value
      - .offset:         192
        .size:           4
        .value_kind:     by_value
      - .offset:         200
        .size:           8
        .value_kind:     by_value
      - .offset:         208
        .size:           4
        .value_kind:     hidden_block_count_x
      - .offset:         212
        .size:           4
        .value_kind:     hidden_block_count_y
      - .offset:         216
        .size:           4
        .value_kind:     hidden_block_count_z
      - .offset:         220
        .size:           2
        .value_kind:     hidden_group_size_x
      - .offset:         222
        .size:           2
        .value_kind:     hidden_group_size_y
      - .offset:         224
        .size:           2
        .value_kind:     hidden_group_size_z
      - .offset:         226
        .size:           2
        .value_kind:     hidden_remainder_x
      - .offset:         228
        .size:           2
        .value_kind:     hidden_remainder_y
      - .offset:         230
        .size:           2
        .value_kind:     hidden_remainder_z
      - .offset:         248
        .size:           8
        .value_kind:     hidden_global_offset_x
      - .offset:         256
        .size:           8
        .value_kind:     hidden_global_offset_y
      - .offset:         264
        .size:           8
        .value_kind:     hidden_global_offset_z
      - .offset:         272
        .size:           2
        .value_kind:     hidden_grid_dims
    .group_segment_fixed_size: 17920
    .kernarg_segment_align: 8
    .kernarg_segment_size: 464
    .language:       OpenCL C
    .language_version:
      - 2
      - 0
    .max_flat_workgroup_size: 256
    .name:           _ZL15flash_attn_tileILi256ELi256ELi2ELi8ELb1EEvPKcS1_S1_S1_S1_PKiPfP15HIP_vector_typeIfLj2EEffffjfiS5_IjLj3EEiiiiiiiiiiiliiliiiiil
    .private_segment_fixed_size: 0
    .sgpr_count:     48
    .sgpr_spill_count: 0
    .symbol:         _ZL15flash_attn_tileILi256ELi256ELi2ELi8ELb1EEvPKcS1_S1_S1_S1_PKiPfP15HIP_vector_typeIfLj2EEffffjfiS5_IjLj3EEiiiiiiiiiiiliiliiiiil.kd
    .uniform_work_group_size: 1
    .uses_dynamic_stack: false
    .vgpr_count:     71
    .vgpr_spill_count: 0
    .wavefront_size: 64
  - .args:
      - .address_space:  global
        .offset:         0
        .size:           8
        .value_kind:     global_buffer
      - .address_space:  global
        .offset:         8
        .size:           8
        .value_kind:     global_buffer
      - .address_space:  global
        .offset:         16
        .size:           8
        .value_kind:     global_buffer
      - .address_space:  global
        .offset:         24
        .size:           8
        .value_kind:     global_buffer
      - .address_space:  global
        .offset:         32
        .size:           8
        .value_kind:     global_buffer
      - .address_space:  global
        .offset:         40
        .size:           8
        .value_kind:     global_buffer
      - .address_space:  global
        .offset:         48
        .size:           8
        .value_kind:     global_buffer
      - .address_space:  global
        .offset:         56
        .size:           8
        .value_kind:     global_buffer
      - .offset:         64
        .size:           4
        .value_kind:     by_value
      - .offset:         68
        .size:           4
        .value_kind:     by_value
      - .offset:         72
        .size:           4
        .value_kind:     by_value
      - .offset:         76
        .size:           4
        .value_kind:     by_value
      - .offset:         80
        .size:           4
        .value_kind:     by_value
      - .offset:         84
        .size:           4
        .value_kind:     by_value
      - .offset:         88
        .size:           4
        .value_kind:     by_value
      - .offset:         92
        .size:           12
        .value_kind:     by_value
      - .offset:         104
        .size:           4
        .value_kind:     by_value
      - .offset:         108
        .size:           4
        .value_kind:     by_value
      - .offset:         112
        .size:           4
        .value_kind:     by_value
      - .offset:         116
        .size:           4
        .value_kind:     by_value
      - .offset:         120
        .size:           4
        .value_kind:     by_value
      - .offset:         124
        .size:           4
        .value_kind:     by_value
      - .offset:         128
        .size:           4
        .value_kind:     by_value
      - .offset:         132
        .size:           4
        .value_kind:     by_value
      - .offset:         136
        .size:           4
        .value_kind:     by_value
      - .offset:         140
        .size:           4
        .value_kind:     by_value
      - .offset:         144
        .size:           4
        .value_kind:     by_value
      - .offset:         152
        .size:           8
        .value_kind:     by_value
      - .offset:         160
        .size:           4
        .value_kind:     by_value
      - .offset:         164
        .size:           4
        .value_kind:     by_value
      - .offset:         168
        .size:           8
        .value_kind:     by_value
      - .offset:         176
        .size:           4
        .value_kind:     by_value
      - .offset:         180
        .size:           4
        .value_kind:     by_value
      - .offset:         184
        .size:           4
        .value_kind:     by_value
      - .offset:         188
        .size:           4
        .value_kind:     by_value
      - .offset:         192
        .size:           4
        .value_kind:     by_value
      - .offset:         200
        .size:           8
        .value_kind:     by_value
      - .offset:         208
        .size:           4
        .value_kind:     hidden_block_count_x
      - .offset:         212
        .size:           4
        .value_kind:     hidden_block_count_y
      - .offset:         216
        .size:           4
        .value_kind:     hidden_block_count_z
      - .offset:         220
        .size:           2
        .value_kind:     hidden_group_size_x
      - .offset:         222
        .size:           2
        .value_kind:     hidden_group_size_y
      - .offset:         224
        .size:           2
        .value_kind:     hidden_group_size_z
      - .offset:         226
        .size:           2
        .value_kind:     hidden_remainder_x
      - .offset:         228
        .size:           2
        .value_kind:     hidden_remainder_y
      - .offset:         230
        .size:           2
        .value_kind:     hidden_remainder_z
      - .offset:         248
        .size:           8
        .value_kind:     hidden_global_offset_x
      - .offset:         256
        .size:           8
        .value_kind:     hidden_global_offset_y
      - .offset:         264
        .size:           8
        .value_kind:     hidden_global_offset_z
      - .offset:         272
        .size:           2
        .value_kind:     hidden_grid_dims
    .group_segment_fixed_size: 22528
    .kernarg_segment_align: 8
    .kernarg_segment_size: 464
    .language:       OpenCL C
    .language_version:
      - 2
      - 0
    .max_flat_workgroup_size: 256
    .name:           _ZL15flash_attn_tileILi256ELi256ELi1ELi8ELb1EEvPKcS1_S1_S1_S1_PKiPfP15HIP_vector_typeIfLj2EEffffjfiS5_IjLj3EEiiiiiiiiiiiliiliiiiil
    .private_segment_fixed_size: 0
    .sgpr_count:     44
    .sgpr_spill_count: 0
    .symbol:         _ZL15flash_attn_tileILi256ELi256ELi1ELi8ELb1EEvPKcS1_S1_S1_S1_PKiPfP15HIP_vector_typeIfLj2EEffffjfiS5_IjLj3EEiiiiiiiiiiiliiliiiiil.kd
    .uniform_work_group_size: 1
    .uses_dynamic_stack: false
    .vgpr_count:     81
    .vgpr_spill_count: 0
    .wavefront_size: 64
  - .args:
      - .address_space:  global
        .offset:         0
        .size:           8
        .value_kind:     global_buffer
      - .address_space:  global
        .offset:         8
        .size:           8
        .value_kind:     global_buffer
      - .address_space:  global
        .offset:         16
        .size:           8
        .value_kind:     global_buffer
      - .address_space:  global
        .offset:         24
        .size:           8
        .value_kind:     global_buffer
      - .address_space:  global
        .offset:         32
        .size:           8
        .value_kind:     global_buffer
      - .address_space:  global
        .offset:         40
        .size:           8
        .value_kind:     global_buffer
      - .address_space:  global
        .offset:         48
        .size:           8
        .value_kind:     global_buffer
      - .address_space:  global
        .offset:         56
        .size:           8
        .value_kind:     global_buffer
      - .offset:         64
        .size:           4
        .value_kind:     by_value
      - .offset:         68
        .size:           4
        .value_kind:     by_value
      - .offset:         72
        .size:           4
        .value_kind:     by_value
      - .offset:         76
        .size:           4
        .value_kind:     by_value
      - .offset:         80
        .size:           4
        .value_kind:     by_value
      - .offset:         84
        .size:           4
        .value_kind:     by_value
      - .offset:         88
        .size:           4
        .value_kind:     by_value
      - .offset:         92
        .size:           12
        .value_kind:     by_value
      - .offset:         104
        .size:           4
        .value_kind:     by_value
      - .offset:         108
        .size:           4
        .value_kind:     by_value
      - .offset:         112
        .size:           4
        .value_kind:     by_value
      - .offset:         116
        .size:           4
        .value_kind:     by_value
      - .offset:         120
        .size:           4
        .value_kind:     by_value
      - .offset:         124
        .size:           4
        .value_kind:     by_value
      - .offset:         128
        .size:           4
        .value_kind:     by_value
      - .offset:         132
        .size:           4
        .value_kind:     by_value
      - .offset:         136
        .size:           4
        .value_kind:     by_value
      - .offset:         140
        .size:           4
        .value_kind:     by_value
      - .offset:         144
        .size:           4
        .value_kind:     by_value
      - .offset:         152
        .size:           8
        .value_kind:     by_value
      - .offset:         160
        .size:           4
        .value_kind:     by_value
      - .offset:         164
        .size:           4
        .value_kind:     by_value
      - .offset:         168
        .size:           8
        .value_kind:     by_value
      - .offset:         176
        .size:           4
        .value_kind:     by_value
      - .offset:         180
        .size:           4
        .value_kind:     by_value
      - .offset:         184
        .size:           4
        .value_kind:     by_value
      - .offset:         188
        .size:           4
        .value_kind:     by_value
      - .offset:         192
        .size:           4
        .value_kind:     by_value
      - .offset:         200
        .size:           8
        .value_kind:     by_value
      - .offset:         208
        .size:           4
        .value_kind:     hidden_block_count_x
      - .offset:         212
        .size:           4
        .value_kind:     hidden_block_count_y
      - .offset:         216
        .size:           4
        .value_kind:     hidden_block_count_z
      - .offset:         220
        .size:           2
        .value_kind:     hidden_group_size_x
      - .offset:         222
        .size:           2
        .value_kind:     hidden_group_size_y
      - .offset:         224
        .size:           2
        .value_kind:     hidden_group_size_z
      - .offset:         226
        .size:           2
        .value_kind:     hidden_remainder_x
      - .offset:         228
        .size:           2
        .value_kind:     hidden_remainder_y
      - .offset:         230
        .size:           2
        .value_kind:     hidden_remainder_z
      - .offset:         248
        .size:           8
        .value_kind:     hidden_global_offset_x
      - .offset:         256
        .size:           8
        .value_kind:     hidden_global_offset_y
      - .offset:         264
        .size:           8
        .value_kind:     hidden_global_offset_z
      - .offset:         272
        .size:           2
        .value_kind:     hidden_grid_dims
    .group_segment_fixed_size: 27136
    .kernarg_segment_align: 8
    .kernarg_segment_size: 464
    .language:       OpenCL C
    .language_version:
      - 2
      - 0
    .max_flat_workgroup_size: 256
    .name:           _ZL15flash_attn_tileILi256ELi256ELi8ELi4ELb1EEvPKcS1_S1_S1_S1_PKiPfP15HIP_vector_typeIfLj2EEffffjfiS5_IjLj3EEiiiiiiiiiiiliiliiiiil
    .private_segment_fixed_size: 0
    .sgpr_count:     44
    .sgpr_spill_count: 0
    .symbol:         _ZL15flash_attn_tileILi256ELi256ELi8ELi4ELb1EEvPKcS1_S1_S1_S1_PKiPfP15HIP_vector_typeIfLj2EEffffjfiS5_IjLj3EEiiiiiiiiiiiliiliiiiil.kd
    .uniform_work_group_size: 1
    .uses_dynamic_stack: false
    .vgpr_count:     96
    .vgpr_spill_count: 0
    .wavefront_size: 64
  - .args:
      - .address_space:  global
        .offset:         0
        .size:           8
        .value_kind:     global_buffer
      - .address_space:  global
        .offset:         8
        .size:           8
        .value_kind:     global_buffer
      - .address_space:  global
        .offset:         16
        .size:           8
        .value_kind:     global_buffer
      - .address_space:  global
        .offset:         24
        .size:           8
        .value_kind:     global_buffer
      - .address_space:  global
        .offset:         32
        .size:           8
        .value_kind:     global_buffer
      - .address_space:  global
        .offset:         40
        .size:           8
        .value_kind:     global_buffer
      - .address_space:  global
        .offset:         48
        .size:           8
        .value_kind:     global_buffer
      - .address_space:  global
        .offset:         56
        .size:           8
        .value_kind:     global_buffer
      - .offset:         64
        .size:           4
        .value_kind:     by_value
      - .offset:         68
        .size:           4
        .value_kind:     by_value
      - .offset:         72
        .size:           4
        .value_kind:     by_value
      - .offset:         76
        .size:           4
        .value_kind:     by_value
      - .offset:         80
        .size:           4
        .value_kind:     by_value
      - .offset:         84
        .size:           4
        .value_kind:     by_value
      - .offset:         88
        .size:           4
        .value_kind:     by_value
      - .offset:         92
        .size:           12
        .value_kind:     by_value
      - .offset:         104
        .size:           4
        .value_kind:     by_value
      - .offset:         108
        .size:           4
        .value_kind:     by_value
      - .offset:         112
        .size:           4
        .value_kind:     by_value
      - .offset:         116
        .size:           4
        .value_kind:     by_value
      - .offset:         120
        .size:           4
        .value_kind:     by_value
      - .offset:         124
        .size:           4
        .value_kind:     by_value
      - .offset:         128
        .size:           4
        .value_kind:     by_value
      - .offset:         132
        .size:           4
        .value_kind:     by_value
      - .offset:         136
        .size:           4
        .value_kind:     by_value
      - .offset:         140
        .size:           4
        .value_kind:     by_value
      - .offset:         144
        .size:           4
        .value_kind:     by_value
      - .offset:         152
        .size:           8
        .value_kind:     by_value
      - .offset:         160
        .size:           4
        .value_kind:     by_value
      - .offset:         164
        .size:           4
        .value_kind:     by_value
      - .offset:         168
        .size:           8
        .value_kind:     by_value
      - .offset:         176
        .size:           4
        .value_kind:     by_value
      - .offset:         180
        .size:           4
        .value_kind:     by_value
      - .offset:         184
        .size:           4
        .value_kind:     by_value
      - .offset:         188
        .size:           4
        .value_kind:     by_value
      - .offset:         192
        .size:           4
        .value_kind:     by_value
      - .offset:         200
        .size:           8
        .value_kind:     by_value
      - .offset:         208
        .size:           4
        .value_kind:     hidden_block_count_x
      - .offset:         212
        .size:           4
        .value_kind:     hidden_block_count_y
      - .offset:         216
        .size:           4
        .value_kind:     hidden_block_count_z
      - .offset:         220
        .size:           2
        .value_kind:     hidden_group_size_x
      - .offset:         222
        .size:           2
        .value_kind:     hidden_group_size_y
      - .offset:         224
        .size:           2
        .value_kind:     hidden_group_size_z
      - .offset:         226
        .size:           2
        .value_kind:     hidden_remainder_x
      - .offset:         228
        .size:           2
        .value_kind:     hidden_remainder_y
      - .offset:         230
        .size:           2
        .value_kind:     hidden_remainder_z
      - .offset:         248
        .size:           8
        .value_kind:     hidden_global_offset_x
      - .offset:         256
        .size:           8
        .value_kind:     hidden_global_offset_y
      - .offset:         264
        .size:           8
        .value_kind:     hidden_global_offset_z
      - .offset:         272
        .size:           2
        .value_kind:     hidden_grid_dims
    .group_segment_fixed_size: 17920
    .kernarg_segment_align: 8
    .kernarg_segment_size: 464
    .language:       OpenCL C
    .language_version:
      - 2
      - 0
    .max_flat_workgroup_size: 256
    .name:           _ZL15flash_attn_tileILi256ELi256ELi4ELi4ELb1EEvPKcS1_S1_S1_S1_PKiPfP15HIP_vector_typeIfLj2EEffffjfiS5_IjLj3EEiiiiiiiiiiiliiliiiiil
    .private_segment_fixed_size: 0
    .sgpr_count:     48
    .sgpr_spill_count: 0
    .symbol:         _ZL15flash_attn_tileILi256ELi256ELi4ELi4ELb1EEvPKcS1_S1_S1_S1_PKiPfP15HIP_vector_typeIfLj2EEffffjfiS5_IjLj3EEiiiiiiiiiiiliiliiiiil.kd
    .uniform_work_group_size: 1
    .uses_dynamic_stack: false
    .vgpr_count:     71
    .vgpr_spill_count: 0
    .wavefront_size: 64
  - .args:
      - .address_space:  global
        .offset:         0
        .size:           8
        .value_kind:     global_buffer
      - .address_space:  global
        .offset:         8
        .size:           8
        .value_kind:     global_buffer
      - .address_space:  global
        .offset:         16
        .size:           8
        .value_kind:     global_buffer
      - .address_space:  global
        .offset:         24
        .size:           8
        .value_kind:     global_buffer
      - .address_space:  global
        .offset:         32
        .size:           8
        .value_kind:     global_buffer
      - .address_space:  global
        .offset:         40
        .size:           8
        .value_kind:     global_buffer
      - .address_space:  global
        .offset:         48
        .size:           8
        .value_kind:     global_buffer
      - .address_space:  global
        .offset:         56
        .size:           8
        .value_kind:     global_buffer
      - .offset:         64
        .size:           4
        .value_kind:     by_value
      - .offset:         68
        .size:           4
        .value_kind:     by_value
      - .offset:         72
        .size:           4
        .value_kind:     by_value
      - .offset:         76
        .size:           4
        .value_kind:     by_value
      - .offset:         80
        .size:           4
        .value_kind:     by_value
      - .offset:         84
        .size:           4
        .value_kind:     by_value
      - .offset:         88
        .size:           4
        .value_kind:     by_value
      - .offset:         92
        .size:           12
        .value_kind:     by_value
      - .offset:         104
        .size:           4
        .value_kind:     by_value
      - .offset:         108
        .size:           4
        .value_kind:     by_value
      - .offset:         112
        .size:           4
        .value_kind:     by_value
      - .offset:         116
        .size:           4
        .value_kind:     by_value
      - .offset:         120
        .size:           4
        .value_kind:     by_value
      - .offset:         124
        .size:           4
        .value_kind:     by_value
      - .offset:         128
        .size:           4
        .value_kind:     by_value
      - .offset:         132
        .size:           4
        .value_kind:     by_value
      - .offset:         136
        .size:           4
        .value_kind:     by_value
      - .offset:         140
        .size:           4
        .value_kind:     by_value
      - .offset:         144
        .size:           4
        .value_kind:     by_value
      - .offset:         152
        .size:           8
        .value_kind:     by_value
      - .offset:         160
        .size:           4
        .value_kind:     by_value
      - .offset:         164
        .size:           4
        .value_kind:     by_value
      - .offset:         168
        .size:           8
        .value_kind:     by_value
      - .offset:         176
        .size:           4
        .value_kind:     by_value
      - .offset:         180
        .size:           4
        .value_kind:     by_value
      - .offset:         184
        .size:           4
        .value_kind:     by_value
      - .offset:         188
        .size:           4
        .value_kind:     by_value
      - .offset:         192
        .size:           4
        .value_kind:     by_value
      - .offset:         200
        .size:           8
        .value_kind:     by_value
      - .offset:         208
        .size:           4
        .value_kind:     hidden_block_count_x
      - .offset:         212
        .size:           4
        .value_kind:     hidden_block_count_y
      - .offset:         216
        .size:           4
        .value_kind:     hidden_block_count_z
      - .offset:         220
        .size:           2
        .value_kind:     hidden_group_size_x
      - .offset:         222
        .size:           2
        .value_kind:     hidden_group_size_y
      - .offset:         224
        .size:           2
        .value_kind:     hidden_group_size_z
      - .offset:         226
        .size:           2
        .value_kind:     hidden_remainder_x
      - .offset:         228
        .size:           2
        .value_kind:     hidden_remainder_y
      - .offset:         230
        .size:           2
        .value_kind:     hidden_remainder_z
      - .offset:         248
        .size:           8
        .value_kind:     hidden_global_offset_x
      - .offset:         256
        .size:           8
        .value_kind:     hidden_global_offset_y
      - .offset:         264
        .size:           8
        .value_kind:     hidden_global_offset_z
      - .offset:         272
        .size:           2
        .value_kind:     hidden_grid_dims
    .group_segment_fixed_size: 22528
    .kernarg_segment_align: 8
    .kernarg_segment_size: 464
    .language:       OpenCL C
    .language_version:
      - 2
      - 0
    .max_flat_workgroup_size: 256
    .name:           _ZL15flash_attn_tileILi256ELi256ELi2ELi4ELb1EEvPKcS1_S1_S1_S1_PKiPfP15HIP_vector_typeIfLj2EEffffjfiS5_IjLj3EEiiiiiiiiiiiliiliiiiil
    .private_segment_fixed_size: 0
    .sgpr_count:     44
    .sgpr_spill_count: 0
    .symbol:         _ZL15flash_attn_tileILi256ELi256ELi2ELi4ELb1EEvPKcS1_S1_S1_S1_PKiPfP15HIP_vector_typeIfLj2EEffffjfiS5_IjLj3EEiiiiiiiiiiiliiliiiiil.kd
    .uniform_work_group_size: 1
    .uses_dynamic_stack: false
    .vgpr_count:     81
    .vgpr_spill_count: 0
    .wavefront_size: 64
  - .args:
      - .address_space:  global
        .offset:         0
        .size:           8
        .value_kind:     global_buffer
      - .address_space:  global
        .offset:         8
        .size:           8
        .value_kind:     global_buffer
      - .address_space:  global
        .offset:         16
        .size:           8
        .value_kind:     global_buffer
      - .address_space:  global
        .offset:         24
        .size:           8
        .value_kind:     global_buffer
      - .address_space:  global
        .offset:         32
        .size:           8
        .value_kind:     global_buffer
      - .address_space:  global
        .offset:         40
        .size:           8
        .value_kind:     global_buffer
      - .address_space:  global
        .offset:         48
        .size:           8
        .value_kind:     global_buffer
      - .address_space:  global
        .offset:         56
        .size:           8
        .value_kind:     global_buffer
      - .offset:         64
        .size:           4
        .value_kind:     by_value
      - .offset:         68
        .size:           4
        .value_kind:     by_value
      - .offset:         72
        .size:           4
        .value_kind:     by_value
      - .offset:         76
        .size:           4
        .value_kind:     by_value
      - .offset:         80
        .size:           4
        .value_kind:     by_value
      - .offset:         84
        .size:           4
        .value_kind:     by_value
      - .offset:         88
        .size:           4
        .value_kind:     by_value
      - .offset:         92
        .size:           12
        .value_kind:     by_value
      - .offset:         104
        .size:           4
        .value_kind:     by_value
      - .offset:         108
        .size:           4
        .value_kind:     by_value
      - .offset:         112
        .size:           4
        .value_kind:     by_value
      - .offset:         116
        .size:           4
        .value_kind:     by_value
      - .offset:         120
        .size:           4
        .value_kind:     by_value
      - .offset:         124
        .size:           4
        .value_kind:     by_value
      - .offset:         128
        .size:           4
        .value_kind:     by_value
      - .offset:         132
        .size:           4
        .value_kind:     by_value
      - .offset:         136
        .size:           4
        .value_kind:     by_value
      - .offset:         140
        .size:           4
        .value_kind:     by_value
      - .offset:         144
        .size:           4
        .value_kind:     by_value
      - .offset:         152
        .size:           8
        .value_kind:     by_value
      - .offset:         160
        .size:           4
        .value_kind:     by_value
      - .offset:         164
        .size:           4
        .value_kind:     by_value
      - .offset:         168
        .size:           8
        .value_kind:     by_value
      - .offset:         176
        .size:           4
        .value_kind:     by_value
      - .offset:         180
        .size:           4
        .value_kind:     by_value
      - .offset:         184
        .size:           4
        .value_kind:     by_value
      - .offset:         188
        .size:           4
        .value_kind:     by_value
      - .offset:         192
        .size:           4
        .value_kind:     by_value
      - .offset:         200
        .size:           8
        .value_kind:     by_value
      - .offset:         208
        .size:           4
        .value_kind:     hidden_block_count_x
      - .offset:         212
        .size:           4
        .value_kind:     hidden_block_count_y
      - .offset:         216
        .size:           4
        .value_kind:     hidden_block_count_z
      - .offset:         220
        .size:           2
        .value_kind:     hidden_group_size_x
      - .offset:         222
        .size:           2
        .value_kind:     hidden_group_size_y
      - .offset:         224
        .size:           2
        .value_kind:     hidden_group_size_z
      - .offset:         226
        .size:           2
        .value_kind:     hidden_remainder_x
      - .offset:         228
        .size:           2
        .value_kind:     hidden_remainder_y
      - .offset:         230
        .size:           2
        .value_kind:     hidden_remainder_z
      - .offset:         248
        .size:           8
        .value_kind:     hidden_global_offset_x
      - .offset:         256
        .size:           8
        .value_kind:     hidden_global_offset_y
      - .offset:         264
        .size:           8
        .value_kind:     hidden_global_offset_z
      - .offset:         272
        .size:           2
        .value_kind:     hidden_grid_dims
    .group_segment_fixed_size: 20000
    .kernarg_segment_align: 8
    .kernarg_segment_size: 464
    .language:       OpenCL C
    .language_version:
      - 2
      - 0
    .max_flat_workgroup_size: 256
    .name:           _ZL15flash_attn_tileILi256ELi256ELi1ELi4ELb1EEvPKcS1_S1_S1_S1_PKiPfP15HIP_vector_typeIfLj2EEffffjfiS5_IjLj3EEiiiiiiiiiiiliiliiiiil
    .private_segment_fixed_size: 0
    .sgpr_count:     46
    .sgpr_spill_count: 0
    .symbol:         _ZL15flash_attn_tileILi256ELi256ELi1ELi4ELb1EEvPKcS1_S1_S1_S1_PKiPfP15HIP_vector_typeIfLj2EEffffjfiS5_IjLj3EEiiiiiiiiiiiliiliiiiil.kd
    .uniform_work_group_size: 1
    .uses_dynamic_stack: false
    .vgpr_count:     108
    .vgpr_spill_count: 0
    .wavefront_size: 64
  - .args:
      - .address_space:  global
        .offset:         0
        .size:           8
        .value_kind:     global_buffer
      - .address_space:  global
        .offset:         8
        .size:           8
        .value_kind:     global_buffer
      - .address_space:  global
        .offset:         16
        .size:           8
        .value_kind:     global_buffer
      - .address_space:  global
        .offset:         24
        .size:           8
        .value_kind:     global_buffer
      - .address_space:  global
        .offset:         32
        .size:           8
        .value_kind:     global_buffer
      - .address_space:  global
        .offset:         40
        .size:           8
        .value_kind:     global_buffer
      - .address_space:  global
        .offset:         48
        .size:           8
        .value_kind:     global_buffer
      - .address_space:  global
        .offset:         56
        .size:           8
        .value_kind:     global_buffer
      - .offset:         64
        .size:           4
        .value_kind:     by_value
      - .offset:         68
        .size:           4
        .value_kind:     by_value
      - .offset:         72
        .size:           4
        .value_kind:     by_value
      - .offset:         76
        .size:           4
        .value_kind:     by_value
      - .offset:         80
        .size:           4
        .value_kind:     by_value
      - .offset:         84
        .size:           4
        .value_kind:     by_value
      - .offset:         88
        .size:           4
        .value_kind:     by_value
      - .offset:         92
        .size:           12
        .value_kind:     by_value
      - .offset:         104
        .size:           4
        .value_kind:     by_value
      - .offset:         108
        .size:           4
        .value_kind:     by_value
      - .offset:         112
        .size:           4
        .value_kind:     by_value
      - .offset:         116
        .size:           4
        .value_kind:     by_value
      - .offset:         120
        .size:           4
        .value_kind:     by_value
      - .offset:         124
        .size:           4
        .value_kind:     by_value
      - .offset:         128
        .size:           4
        .value_kind:     by_value
      - .offset:         132
        .size:           4
        .value_kind:     by_value
      - .offset:         136
        .size:           4
        .value_kind:     by_value
      - .offset:         140
        .size:           4
        .value_kind:     by_value
      - .offset:         144
        .size:           4
        .value_kind:     by_value
      - .offset:         152
        .size:           8
        .value_kind:     by_value
      - .offset:         160
        .size:           4
        .value_kind:     by_value
      - .offset:         164
        .size:           4
        .value_kind:     by_value
      - .offset:         168
        .size:           8
        .value_kind:     by_value
      - .offset:         176
        .size:           4
        .value_kind:     by_value
      - .offset:         180
        .size:           4
        .value_kind:     by_value
      - .offset:         184
        .size:           4
        .value_kind:     by_value
      - .offset:         188
        .size:           4
        .value_kind:     by_value
      - .offset:         192
        .size:           4
        .value_kind:     by_value
      - .offset:         200
        .size:           8
        .value_kind:     by_value
      - .offset:         208
        .size:           4
        .value_kind:     hidden_block_count_x
      - .offset:         212
        .size:           4
        .value_kind:     hidden_block_count_y
      - .offset:         216
        .size:           4
        .value_kind:     hidden_block_count_z
      - .offset:         220
        .size:           2
        .value_kind:     hidden_group_size_x
      - .offset:         222
        .size:           2
        .value_kind:     hidden_group_size_y
      - .offset:         224
        .size:           2
        .value_kind:     hidden_group_size_z
      - .offset:         226
        .size:           2
        .value_kind:     hidden_remainder_x
      - .offset:         228
        .size:           2
        .value_kind:     hidden_remainder_y
      - .offset:         230
        .size:           2
        .value_kind:     hidden_remainder_z
      - .offset:         248
        .size:           8
        .value_kind:     hidden_global_offset_x
      - .offset:         256
        .size:           8
        .value_kind:     hidden_global_offset_y
      - .offset:         264
        .size:           8
        .value_kind:     hidden_global_offset_z
      - .offset:         272
        .size:           2
        .value_kind:     hidden_grid_dims
    .group_segment_fixed_size: 27136
    .kernarg_segment_align: 8
    .kernarg_segment_size: 464
    .language:       OpenCL C
    .language_version:
      - 2
      - 0
    .max_flat_workgroup_size: 256
    .name:           _ZL15flash_attn_tileILi256ELi256ELi16ELi2ELb1EEvPKcS1_S1_S1_S1_PKiPfP15HIP_vector_typeIfLj2EEffffjfiS5_IjLj3EEiiiiiiiiiiiliiliiiiil
    .private_segment_fixed_size: 0
    .sgpr_count:     47
    .sgpr_spill_count: 0
    .symbol:         _ZL15flash_attn_tileILi256ELi256ELi16ELi2ELb1EEvPKcS1_S1_S1_S1_PKiPfP15HIP_vector_typeIfLj2EEffffjfiS5_IjLj3EEiiiiiiiiiiiliiliiiiil.kd
    .uniform_work_group_size: 1
    .uses_dynamic_stack: false
    .vgpr_count:     102
    .vgpr_spill_count: 0
    .wavefront_size: 64
  - .args:
      - .address_space:  global
        .offset:         0
        .size:           8
        .value_kind:     global_buffer
      - .address_space:  global
        .offset:         8
        .size:           8
        .value_kind:     global_buffer
      - .address_space:  global
        .offset:         16
        .size:           8
        .value_kind:     global_buffer
      - .address_space:  global
        .offset:         24
        .size:           8
        .value_kind:     global_buffer
      - .address_space:  global
        .offset:         32
        .size:           8
        .value_kind:     global_buffer
      - .address_space:  global
        .offset:         40
        .size:           8
        .value_kind:     global_buffer
      - .address_space:  global
        .offset:         48
        .size:           8
        .value_kind:     global_buffer
      - .address_space:  global
        .offset:         56
        .size:           8
        .value_kind:     global_buffer
      - .offset:         64
        .size:           4
        .value_kind:     by_value
      - .offset:         68
        .size:           4
        .value_kind:     by_value
      - .offset:         72
        .size:           4
        .value_kind:     by_value
      - .offset:         76
        .size:           4
        .value_kind:     by_value
      - .offset:         80
        .size:           4
        .value_kind:     by_value
      - .offset:         84
        .size:           4
        .value_kind:     by_value
      - .offset:         88
        .size:           4
        .value_kind:     by_value
      - .offset:         92
        .size:           12
        .value_kind:     by_value
      - .offset:         104
        .size:           4
        .value_kind:     by_value
      - .offset:         108
        .size:           4
        .value_kind:     by_value
      - .offset:         112
        .size:           4
        .value_kind:     by_value
      - .offset:         116
        .size:           4
        .value_kind:     by_value
      - .offset:         120
        .size:           4
        .value_kind:     by_value
      - .offset:         124
        .size:           4
        .value_kind:     by_value
      - .offset:         128
        .size:           4
        .value_kind:     by_value
      - .offset:         132
        .size:           4
        .value_kind:     by_value
      - .offset:         136
        .size:           4
        .value_kind:     by_value
      - .offset:         140
        .size:           4
        .value_kind:     by_value
      - .offset:         144
        .size:           4
        .value_kind:     by_value
      - .offset:         152
        .size:           8
        .value_kind:     by_value
      - .offset:         160
        .size:           4
        .value_kind:     by_value
      - .offset:         164
        .size:           4
        .value_kind:     by_value
      - .offset:         168
        .size:           8
        .value_kind:     by_value
      - .offset:         176
        .size:           4
        .value_kind:     by_value
      - .offset:         180
        .size:           4
        .value_kind:     by_value
      - .offset:         184
        .size:           4
        .value_kind:     by_value
      - .offset:         188
        .size:           4
        .value_kind:     by_value
      - .offset:         192
        .size:           4
        .value_kind:     by_value
      - .offset:         200
        .size:           8
        .value_kind:     by_value
      - .offset:         208
        .size:           4
        .value_kind:     hidden_block_count_x
      - .offset:         212
        .size:           4
        .value_kind:     hidden_block_count_y
      - .offset:         216
        .size:           4
        .value_kind:     hidden_block_count_z
      - .offset:         220
        .size:           2
        .value_kind:     hidden_group_size_x
      - .offset:         222
        .size:           2
        .value_kind:     hidden_group_size_y
      - .offset:         224
        .size:           2
        .value_kind:     hidden_group_size_z
      - .offset:         226
        .size:           2
        .value_kind:     hidden_remainder_x
      - .offset:         228
        .size:           2
        .value_kind:     hidden_remainder_y
      - .offset:         230
        .size:           2
        .value_kind:     hidden_remainder_z
      - .offset:         248
        .size:           8
        .value_kind:     hidden_global_offset_x
      - .offset:         256
        .size:           8
        .value_kind:     hidden_global_offset_y
      - .offset:         264
        .size:           8
        .value_kind:     hidden_global_offset_z
      - .offset:         272
        .size:           2
        .value_kind:     hidden_grid_dims
    .group_segment_fixed_size: 17920
    .kernarg_segment_align: 8
    .kernarg_segment_size: 464
    .language:       OpenCL C
    .language_version:
      - 2
      - 0
    .max_flat_workgroup_size: 256
    .name:           _ZL15flash_attn_tileILi256ELi256ELi8ELi2ELb1EEvPKcS1_S1_S1_S1_PKiPfP15HIP_vector_typeIfLj2EEffffjfiS5_IjLj3EEiiiiiiiiiiiliiliiiiil
    .private_segment_fixed_size: 0
    .sgpr_count:     44
    .sgpr_spill_count: 0
    .symbol:         _ZL15flash_attn_tileILi256ELi256ELi8ELi2ELb1EEvPKcS1_S1_S1_S1_PKiPfP15HIP_vector_typeIfLj2EEffffjfiS5_IjLj3EEiiiiiiiiiiiliiliiiiil.kd
    .uniform_work_group_size: 1
    .uses_dynamic_stack: false
    .vgpr_count:     70
    .vgpr_spill_count: 0
    .wavefront_size: 64
  - .args:
      - .address_space:  global
        .offset:         0
        .size:           8
        .value_kind:     global_buffer
      - .address_space:  global
        .offset:         8
        .size:           8
        .value_kind:     global_buffer
      - .address_space:  global
        .offset:         16
        .size:           8
        .value_kind:     global_buffer
      - .address_space:  global
        .offset:         24
        .size:           8
        .value_kind:     global_buffer
      - .address_space:  global
        .offset:         32
        .size:           8
        .value_kind:     global_buffer
      - .address_space:  global
        .offset:         40
        .size:           8
        .value_kind:     global_buffer
      - .address_space:  global
        .offset:         48
        .size:           8
        .value_kind:     global_buffer
      - .address_space:  global
        .offset:         56
        .size:           8
        .value_kind:     global_buffer
      - .offset:         64
        .size:           4
        .value_kind:     by_value
      - .offset:         68
        .size:           4
        .value_kind:     by_value
      - .offset:         72
        .size:           4
        .value_kind:     by_value
      - .offset:         76
        .size:           4
        .value_kind:     by_value
      - .offset:         80
        .size:           4
        .value_kind:     by_value
      - .offset:         84
        .size:           4
        .value_kind:     by_value
      - .offset:         88
        .size:           4
        .value_kind:     by_value
      - .offset:         92
        .size:           12
        .value_kind:     by_value
      - .offset:         104
        .size:           4
        .value_kind:     by_value
      - .offset:         108
        .size:           4
        .value_kind:     by_value
      - .offset:         112
        .size:           4
        .value_kind:     by_value
      - .offset:         116
        .size:           4
        .value_kind:     by_value
      - .offset:         120
        .size:           4
        .value_kind:     by_value
      - .offset:         124
        .size:           4
        .value_kind:     by_value
      - .offset:         128
        .size:           4
        .value_kind:     by_value
      - .offset:         132
        .size:           4
        .value_kind:     by_value
      - .offset:         136
        .size:           4
        .value_kind:     by_value
      - .offset:         140
        .size:           4
        .value_kind:     by_value
      - .offset:         144
        .size:           4
        .value_kind:     by_value
      - .offset:         152
        .size:           8
        .value_kind:     by_value
      - .offset:         160
        .size:           4
        .value_kind:     by_value
      - .offset:         164
        .size:           4
        .value_kind:     by_value
      - .offset:         168
        .size:           8
        .value_kind:     by_value
      - .offset:         176
        .size:           4
        .value_kind:     by_value
      - .offset:         180
        .size:           4
        .value_kind:     by_value
      - .offset:         184
        .size:           4
        .value_kind:     by_value
      - .offset:         188
        .size:           4
        .value_kind:     by_value
      - .offset:         192
        .size:           4
        .value_kind:     by_value
      - .offset:         200
        .size:           8
        .value_kind:     by_value
      - .offset:         208
        .size:           4
        .value_kind:     hidden_block_count_x
      - .offset:         212
        .size:           4
        .value_kind:     hidden_block_count_y
      - .offset:         216
        .size:           4
        .value_kind:     hidden_block_count_z
      - .offset:         220
        .size:           2
        .value_kind:     hidden_group_size_x
      - .offset:         222
        .size:           2
        .value_kind:     hidden_group_size_y
      - .offset:         224
        .size:           2
        .value_kind:     hidden_group_size_z
      - .offset:         226
        .size:           2
        .value_kind:     hidden_remainder_x
      - .offset:         228
        .size:           2
        .value_kind:     hidden_remainder_y
      - .offset:         230
        .size:           2
        .value_kind:     hidden_remainder_z
      - .offset:         248
        .size:           8
        .value_kind:     hidden_global_offset_x
      - .offset:         256
        .size:           8
        .value_kind:     hidden_global_offset_y
      - .offset:         264
        .size:           8
        .value_kind:     hidden_global_offset_z
      - .offset:         272
        .size:           2
        .value_kind:     hidden_grid_dims
    .group_segment_fixed_size: 22528
    .kernarg_segment_align: 8
    .kernarg_segment_size: 464
    .language:       OpenCL C
    .language_version:
      - 2
      - 0
    .max_flat_workgroup_size: 256
    .name:           _ZL15flash_attn_tileILi256ELi256ELi4ELi2ELb1EEvPKcS1_S1_S1_S1_PKiPfP15HIP_vector_typeIfLj2EEffffjfiS5_IjLj3EEiiiiiiiiiiiliiliiiiil
    .private_segment_fixed_size: 0
    .sgpr_count:     44
    .sgpr_spill_count: 0
    .symbol:         _ZL15flash_attn_tileILi256ELi256ELi4ELi2ELb1EEvPKcS1_S1_S1_S1_PKiPfP15HIP_vector_typeIfLj2EEffffjfiS5_IjLj3EEiiiiiiiiiiiliiliiiiil.kd
    .uniform_work_group_size: 1
    .uses_dynamic_stack: false
    .vgpr_count:     81
    .vgpr_spill_count: 0
    .wavefront_size: 64
  - .args:
      - .address_space:  global
        .offset:         0
        .size:           8
        .value_kind:     global_buffer
      - .address_space:  global
        .offset:         8
        .size:           8
        .value_kind:     global_buffer
      - .address_space:  global
        .offset:         16
        .size:           8
        .value_kind:     global_buffer
      - .address_space:  global
        .offset:         24
        .size:           8
        .value_kind:     global_buffer
      - .address_space:  global
        .offset:         32
        .size:           8
        .value_kind:     global_buffer
      - .address_space:  global
        .offset:         40
        .size:           8
        .value_kind:     global_buffer
      - .address_space:  global
        .offset:         48
        .size:           8
        .value_kind:     global_buffer
      - .address_space:  global
        .offset:         56
        .size:           8
        .value_kind:     global_buffer
      - .offset:         64
        .size:           4
        .value_kind:     by_value
      - .offset:         68
        .size:           4
        .value_kind:     by_value
      - .offset:         72
        .size:           4
        .value_kind:     by_value
      - .offset:         76
        .size:           4
        .value_kind:     by_value
      - .offset:         80
        .size:           4
        .value_kind:     by_value
      - .offset:         84
        .size:           4
        .value_kind:     by_value
      - .offset:         88
        .size:           4
        .value_kind:     by_value
      - .offset:         92
        .size:           12
        .value_kind:     by_value
      - .offset:         104
        .size:           4
        .value_kind:     by_value
      - .offset:         108
        .size:           4
        .value_kind:     by_value
      - .offset:         112
        .size:           4
        .value_kind:     by_value
      - .offset:         116
        .size:           4
        .value_kind:     by_value
      - .offset:         120
        .size:           4
        .value_kind:     by_value
      - .offset:         124
        .size:           4
        .value_kind:     by_value
      - .offset:         128
        .size:           4
        .value_kind:     by_value
      - .offset:         132
        .size:           4
        .value_kind:     by_value
      - .offset:         136
        .size:           4
        .value_kind:     by_value
      - .offset:         140
        .size:           4
        .value_kind:     by_value
      - .offset:         144
        .size:           4
        .value_kind:     by_value
      - .offset:         152
        .size:           8
        .value_kind:     by_value
      - .offset:         160
        .size:           4
        .value_kind:     by_value
      - .offset:         164
        .size:           4
        .value_kind:     by_value
      - .offset:         168
        .size:           8
        .value_kind:     by_value
      - .offset:         176
        .size:           4
        .value_kind:     by_value
      - .offset:         180
        .size:           4
        .value_kind:     by_value
      - .offset:         184
        .size:           4
        .value_kind:     by_value
      - .offset:         188
        .size:           4
        .value_kind:     by_value
      - .offset:         192
        .size:           4
        .value_kind:     by_value
      - .offset:         200
        .size:           8
        .value_kind:     by_value
      - .offset:         208
        .size:           4
        .value_kind:     hidden_block_count_x
      - .offset:         212
        .size:           4
        .value_kind:     hidden_block_count_y
      - .offset:         216
        .size:           4
        .value_kind:     hidden_block_count_z
      - .offset:         220
        .size:           2
        .value_kind:     hidden_group_size_x
      - .offset:         222
        .size:           2
        .value_kind:     hidden_group_size_y
      - .offset:         224
        .size:           2
        .value_kind:     hidden_group_size_z
      - .offset:         226
        .size:           2
        .value_kind:     hidden_remainder_x
      - .offset:         228
        .size:           2
        .value_kind:     hidden_remainder_y
      - .offset:         230
        .size:           2
        .value_kind:     hidden_remainder_z
      - .offset:         248
        .size:           8
        .value_kind:     hidden_global_offset_x
      - .offset:         256
        .size:           8
        .value_kind:     hidden_global_offset_y
      - .offset:         264
        .size:           8
        .value_kind:     hidden_global_offset_z
      - .offset:         272
        .size:           2
        .value_kind:     hidden_grid_dims
    .group_segment_fixed_size: 20000
    .kernarg_segment_align: 8
    .kernarg_segment_size: 464
    .language:       OpenCL C
    .language_version:
      - 2
      - 0
    .max_flat_workgroup_size: 256
    .name:           _ZL15flash_attn_tileILi256ELi256ELi2ELi2ELb1EEvPKcS1_S1_S1_S1_PKiPfP15HIP_vector_typeIfLj2EEffffjfiS5_IjLj3EEiiiiiiiiiiiliiliiiiil
    .private_segment_fixed_size: 0
    .sgpr_count:     44
    .sgpr_spill_count: 0
    .symbol:         _ZL15flash_attn_tileILi256ELi256ELi2ELi2ELb1EEvPKcS1_S1_S1_S1_PKiPfP15HIP_vector_typeIfLj2EEffffjfiS5_IjLj3EEiiiiiiiiiiiliiliiiiil.kd
    .uniform_work_group_size: 1
    .uses_dynamic_stack: false
    .vgpr_count:     108
    .vgpr_spill_count: 0
    .wavefront_size: 64
  - .args:
      - .address_space:  global
        .offset:         0
        .size:           8
        .value_kind:     global_buffer
      - .address_space:  global
        .offset:         8
        .size:           8
        .value_kind:     global_buffer
      - .address_space:  global
        .offset:         16
        .size:           8
        .value_kind:     global_buffer
      - .address_space:  global
        .offset:         24
        .size:           8
        .value_kind:     global_buffer
      - .address_space:  global
        .offset:         32
        .size:           8
        .value_kind:     global_buffer
      - .address_space:  global
        .offset:         40
        .size:           8
        .value_kind:     global_buffer
      - .address_space:  global
        .offset:         48
        .size:           8
        .value_kind:     global_buffer
      - .address_space:  global
        .offset:         56
        .size:           8
        .value_kind:     global_buffer
      - .offset:         64
        .size:           4
        .value_kind:     by_value
      - .offset:         68
        .size:           4
        .value_kind:     by_value
      - .offset:         72
        .size:           4
        .value_kind:     by_value
      - .offset:         76
        .size:           4
        .value_kind:     by_value
      - .offset:         80
        .size:           4
        .value_kind:     by_value
      - .offset:         84
        .size:           4
        .value_kind:     by_value
      - .offset:         88
        .size:           4
        .value_kind:     by_value
      - .offset:         92
        .size:           12
        .value_kind:     by_value
      - .offset:         104
        .size:           4
        .value_kind:     by_value
      - .offset:         108
        .size:           4
        .value_kind:     by_value
      - .offset:         112
        .size:           4
        .value_kind:     by_value
      - .offset:         116
        .size:           4
        .value_kind:     by_value
      - .offset:         120
        .size:           4
        .value_kind:     by_value
      - .offset:         124
        .size:           4
        .value_kind:     by_value
      - .offset:         128
        .size:           4
        .value_kind:     by_value
      - .offset:         132
        .size:           4
        .value_kind:     by_value
      - .offset:         136
        .size:           4
        .value_kind:     by_value
      - .offset:         140
        .size:           4
        .value_kind:     by_value
      - .offset:         144
        .size:           4
        .value_kind:     by_value
      - .offset:         152
        .size:           8
        .value_kind:     by_value
      - .offset:         160
        .size:           4
        .value_kind:     by_value
      - .offset:         164
        .size:           4
        .value_kind:     by_value
      - .offset:         168
        .size:           8
        .value_kind:     by_value
      - .offset:         176
        .size:           4
        .value_kind:     by_value
      - .offset:         180
        .size:           4
        .value_kind:     by_value
      - .offset:         184
        .size:           4
        .value_kind:     by_value
      - .offset:         188
        .size:           4
        .value_kind:     by_value
      - .offset:         192
        .size:           4
        .value_kind:     by_value
      - .offset:         200
        .size:           8
        .value_kind:     by_value
      - .offset:         208
        .size:           4
        .value_kind:     hidden_block_count_x
      - .offset:         212
        .size:           4
        .value_kind:     hidden_block_count_y
      - .offset:         216
        .size:           4
        .value_kind:     hidden_block_count_z
      - .offset:         220
        .size:           2
        .value_kind:     hidden_group_size_x
      - .offset:         222
        .size:           2
        .value_kind:     hidden_group_size_y
      - .offset:         224
        .size:           2
        .value_kind:     hidden_group_size_z
      - .offset:         226
        .size:           2
        .value_kind:     hidden_remainder_x
      - .offset:         228
        .size:           2
        .value_kind:     hidden_remainder_y
      - .offset:         230
        .size:           2
        .value_kind:     hidden_remainder_z
      - .offset:         248
        .size:           8
        .value_kind:     hidden_global_offset_x
      - .offset:         256
        .size:           8
        .value_kind:     hidden_global_offset_y
      - .offset:         264
        .size:           8
        .value_kind:     hidden_global_offset_z
      - .offset:         272
        .size:           2
        .value_kind:     hidden_grid_dims
    .group_segment_fixed_size: 20000
    .kernarg_segment_align: 8
    .kernarg_segment_size: 464
    .language:       OpenCL C
    .language_version:
      - 2
      - 0
    .max_flat_workgroup_size: 256
    .name:           _ZL15flash_attn_tileILi256ELi256ELi1ELi2ELb1EEvPKcS1_S1_S1_S1_PKiPfP15HIP_vector_typeIfLj2EEffffjfiS5_IjLj3EEiiiiiiiiiiiliiliiiiil
    .private_segment_fixed_size: 0
    .sgpr_count:     49
    .sgpr_spill_count: 0
    .symbol:         _ZL15flash_attn_tileILi256ELi256ELi1ELi2ELb1EEvPKcS1_S1_S1_S1_PKiPfP15HIP_vector_typeIfLj2EEffffjfiS5_IjLj3EEiiiiiiiiiiiliiliiiiil.kd
    .uniform_work_group_size: 1
    .uses_dynamic_stack: false
    .vgpr_count:     78
    .vgpr_spill_count: 0
    .wavefront_size: 64
  - .args:
      - .address_space:  global
        .offset:         0
        .size:           8
        .value_kind:     global_buffer
      - .address_space:  global
        .offset:         8
        .size:           8
        .value_kind:     global_buffer
      - .address_space:  global
        .offset:         16
        .size:           8
        .value_kind:     global_buffer
      - .address_space:  global
        .offset:         24
        .size:           8
        .value_kind:     global_buffer
      - .address_space:  global
        .offset:         32
        .size:           8
        .value_kind:     global_buffer
      - .address_space:  global
        .offset:         40
        .size:           8
        .value_kind:     global_buffer
      - .address_space:  global
        .offset:         48
        .size:           8
        .value_kind:     global_buffer
      - .address_space:  global
        .offset:         56
        .size:           8
        .value_kind:     global_buffer
      - .offset:         64
        .size:           4
        .value_kind:     by_value
      - .offset:         68
        .size:           4
        .value_kind:     by_value
      - .offset:         72
        .size:           4
        .value_kind:     by_value
      - .offset:         76
        .size:           4
        .value_kind:     by_value
      - .offset:         80
        .size:           4
        .value_kind:     by_value
      - .offset:         84
        .size:           4
        .value_kind:     by_value
      - .offset:         88
        .size:           4
        .value_kind:     by_value
      - .offset:         92
        .size:           12
        .value_kind:     by_value
      - .offset:         104
        .size:           4
        .value_kind:     by_value
      - .offset:         108
        .size:           4
        .value_kind:     by_value
      - .offset:         112
        .size:           4
        .value_kind:     by_value
      - .offset:         116
        .size:           4
        .value_kind:     by_value
      - .offset:         120
        .size:           4
        .value_kind:     by_value
      - .offset:         124
        .size:           4
        .value_kind:     by_value
      - .offset:         128
        .size:           4
        .value_kind:     by_value
      - .offset:         132
        .size:           4
        .value_kind:     by_value
      - .offset:         136
        .size:           4
        .value_kind:     by_value
      - .offset:         140
        .size:           4
        .value_kind:     by_value
      - .offset:         144
        .size:           4
        .value_kind:     by_value
      - .offset:         152
        .size:           8
        .value_kind:     by_value
      - .offset:         160
        .size:           4
        .value_kind:     by_value
      - .offset:         164
        .size:           4
        .value_kind:     by_value
      - .offset:         168
        .size:           8
        .value_kind:     by_value
      - .offset:         176
        .size:           4
        .value_kind:     by_value
      - .offset:         180
        .size:           4
        .value_kind:     by_value
      - .offset:         184
        .size:           4
        .value_kind:     by_value
      - .offset:         188
        .size:           4
        .value_kind:     by_value
      - .offset:         192
        .size:           4
        .value_kind:     by_value
      - .offset:         200
        .size:           8
        .value_kind:     by_value
      - .offset:         208
        .size:           4
        .value_kind:     hidden_block_count_x
      - .offset:         212
        .size:           4
        .value_kind:     hidden_block_count_y
      - .offset:         216
        .size:           4
        .value_kind:     hidden_block_count_z
      - .offset:         220
        .size:           2
        .value_kind:     hidden_group_size_x
      - .offset:         222
        .size:           2
        .value_kind:     hidden_group_size_y
      - .offset:         224
        .size:           2
        .value_kind:     hidden_group_size_z
      - .offset:         226
        .size:           2
        .value_kind:     hidden_remainder_x
      - .offset:         228
        .size:           2
        .value_kind:     hidden_remainder_y
      - .offset:         230
        .size:           2
        .value_kind:     hidden_remainder_z
      - .offset:         248
        .size:           8
        .value_kind:     hidden_global_offset_x
      - .offset:         256
        .size:           8
        .value_kind:     hidden_global_offset_y
      - .offset:         264
        .size:           8
        .value_kind:     hidden_global_offset_z
      - .offset:         272
        .size:           2
        .value_kind:     hidden_grid_dims
    .group_segment_fixed_size: 27136
    .kernarg_segment_align: 8
    .kernarg_segment_size: 464
    .language:       OpenCL C
    .language_version:
      - 2
      - 0
    .max_flat_workgroup_size: 256
    .name:           _ZL15flash_attn_tileILi256ELi256ELi32ELi1ELb1EEvPKcS1_S1_S1_S1_PKiPfP15HIP_vector_typeIfLj2EEffffjfiS5_IjLj3EEiiiiiiiiiiiliiliiiiil
    .private_segment_fixed_size: 32
    .sgpr_count:     58
    .sgpr_spill_count: 0
    .symbol:         _ZL15flash_attn_tileILi256ELi256ELi32ELi1ELb1EEvPKcS1_S1_S1_S1_PKiPfP15HIP_vector_typeIfLj2EEffffjfiS5_IjLj3EEiiiiiiiiiiiliiliiiiil.kd
    .uniform_work_group_size: 1
    .uses_dynamic_stack: false
    .vgpr_count:     112
    .vgpr_spill_count: 0
    .wavefront_size: 64
  - .args:
      - .address_space:  global
        .offset:         0
        .size:           8
        .value_kind:     global_buffer
      - .address_space:  global
        .offset:         8
        .size:           8
        .value_kind:     global_buffer
      - .address_space:  global
        .offset:         16
        .size:           8
        .value_kind:     global_buffer
      - .address_space:  global
        .offset:         24
        .size:           8
        .value_kind:     global_buffer
      - .address_space:  global
        .offset:         32
        .size:           8
        .value_kind:     global_buffer
      - .address_space:  global
        .offset:         40
        .size:           8
        .value_kind:     global_buffer
      - .address_space:  global
        .offset:         48
        .size:           8
        .value_kind:     global_buffer
      - .address_space:  global
        .offset:         56
        .size:           8
        .value_kind:     global_buffer
      - .offset:         64
        .size:           4
        .value_kind:     by_value
      - .offset:         68
        .size:           4
        .value_kind:     by_value
      - .offset:         72
        .size:           4
        .value_kind:     by_value
      - .offset:         76
        .size:           4
        .value_kind:     by_value
      - .offset:         80
        .size:           4
        .value_kind:     by_value
      - .offset:         84
        .size:           4
        .value_kind:     by_value
      - .offset:         88
        .size:           4
        .value_kind:     by_value
      - .offset:         92
        .size:           12
        .value_kind:     by_value
      - .offset:         104
        .size:           4
        .value_kind:     by_value
      - .offset:         108
        .size:           4
        .value_kind:     by_value
      - .offset:         112
        .size:           4
        .value_kind:     by_value
      - .offset:         116
        .size:           4
        .value_kind:     by_value
      - .offset:         120
        .size:           4
        .value_kind:     by_value
      - .offset:         124
        .size:           4
        .value_kind:     by_value
      - .offset:         128
        .size:           4
        .value_kind:     by_value
      - .offset:         132
        .size:           4
        .value_kind:     by_value
      - .offset:         136
        .size:           4
        .value_kind:     by_value
      - .offset:         140
        .size:           4
        .value_kind:     by_value
      - .offset:         144
        .size:           4
        .value_kind:     by_value
      - .offset:         152
        .size:           8
        .value_kind:     by_value
      - .offset:         160
        .size:           4
        .value_kind:     by_value
      - .offset:         164
        .size:           4
        .value_kind:     by_value
      - .offset:         168
        .size:           8
        .value_kind:     by_value
      - .offset:         176
        .size:           4
        .value_kind:     by_value
      - .offset:         180
        .size:           4
        .value_kind:     by_value
      - .offset:         184
        .size:           4
        .value_kind:     by_value
      - .offset:         188
        .size:           4
        .value_kind:     by_value
      - .offset:         192
        .size:           4
        .value_kind:     by_value
      - .offset:         200
        .size:           8
        .value_kind:     by_value
      - .offset:         208
        .size:           4
        .value_kind:     hidden_block_count_x
      - .offset:         212
        .size:           4
        .value_kind:     hidden_block_count_y
      - .offset:         216
        .size:           4
        .value_kind:     hidden_block_count_z
      - .offset:         220
        .size:           2
        .value_kind:     hidden_group_size_x
      - .offset:         222
        .size:           2
        .value_kind:     hidden_group_size_y
      - .offset:         224
        .size:           2
        .value_kind:     hidden_group_size_z
      - .offset:         226
        .size:           2
        .value_kind:     hidden_remainder_x
      - .offset:         228
        .size:           2
        .value_kind:     hidden_remainder_y
      - .offset:         230
        .size:           2
        .value_kind:     hidden_remainder_z
      - .offset:         248
        .size:           8
        .value_kind:     hidden_global_offset_x
      - .offset:         256
        .size:           8
        .value_kind:     hidden_global_offset_y
      - .offset:         264
        .size:           8
        .value_kind:     hidden_global_offset_z
      - .offset:         272
        .size:           2
        .value_kind:     hidden_grid_dims
    .group_segment_fixed_size: 17920
    .kernarg_segment_align: 8
    .kernarg_segment_size: 464
    .language:       OpenCL C
    .language_version:
      - 2
      - 0
    .max_flat_workgroup_size: 256
    .name:           _ZL15flash_attn_tileILi256ELi256ELi16ELi1ELb1EEvPKcS1_S1_S1_S1_PKiPfP15HIP_vector_typeIfLj2EEffffjfiS5_IjLj3EEiiiiiiiiiiiliiliiiiil
    .private_segment_fixed_size: 32
    .sgpr_count:     58
    .sgpr_spill_count: 0
    .symbol:         _ZL15flash_attn_tileILi256ELi256ELi16ELi1ELb1EEvPKcS1_S1_S1_S1_PKiPfP15HIP_vector_typeIfLj2EEffffjfiS5_IjLj3EEiiiiiiiiiiiliiliiiiil.kd
    .uniform_work_group_size: 1
    .uses_dynamic_stack: false
    .vgpr_count:     75
    .vgpr_spill_count: 0
    .wavefront_size: 64
  - .args:
      - .address_space:  global
        .offset:         0
        .size:           8
        .value_kind:     global_buffer
      - .address_space:  global
        .offset:         8
        .size:           8
        .value_kind:     global_buffer
      - .address_space:  global
        .offset:         16
        .size:           8
        .value_kind:     global_buffer
      - .address_space:  global
        .offset:         24
        .size:           8
        .value_kind:     global_buffer
      - .address_space:  global
        .offset:         32
        .size:           8
        .value_kind:     global_buffer
      - .address_space:  global
        .offset:         40
        .size:           8
        .value_kind:     global_buffer
      - .address_space:  global
        .offset:         48
        .size:           8
        .value_kind:     global_buffer
      - .address_space:  global
        .offset:         56
        .size:           8
        .value_kind:     global_buffer
      - .offset:         64
        .size:           4
        .value_kind:     by_value
      - .offset:         68
        .size:           4
        .value_kind:     by_value
      - .offset:         72
        .size:           4
        .value_kind:     by_value
      - .offset:         76
        .size:           4
        .value_kind:     by_value
      - .offset:         80
        .size:           4
        .value_kind:     by_value
      - .offset:         84
        .size:           4
        .value_kind:     by_value
      - .offset:         88
        .size:           4
        .value_kind:     by_value
      - .offset:         92
        .size:           12
        .value_kind:     by_value
      - .offset:         104
        .size:           4
        .value_kind:     by_value
      - .offset:         108
        .size:           4
        .value_kind:     by_value
      - .offset:         112
        .size:           4
        .value_kind:     by_value
      - .offset:         116
        .size:           4
        .value_kind:     by_value
      - .offset:         120
        .size:           4
        .value_kind:     by_value
      - .offset:         124
        .size:           4
        .value_kind:     by_value
      - .offset:         128
        .size:           4
        .value_kind:     by_value
      - .offset:         132
        .size:           4
        .value_kind:     by_value
      - .offset:         136
        .size:           4
        .value_kind:     by_value
      - .offset:         140
        .size:           4
        .value_kind:     by_value
      - .offset:         144
        .size:           4
        .value_kind:     by_value
      - .offset:         152
        .size:           8
        .value_kind:     by_value
      - .offset:         160
        .size:           4
        .value_kind:     by_value
      - .offset:         164
        .size:           4
        .value_kind:     by_value
      - .offset:         168
        .size:           8
        .value_kind:     by_value
      - .offset:         176
        .size:           4
        .value_kind:     by_value
      - .offset:         180
        .size:           4
        .value_kind:     by_value
      - .offset:         184
        .size:           4
        .value_kind:     by_value
      - .offset:         188
        .size:           4
        .value_kind:     by_value
      - .offset:         192
        .size:           4
        .value_kind:     by_value
      - .offset:         200
        .size:           8
        .value_kind:     by_value
      - .offset:         208
        .size:           4
        .value_kind:     hidden_block_count_x
      - .offset:         212
        .size:           4
        .value_kind:     hidden_block_count_y
      - .offset:         216
        .size:           4
        .value_kind:     hidden_block_count_z
      - .offset:         220
        .size:           2
        .value_kind:     hidden_group_size_x
      - .offset:         222
        .size:           2
        .value_kind:     hidden_group_size_y
      - .offset:         224
        .size:           2
        .value_kind:     hidden_group_size_z
      - .offset:         226
        .size:           2
        .value_kind:     hidden_remainder_x
      - .offset:         228
        .size:           2
        .value_kind:     hidden_remainder_y
      - .offset:         230
        .size:           2
        .value_kind:     hidden_remainder_z
      - .offset:         248
        .size:           8
        .value_kind:     hidden_global_offset_x
      - .offset:         256
        .size:           8
        .value_kind:     hidden_global_offset_y
      - .offset:         264
        .size:           8
        .value_kind:     hidden_global_offset_z
      - .offset:         272
        .size:           2
        .value_kind:     hidden_grid_dims
    .group_segment_fixed_size: 22528
    .kernarg_segment_align: 8
    .kernarg_segment_size: 464
    .language:       OpenCL C
    .language_version:
      - 2
      - 0
    .max_flat_workgroup_size: 256
    .name:           _ZL15flash_attn_tileILi256ELi256ELi8ELi1ELb1EEvPKcS1_S1_S1_S1_PKiPfP15HIP_vector_typeIfLj2EEffffjfiS5_IjLj3EEiiiiiiiiiiiliiliiiiil
    .private_segment_fixed_size: 32
    .sgpr_count:     58
    .sgpr_spill_count: 0
    .symbol:         _ZL15flash_attn_tileILi256ELi256ELi8ELi1ELb1EEvPKcS1_S1_S1_S1_PKiPfP15HIP_vector_typeIfLj2EEffffjfiS5_IjLj3EEiiiiiiiiiiiliiliiiiil.kd
    .uniform_work_group_size: 1
    .uses_dynamic_stack: false
    .vgpr_count:     82
    .vgpr_spill_count: 0
    .wavefront_size: 64
  - .args:
      - .address_space:  global
        .offset:         0
        .size:           8
        .value_kind:     global_buffer
      - .address_space:  global
        .offset:         8
        .size:           8
        .value_kind:     global_buffer
      - .address_space:  global
        .offset:         16
        .size:           8
        .value_kind:     global_buffer
      - .address_space:  global
        .offset:         24
        .size:           8
        .value_kind:     global_buffer
      - .address_space:  global
        .offset:         32
        .size:           8
        .value_kind:     global_buffer
      - .address_space:  global
        .offset:         40
        .size:           8
        .value_kind:     global_buffer
      - .address_space:  global
        .offset:         48
        .size:           8
        .value_kind:     global_buffer
      - .address_space:  global
        .offset:         56
        .size:           8
        .value_kind:     global_buffer
      - .offset:         64
        .size:           4
        .value_kind:     by_value
      - .offset:         68
        .size:           4
        .value_kind:     by_value
      - .offset:         72
        .size:           4
        .value_kind:     by_value
      - .offset:         76
        .size:           4
        .value_kind:     by_value
      - .offset:         80
        .size:           4
        .value_kind:     by_value
      - .offset:         84
        .size:           4
        .value_kind:     by_value
      - .offset:         88
        .size:           4
        .value_kind:     by_value
      - .offset:         92
        .size:           12
        .value_kind:     by_value
      - .offset:         104
        .size:           4
        .value_kind:     by_value
      - .offset:         108
        .size:           4
        .value_kind:     by_value
      - .offset:         112
        .size:           4
        .value_kind:     by_value
      - .offset:         116
        .size:           4
        .value_kind:     by_value
      - .offset:         120
        .size:           4
        .value_kind:     by_value
      - .offset:         124
        .size:           4
        .value_kind:     by_value
      - .offset:         128
        .size:           4
        .value_kind:     by_value
      - .offset:         132
        .size:           4
        .value_kind:     by_value
      - .offset:         136
        .size:           4
        .value_kind:     by_value
      - .offset:         140
        .size:           4
        .value_kind:     by_value
      - .offset:         144
        .size:           4
        .value_kind:     by_value
      - .offset:         152
        .size:           8
        .value_kind:     by_value
      - .offset:         160
        .size:           4
        .value_kind:     by_value
      - .offset:         164
        .size:           4
        .value_kind:     by_value
      - .offset:         168
        .size:           8
        .value_kind:     by_value
      - .offset:         176
        .size:           4
        .value_kind:     by_value
      - .offset:         180
        .size:           4
        .value_kind:     by_value
      - .offset:         184
        .size:           4
        .value_kind:     by_value
      - .offset:         188
        .size:           4
        .value_kind:     by_value
      - .offset:         192
        .size:           4
        .value_kind:     by_value
      - .offset:         200
        .size:           8
        .value_kind:     by_value
      - .offset:         208
        .size:           4
        .value_kind:     hidden_block_count_x
      - .offset:         212
        .size:           4
        .value_kind:     hidden_block_count_y
      - .offset:         216
        .size:           4
        .value_kind:     hidden_block_count_z
      - .offset:         220
        .size:           2
        .value_kind:     hidden_group_size_x
      - .offset:         222
        .size:           2
        .value_kind:     hidden_group_size_y
      - .offset:         224
        .size:           2
        .value_kind:     hidden_group_size_z
      - .offset:         226
        .size:           2
        .value_kind:     hidden_remainder_x
      - .offset:         228
        .size:           2
        .value_kind:     hidden_remainder_y
      - .offset:         230
        .size:           2
        .value_kind:     hidden_remainder_z
      - .offset:         248
        .size:           8
        .value_kind:     hidden_global_offset_x
      - .offset:         256
        .size:           8
        .value_kind:     hidden_global_offset_y
      - .offset:         264
        .size:           8
        .value_kind:     hidden_global_offset_z
      - .offset:         272
        .size:           2
        .value_kind:     hidden_grid_dims
    .group_segment_fixed_size: 20032
    .kernarg_segment_align: 8
    .kernarg_segment_size: 464
    .language:       OpenCL C
    .language_version:
      - 2
      - 0
    .max_flat_workgroup_size: 256
    .name:           _ZL15flash_attn_tileILi256ELi256ELi4ELi1ELb1EEvPKcS1_S1_S1_S1_PKiPfP15HIP_vector_typeIfLj2EEffffjfiS5_IjLj3EEiiiiiiiiiiiliiliiiiil
    .private_segment_fixed_size: 32
    .sgpr_count:     58
    .sgpr_spill_count: 0
    .symbol:         _ZL15flash_attn_tileILi256ELi256ELi4ELi1ELb1EEvPKcS1_S1_S1_S1_PKiPfP15HIP_vector_typeIfLj2EEffffjfiS5_IjLj3EEiiiiiiiiiiiliiliiiiil.kd
    .uniform_work_group_size: 1
    .uses_dynamic_stack: false
    .vgpr_count:     109
    .vgpr_spill_count: 0
    .wavefront_size: 64
  - .args:
      - .address_space:  global
        .offset:         0
        .size:           8
        .value_kind:     global_buffer
      - .address_space:  global
        .offset:         8
        .size:           8
        .value_kind:     global_buffer
      - .address_space:  global
        .offset:         16
        .size:           8
        .value_kind:     global_buffer
      - .address_space:  global
        .offset:         24
        .size:           8
        .value_kind:     global_buffer
      - .address_space:  global
        .offset:         32
        .size:           8
        .value_kind:     global_buffer
      - .address_space:  global
        .offset:         40
        .size:           8
        .value_kind:     global_buffer
      - .address_space:  global
        .offset:         48
        .size:           8
        .value_kind:     global_buffer
      - .address_space:  global
        .offset:         56
        .size:           8
        .value_kind:     global_buffer
      - .offset:         64
        .size:           4
        .value_kind:     by_value
      - .offset:         68
        .size:           4
        .value_kind:     by_value
      - .offset:         72
        .size:           4
        .value_kind:     by_value
      - .offset:         76
        .size:           4
        .value_kind:     by_value
      - .offset:         80
        .size:           4
        .value_kind:     by_value
      - .offset:         84
        .size:           4
        .value_kind:     by_value
      - .offset:         88
        .size:           4
        .value_kind:     by_value
      - .offset:         92
        .size:           12
        .value_kind:     by_value
      - .offset:         104
        .size:           4
        .value_kind:     by_value
      - .offset:         108
        .size:           4
        .value_kind:     by_value
      - .offset:         112
        .size:           4
        .value_kind:     by_value
      - .offset:         116
        .size:           4
        .value_kind:     by_value
      - .offset:         120
        .size:           4
        .value_kind:     by_value
      - .offset:         124
        .size:           4
        .value_kind:     by_value
      - .offset:         128
        .size:           4
        .value_kind:     by_value
      - .offset:         132
        .size:           4
        .value_kind:     by_value
      - .offset:         136
        .size:           4
        .value_kind:     by_value
      - .offset:         140
        .size:           4
        .value_kind:     by_value
      - .offset:         144
        .size:           4
        .value_kind:     by_value
      - .offset:         152
        .size:           8
        .value_kind:     by_value
      - .offset:         160
        .size:           4
        .value_kind:     by_value
      - .offset:         164
        .size:           4
        .value_kind:     by_value
      - .offset:         168
        .size:           8
        .value_kind:     by_value
      - .offset:         176
        .size:           4
        .value_kind:     by_value
      - .offset:         180
        .size:           4
        .value_kind:     by_value
      - .offset:         184
        .size:           4
        .value_kind:     by_value
      - .offset:         188
        .size:           4
        .value_kind:     by_value
      - .offset:         192
        .size:           4
        .value_kind:     by_value
      - .offset:         200
        .size:           8
        .value_kind:     by_value
      - .offset:         208
        .size:           4
        .value_kind:     hidden_block_count_x
      - .offset:         212
        .size:           4
        .value_kind:     hidden_block_count_y
      - .offset:         216
        .size:           4
        .value_kind:     hidden_block_count_z
      - .offset:         220
        .size:           2
        .value_kind:     hidden_group_size_x
      - .offset:         222
        .size:           2
        .value_kind:     hidden_group_size_y
      - .offset:         224
        .size:           2
        .value_kind:     hidden_group_size_z
      - .offset:         226
        .size:           2
        .value_kind:     hidden_remainder_x
      - .offset:         228
        .size:           2
        .value_kind:     hidden_remainder_y
      - .offset:         230
        .size:           2
        .value_kind:     hidden_remainder_z
      - .offset:         248
        .size:           8
        .value_kind:     hidden_global_offset_x
      - .offset:         256
        .size:           8
        .value_kind:     hidden_global_offset_y
      - .offset:         264
        .size:           8
        .value_kind:     hidden_global_offset_z
      - .offset:         272
        .size:           2
        .value_kind:     hidden_grid_dims
    .group_segment_fixed_size: 20032
    .kernarg_segment_align: 8
    .kernarg_segment_size: 464
    .language:       OpenCL C
    .language_version:
      - 2
      - 0
    .max_flat_workgroup_size: 256
    .name:           _ZL15flash_attn_tileILi256ELi256ELi2ELi1ELb1EEvPKcS1_S1_S1_S1_PKiPfP15HIP_vector_typeIfLj2EEffffjfiS5_IjLj3EEiiiiiiiiiiiliiliiiiil
    .private_segment_fixed_size: 32
    .sgpr_count:     58
    .sgpr_spill_count: 0
    .symbol:         _ZL15flash_attn_tileILi256ELi256ELi2ELi1ELb1EEvPKcS1_S1_S1_S1_PKiPfP15HIP_vector_typeIfLj2EEffffjfiS5_IjLj3EEiiiiiiiiiiiliiliiiiil.kd
    .uniform_work_group_size: 1
    .uses_dynamic_stack: false
    .vgpr_count:     79
    .vgpr_spill_count: 0
    .wavefront_size: 64
amdhsa.target:   amdgcn-amd-amdhsa--gfx906
amdhsa.version:
  - 1
  - 2
...

	.end_amdgpu_metadata
